;; amdgpu-corpus repo=ROCm/rocBLAS kind=compiled arch=gfx1100 opt=O3
	.text
	.amdgcn_target "amdgcn-amd-amdhsa--gfx1100"
	.amdhsa_code_object_version 6
	.section	.text._ZL28rocblas_dot_batched_4_kernelIiLi32ELi4ELb0EDF16_DF16_PKDF16_EviT5_lT_lS2_lS3_liPT4_,"axG",@progbits,_ZL28rocblas_dot_batched_4_kernelIiLi32ELi4ELb0EDF16_DF16_PKDF16_EviT5_lT_lS2_lS3_liPT4_,comdat
	.globl	_ZL28rocblas_dot_batched_4_kernelIiLi32ELi4ELb0EDF16_DF16_PKDF16_EviT5_lT_lS2_lS3_liPT4_ ; -- Begin function _ZL28rocblas_dot_batched_4_kernelIiLi32ELi4ELb0EDF16_DF16_PKDF16_EviT5_lT_lS2_lS3_liPT4_
	.p2align	8
	.type	_ZL28rocblas_dot_batched_4_kernelIiLi32ELi4ELb0EDF16_DF16_PKDF16_EviT5_lT_lS2_lS3_liPT4_,@function
_ZL28rocblas_dot_batched_4_kernelIiLi32ELi4ELb0EDF16_DF16_PKDF16_EviT5_lT_lS2_lS3_liPT4_: ; @_ZL28rocblas_dot_batched_4_kernelIiLi32ELi4ELb0EDF16_DF16_PKDF16_EviT5_lT_lS2_lS3_liPT4_
; %bb.0:
	s_load_b32 s2, s[0:1], 0x48
	v_bfe_u32 v1, v0, 10, 10
	s_delay_alu instid0(VALU_DEP_1) | instskip(SKIP_1) | instid1(VALU_DEP_1)
	v_lshl_add_u32 v1, s15, 2, v1
	s_waitcnt lgkmcnt(0)
	v_cmp_gt_u32_e32 vcc_lo, s2, v1
	s_and_saveexec_b32 s2, vcc_lo
	s_cbranch_execz .LBB0_7
; %bb.1:
	s_clause 0x1
	s_load_b32 s12, s[0:1], 0x0
	s_load_b64 s[2:3], s[0:1], 0x50
	v_mov_b32_e32 v2, 0
	v_and_b32_e32 v0, 0x3ff, v0
	s_mov_b32 s13, exec_lo
	s_delay_alu instid0(VALU_DEP_2) | instskip(SKIP_1) | instid1(VALU_DEP_2)
	v_mov_b32_e32 v7, v2
	s_waitcnt lgkmcnt(0)
	v_cmpx_gt_i32_e64 s12, v0
	s_cbranch_execz .LBB0_5
; %bb.2:
	s_clause 0x5
	s_load_b128 s[4:7], s[0:1], 0x20
	s_load_b64 s[14:15], s[0:1], 0x40
	s_load_b32 s16, s[0:1], 0x18
	s_load_b32 s18, s[0:1], 0x38
	s_load_b128 s[8:11], s[0:1], 0x8
	s_load_b64 s[0:1], s[0:1], 0x30
	s_waitcnt lgkmcnt(0)
	v_mad_u64_u32 v[3:4], null, s4, v1, 0
	v_mad_u64_u32 v[5:6], null, s14, v1, 0
	v_mad_i64_i32 v[8:9], null, s16, v0, 0
	s_ashr_i32 s17, s16, 31
	s_ashr_i32 s19, s18, 31
	s_delay_alu instid0(VALU_DEP_2) | instskip(SKIP_1) | instid1(VALU_DEP_3)
	v_mad_u64_u32 v[10:11], null, s5, v1, v[4:5]
	v_mov_b32_e32 v7, 0
	v_lshlrev_b64 v[8:9], 1, v[8:9]
	s_lshl_b64 s[4:5], s[10:11], 1
	s_delay_alu instid0(SALU_CYCLE_1) | instskip(SKIP_1) | instid1(VALU_DEP_3)
	s_add_u32 s8, s8, s4
	s_addc_u32 s9, s9, s5
	v_mov_b32_e32 v4, v10
	v_mad_u64_u32 v[11:12], null, s15, v1, v[6:7]
	v_mad_i64_i32 v[12:13], null, s18, v0, 0
	s_delay_alu instid0(VALU_DEP_3) | instskip(SKIP_3) | instid1(VALU_DEP_3)
	v_lshlrev_b64 v[3:4], 1, v[3:4]
	s_lshl_b64 s[0:1], s[0:1], 1
	s_lshl_b64 s[4:5], s[16:17], 6
	s_add_u32 s0, s6, s0
	v_mov_b32_e32 v6, v11
	s_addc_u32 s1, s7, s1
	s_delay_alu instid0(VALU_DEP_3) | instskip(SKIP_1) | instid1(VALU_DEP_3)
	v_lshlrev_b64 v[10:11], 1, v[12:13]
	v_add_co_u32 v3, vcc_lo, v8, v3
	v_lshlrev_b64 v[5:6], 1, v[5:6]
	v_add_co_ci_u32_e32 v4, vcc_lo, v9, v4, vcc_lo
	v_mov_b32_e32 v8, v0
	s_lshl_b64 s[6:7], s[18:19], 6
	s_delay_alu instid0(VALU_DEP_3) | instskip(NEXT) | instid1(VALU_DEP_4)
	v_add_co_u32 v5, vcc_lo, v10, v5
	v_add_co_ci_u32_e32 v6, vcc_lo, v11, v6, vcc_lo
	v_add_co_u32 v3, vcc_lo, s8, v3
	v_add_co_ci_u32_e32 v4, vcc_lo, s9, v4, vcc_lo
	s_delay_alu instid0(VALU_DEP_4) | instskip(NEXT) | instid1(VALU_DEP_4)
	v_add_co_u32 v5, vcc_lo, s0, v5
	v_add_co_ci_u32_e32 v6, vcc_lo, s1, v6, vcc_lo
	s_mov_b32 s1, 0
	.p2align	6
.LBB0_3:                                ; =>This Inner Loop Header: Depth=1
	global_load_u16 v9, v[3:4], off
	global_load_u16 v10, v[5:6], off
	v_add_nc_u32_e32 v8, 32, v8
	v_add_co_u32 v3, vcc_lo, v3, s4
	v_add_co_ci_u32_e32 v4, vcc_lo, s5, v4, vcc_lo
	v_add_co_u32 v5, vcc_lo, v5, s6
	s_delay_alu instid0(VALU_DEP_4) | instskip(SKIP_1) | instid1(VALU_DEP_2)
	v_cmp_le_i32_e64 s0, s12, v8
	v_add_co_ci_u32_e32 v6, vcc_lo, s7, v6, vcc_lo
	s_or_b32 s1, s0, s1
	s_waitcnt vmcnt(0)
	v_fmac_f16_e32 v7, v9, v10
	s_and_not1_b32 exec_lo, exec_lo, s1
	s_cbranch_execnz .LBB0_3
; %bb.4:
	s_or_b32 exec_lo, exec_lo, s1
.LBB0_5:
	s_delay_alu instid0(SALU_CYCLE_1)
	s_or_b32 exec_lo, exec_lo, s13
	v_mbcnt_lo_u32_b32 v4, -1, 0
	v_and_b32_e32 v5, 0xffff, v7
	s_barrier
	buffer_gl0_inv
	v_cmp_gt_u32_e32 vcc_lo, 16, v4
	v_cndmask_b32_e64 v3, 0, 1, vcc_lo
	v_cmp_gt_u32_e32 vcc_lo, 24, v4
	s_delay_alu instid0(VALU_DEP_2) | instskip(NEXT) | instid1(VALU_DEP_1)
	v_lshlrev_b32_e32 v3, 4, v3
	v_add_lshl_u32 v3, v3, v4, 2
	ds_bpermute_b32 v3, v3, v5
	v_cndmask_b32_e64 v5, 0, 1, vcc_lo
	v_cmp_gt_u32_e32 vcc_lo, 28, v4
	s_delay_alu instid0(VALU_DEP_2) | instskip(NEXT) | instid1(VALU_DEP_1)
	v_lshlrev_b32_e32 v5, 3, v5
	v_add_lshl_u32 v5, v5, v4, 2
	s_waitcnt lgkmcnt(0)
	v_add_f16_e32 v6, v7, v3
	s_delay_alu instid0(VALU_DEP_1) | instskip(NEXT) | instid1(VALU_DEP_1)
	v_and_b32_e32 v7, 0xffff, v6
	v_and_or_b32 v3, 0xffff0000, v3, v7
	ds_bpermute_b32 v3, v5, v3
	v_cndmask_b32_e64 v5, 0, 1, vcc_lo
	v_cmp_gt_u32_e32 vcc_lo, 30, v4
	s_delay_alu instid0(VALU_DEP_2) | instskip(NEXT) | instid1(VALU_DEP_1)
	v_lshlrev_b32_e32 v5, 2, v5
	v_add_lshl_u32 v5, v5, v4, 2
	s_waitcnt lgkmcnt(0)
	v_add_f16_e32 v6, v6, v3
	s_delay_alu instid0(VALU_DEP_1) | instskip(NEXT) | instid1(VALU_DEP_1)
	v_and_b32_e32 v7, 0xffff, v6
	v_and_or_b32 v3, 0xffff0000, v3, v7
	ds_bpermute_b32 v3, v5, v3
	v_cndmask_b32_e64 v5, 0, 1, vcc_lo
	v_cmp_ne_u32_e32 vcc_lo, 31, v4
	s_delay_alu instid0(VALU_DEP_2) | instskip(NEXT) | instid1(VALU_DEP_1)
	v_lshlrev_b32_e32 v5, 1, v5
	v_add_lshl_u32 v5, v5, v4, 2
	v_add_co_ci_u32_e32 v4, vcc_lo, 0, v4, vcc_lo
	v_cmp_eq_u32_e32 vcc_lo, 0, v0
	s_delay_alu instid0(VALU_DEP_2) | instskip(SKIP_2) | instid1(VALU_DEP_1)
	v_lshlrev_b32_e32 v4, 2, v4
	s_waitcnt lgkmcnt(0)
	v_add_f16_e32 v6, v6, v3
	v_and_b32_e32 v7, 0xffff, v6
	s_delay_alu instid0(VALU_DEP_1) | instskip(SKIP_3) | instid1(VALU_DEP_1)
	v_and_or_b32 v3, 0xffff0000, v3, v7
	ds_bpermute_b32 v5, v5, v3
	s_waitcnt lgkmcnt(0)
	v_add_f16_e32 v3, v6, v5
	v_and_b32_e32 v6, 0xffff, v3
	s_delay_alu instid0(VALU_DEP_1)
	v_and_or_b32 v5, 0xffff0000, v5, v6
	ds_bpermute_b32 v4, v4, v5
	s_and_b32 exec_lo, exec_lo, vcc_lo
	s_cbranch_execz .LBB0_7
; %bb.6:
	v_lshlrev_b64 v[0:1], 1, v[1:2]
	s_waitcnt lgkmcnt(0)
	v_add_f16_e32 v2, v3, v4
	s_delay_alu instid0(VALU_DEP_2) | instskip(NEXT) | instid1(VALU_DEP_3)
	v_add_co_u32 v0, vcc_lo, s2, v0
	v_add_co_ci_u32_e32 v1, vcc_lo, s3, v1, vcc_lo
	global_store_b16 v[0:1], v2, off
.LBB0_7:
	s_nop 0
	s_sendmsg sendmsg(MSG_DEALLOC_VGPRS)
	s_endpgm
	.section	.rodata,"a",@progbits
	.p2align	6, 0x0
	.amdhsa_kernel _ZL28rocblas_dot_batched_4_kernelIiLi32ELi4ELb0EDF16_DF16_PKDF16_EviT5_lT_lS2_lS3_liPT4_
		.amdhsa_group_segment_fixed_size 0
		.amdhsa_private_segment_fixed_size 0
		.amdhsa_kernarg_size 88
		.amdhsa_user_sgpr_count 15
		.amdhsa_user_sgpr_dispatch_ptr 0
		.amdhsa_user_sgpr_queue_ptr 0
		.amdhsa_user_sgpr_kernarg_segment_ptr 1
		.amdhsa_user_sgpr_dispatch_id 0
		.amdhsa_user_sgpr_private_segment_size 0
		.amdhsa_wavefront_size32 1
		.amdhsa_uses_dynamic_stack 0
		.amdhsa_enable_private_segment 0
		.amdhsa_system_sgpr_workgroup_id_x 1
		.amdhsa_system_sgpr_workgroup_id_y 0
		.amdhsa_system_sgpr_workgroup_id_z 0
		.amdhsa_system_sgpr_workgroup_info 0
		.amdhsa_system_vgpr_workitem_id 1
		.amdhsa_next_free_vgpr 14
		.amdhsa_next_free_sgpr 20
		.amdhsa_reserve_vcc 1
		.amdhsa_float_round_mode_32 0
		.amdhsa_float_round_mode_16_64 0
		.amdhsa_float_denorm_mode_32 3
		.amdhsa_float_denorm_mode_16_64 3
		.amdhsa_dx10_clamp 1
		.amdhsa_ieee_mode 1
		.amdhsa_fp16_overflow 0
		.amdhsa_workgroup_processor_mode 1
		.amdhsa_memory_ordered 1
		.amdhsa_forward_progress 0
		.amdhsa_shared_vgpr_count 0
		.amdhsa_exception_fp_ieee_invalid_op 0
		.amdhsa_exception_fp_denorm_src 0
		.amdhsa_exception_fp_ieee_div_zero 0
		.amdhsa_exception_fp_ieee_overflow 0
		.amdhsa_exception_fp_ieee_underflow 0
		.amdhsa_exception_fp_ieee_inexact 0
		.amdhsa_exception_int_div_zero 0
	.end_amdhsa_kernel
	.section	.text._ZL28rocblas_dot_batched_4_kernelIiLi32ELi4ELb0EDF16_DF16_PKDF16_EviT5_lT_lS2_lS3_liPT4_,"axG",@progbits,_ZL28rocblas_dot_batched_4_kernelIiLi32ELi4ELb0EDF16_DF16_PKDF16_EviT5_lT_lS2_lS3_liPT4_,comdat
.Lfunc_end0:
	.size	_ZL28rocblas_dot_batched_4_kernelIiLi32ELi4ELb0EDF16_DF16_PKDF16_EviT5_lT_lS2_lS3_liPT4_, .Lfunc_end0-_ZL28rocblas_dot_batched_4_kernelIiLi32ELi4ELb0EDF16_DF16_PKDF16_EviT5_lT_lS2_lS3_liPT4_
                                        ; -- End function
	.section	.AMDGPU.csdata,"",@progbits
; Kernel info:
; codeLenInByte = 848
; NumSgprs: 22
; NumVgprs: 14
; ScratchSize: 0
; MemoryBound: 0
; FloatMode: 240
; IeeeMode: 1
; LDSByteSize: 0 bytes/workgroup (compile time only)
; SGPRBlocks: 2
; VGPRBlocks: 1
; NumSGPRsForWavesPerEU: 22
; NumVGPRsForWavesPerEU: 14
; Occupancy: 16
; WaveLimiterHint : 0
; COMPUTE_PGM_RSRC2:SCRATCH_EN: 0
; COMPUTE_PGM_RSRC2:USER_SGPR: 15
; COMPUTE_PGM_RSRC2:TRAP_HANDLER: 0
; COMPUTE_PGM_RSRC2:TGID_X_EN: 1
; COMPUTE_PGM_RSRC2:TGID_Y_EN: 0
; COMPUTE_PGM_RSRC2:TGID_Z_EN: 0
; COMPUTE_PGM_RSRC2:TIDIG_COMP_CNT: 1
	.section	.text._ZL28rocblas_dot_batched_4_kernelIiLi64ELi4ELb0EDF16_DF16_PKDF16_EviT5_lT_lS2_lS3_liPT4_,"axG",@progbits,_ZL28rocblas_dot_batched_4_kernelIiLi64ELi4ELb0EDF16_DF16_PKDF16_EviT5_lT_lS2_lS3_liPT4_,comdat
	.globl	_ZL28rocblas_dot_batched_4_kernelIiLi64ELi4ELb0EDF16_DF16_PKDF16_EviT5_lT_lS2_lS3_liPT4_ ; -- Begin function _ZL28rocblas_dot_batched_4_kernelIiLi64ELi4ELb0EDF16_DF16_PKDF16_EviT5_lT_lS2_lS3_liPT4_
	.p2align	8
	.type	_ZL28rocblas_dot_batched_4_kernelIiLi64ELi4ELb0EDF16_DF16_PKDF16_EviT5_lT_lS2_lS3_liPT4_,@function
_ZL28rocblas_dot_batched_4_kernelIiLi64ELi4ELb0EDF16_DF16_PKDF16_EviT5_lT_lS2_lS3_liPT4_: ; @_ZL28rocblas_dot_batched_4_kernelIiLi64ELi4ELb0EDF16_DF16_PKDF16_EviT5_lT_lS2_lS3_liPT4_
; %bb.0:
	s_load_b32 s2, s[0:1], 0x48
	v_bfe_u32 v1, v0, 10, 10
	s_delay_alu instid0(VALU_DEP_1) | instskip(SKIP_1) | instid1(VALU_DEP_1)
	v_lshl_add_u32 v1, s15, 2, v1
	s_waitcnt lgkmcnt(0)
	v_cmp_gt_u32_e32 vcc_lo, s2, v1
	s_and_saveexec_b32 s2, vcc_lo
	s_cbranch_execz .LBB1_7
; %bb.1:
	s_clause 0x1
	s_load_b32 s12, s[0:1], 0x0
	s_load_b64 s[2:3], s[0:1], 0x50
	v_mov_b32_e32 v2, 0
	v_and_b32_e32 v0, 0x3ff, v0
	s_mov_b32 s13, exec_lo
	s_delay_alu instid0(VALU_DEP_2) | instskip(SKIP_1) | instid1(VALU_DEP_2)
	v_mov_b32_e32 v7, v2
	s_waitcnt lgkmcnt(0)
	v_cmpx_gt_i32_e64 s12, v0
	s_cbranch_execz .LBB1_5
; %bb.2:
	s_clause 0x5
	s_load_b128 s[4:7], s[0:1], 0x20
	s_load_b64 s[14:15], s[0:1], 0x40
	s_load_b32 s16, s[0:1], 0x18
	s_load_b32 s18, s[0:1], 0x38
	s_load_b128 s[8:11], s[0:1], 0x8
	s_load_b64 s[0:1], s[0:1], 0x30
	s_waitcnt lgkmcnt(0)
	v_mad_u64_u32 v[3:4], null, s4, v1, 0
	v_mad_u64_u32 v[5:6], null, s14, v1, 0
	v_mad_i64_i32 v[8:9], null, s16, v0, 0
	s_ashr_i32 s17, s16, 31
	s_ashr_i32 s19, s18, 31
	s_delay_alu instid0(VALU_DEP_2) | instskip(SKIP_1) | instid1(VALU_DEP_3)
	v_mad_u64_u32 v[10:11], null, s5, v1, v[4:5]
	v_mov_b32_e32 v7, 0
	v_lshlrev_b64 v[8:9], 1, v[8:9]
	s_lshl_b64 s[4:5], s[10:11], 1
	s_delay_alu instid0(SALU_CYCLE_1) | instskip(SKIP_1) | instid1(VALU_DEP_3)
	s_add_u32 s8, s8, s4
	s_addc_u32 s9, s9, s5
	v_mov_b32_e32 v4, v10
	v_mad_u64_u32 v[11:12], null, s15, v1, v[6:7]
	v_mad_i64_i32 v[12:13], null, s18, v0, 0
	s_delay_alu instid0(VALU_DEP_3) | instskip(SKIP_3) | instid1(VALU_DEP_3)
	v_lshlrev_b64 v[3:4], 1, v[3:4]
	s_lshl_b64 s[0:1], s[0:1], 1
	s_lshl_b64 s[4:5], s[16:17], 7
	s_add_u32 s0, s6, s0
	v_mov_b32_e32 v6, v11
	s_addc_u32 s1, s7, s1
	s_delay_alu instid0(VALU_DEP_3) | instskip(SKIP_1) | instid1(VALU_DEP_3)
	v_lshlrev_b64 v[10:11], 1, v[12:13]
	v_add_co_u32 v3, vcc_lo, v8, v3
	v_lshlrev_b64 v[5:6], 1, v[5:6]
	v_add_co_ci_u32_e32 v4, vcc_lo, v9, v4, vcc_lo
	v_mov_b32_e32 v8, v0
	s_lshl_b64 s[6:7], s[18:19], 7
	s_delay_alu instid0(VALU_DEP_3) | instskip(NEXT) | instid1(VALU_DEP_4)
	v_add_co_u32 v5, vcc_lo, v10, v5
	v_add_co_ci_u32_e32 v6, vcc_lo, v11, v6, vcc_lo
	v_add_co_u32 v3, vcc_lo, s8, v3
	v_add_co_ci_u32_e32 v4, vcc_lo, s9, v4, vcc_lo
	s_delay_alu instid0(VALU_DEP_4) | instskip(NEXT) | instid1(VALU_DEP_4)
	v_add_co_u32 v5, vcc_lo, s0, v5
	v_add_co_ci_u32_e32 v6, vcc_lo, s1, v6, vcc_lo
	s_mov_b32 s1, 0
	.p2align	6
.LBB1_3:                                ; =>This Inner Loop Header: Depth=1
	global_load_u16 v9, v[3:4], off
	global_load_u16 v10, v[5:6], off
	v_add_nc_u32_e32 v8, 64, v8
	v_add_co_u32 v3, vcc_lo, v3, s4
	v_add_co_ci_u32_e32 v4, vcc_lo, s5, v4, vcc_lo
	v_add_co_u32 v5, vcc_lo, v5, s6
	s_delay_alu instid0(VALU_DEP_4) | instskip(SKIP_1) | instid1(VALU_DEP_2)
	v_cmp_le_i32_e64 s0, s12, v8
	v_add_co_ci_u32_e32 v6, vcc_lo, s7, v6, vcc_lo
	s_or_b32 s1, s0, s1
	s_waitcnt vmcnt(0)
	v_fmac_f16_e32 v7, v9, v10
	s_and_not1_b32 exec_lo, exec_lo, s1
	s_cbranch_execnz .LBB1_3
; %bb.4:
	s_or_b32 exec_lo, exec_lo, s1
.LBB1_5:
	s_delay_alu instid0(SALU_CYCLE_1)
	s_or_b32 exec_lo, exec_lo, s13
	v_mbcnt_lo_u32_b32 v4, -1, 0
	v_and_b32_e32 v3, 0xffff, v7
	s_barrier
	buffer_gl0_inv
	v_lshlrev_b32_e32 v5, 2, v4
	v_cmp_gt_u32_e32 vcc_lo, 16, v4
	ds_bpermute_b32 v3, v5, v3
	v_cndmask_b32_e64 v5, 0, 1, vcc_lo
	v_cmp_gt_u32_e32 vcc_lo, 24, v4
	s_delay_alu instid0(VALU_DEP_2) | instskip(NEXT) | instid1(VALU_DEP_1)
	v_lshlrev_b32_e32 v5, 4, v5
	v_add_lshl_u32 v5, v5, v4, 2
	s_waitcnt lgkmcnt(0)
	v_add_f16_e32 v6, v7, v3
	s_delay_alu instid0(VALU_DEP_1) | instskip(NEXT) | instid1(VALU_DEP_1)
	v_and_b32_e32 v7, 0xffff, v6
	v_and_or_b32 v3, 0xffff0000, v3, v7
	ds_bpermute_b32 v3, v5, v3
	v_cndmask_b32_e64 v5, 0, 1, vcc_lo
	v_cmp_gt_u32_e32 vcc_lo, 28, v4
	s_delay_alu instid0(VALU_DEP_2) | instskip(NEXT) | instid1(VALU_DEP_1)
	v_lshlrev_b32_e32 v5, 3, v5
	v_add_lshl_u32 v5, v5, v4, 2
	s_waitcnt lgkmcnt(0)
	v_add_f16_e32 v6, v6, v3
	s_delay_alu instid0(VALU_DEP_1) | instskip(NEXT) | instid1(VALU_DEP_1)
	v_and_b32_e32 v7, 0xffff, v6
	v_and_or_b32 v3, 0xffff0000, v3, v7
	;; [unrolled: 11-line block ×3, first 2 shown]
	ds_bpermute_b32 v3, v5, v3
	v_cndmask_b32_e64 v5, 0, 1, vcc_lo
	v_cmp_ne_u32_e32 vcc_lo, 31, v4
	s_delay_alu instid0(VALU_DEP_2) | instskip(NEXT) | instid1(VALU_DEP_1)
	v_lshlrev_b32_e32 v5, 1, v5
	v_add_lshl_u32 v5, v5, v4, 2
	v_add_co_ci_u32_e32 v4, vcc_lo, 0, v4, vcc_lo
	v_cmp_eq_u32_e32 vcc_lo, 0, v0
	s_delay_alu instid0(VALU_DEP_2) | instskip(SKIP_2) | instid1(VALU_DEP_1)
	v_lshlrev_b32_e32 v4, 2, v4
	s_waitcnt lgkmcnt(0)
	v_add_f16_e32 v6, v6, v3
	v_and_b32_e32 v7, 0xffff, v6
	s_delay_alu instid0(VALU_DEP_1) | instskip(SKIP_3) | instid1(VALU_DEP_1)
	v_and_or_b32 v3, 0xffff0000, v3, v7
	ds_bpermute_b32 v5, v5, v3
	s_waitcnt lgkmcnt(0)
	v_add_f16_e32 v3, v6, v5
	v_and_b32_e32 v6, 0xffff, v3
	s_delay_alu instid0(VALU_DEP_1)
	v_and_or_b32 v5, 0xffff0000, v5, v6
	ds_bpermute_b32 v4, v4, v5
	s_and_b32 exec_lo, exec_lo, vcc_lo
	s_cbranch_execz .LBB1_7
; %bb.6:
	v_lshlrev_b64 v[0:1], 1, v[1:2]
	s_waitcnt lgkmcnt(0)
	v_add_f16_e32 v2, v3, v4
	s_delay_alu instid0(VALU_DEP_2) | instskip(NEXT) | instid1(VALU_DEP_3)
	v_add_co_u32 v0, vcc_lo, s2, v0
	v_add_co_ci_u32_e32 v1, vcc_lo, s3, v1, vcc_lo
	global_store_b16 v[0:1], v2, off
.LBB1_7:
	s_nop 0
	s_sendmsg sendmsg(MSG_DEALLOC_VGPRS)
	s_endpgm
	.section	.rodata,"a",@progbits
	.p2align	6, 0x0
	.amdhsa_kernel _ZL28rocblas_dot_batched_4_kernelIiLi64ELi4ELb0EDF16_DF16_PKDF16_EviT5_lT_lS2_lS3_liPT4_
		.amdhsa_group_segment_fixed_size 0
		.amdhsa_private_segment_fixed_size 0
		.amdhsa_kernarg_size 88
		.amdhsa_user_sgpr_count 15
		.amdhsa_user_sgpr_dispatch_ptr 0
		.amdhsa_user_sgpr_queue_ptr 0
		.amdhsa_user_sgpr_kernarg_segment_ptr 1
		.amdhsa_user_sgpr_dispatch_id 0
		.amdhsa_user_sgpr_private_segment_size 0
		.amdhsa_wavefront_size32 1
		.amdhsa_uses_dynamic_stack 0
		.amdhsa_enable_private_segment 0
		.amdhsa_system_sgpr_workgroup_id_x 1
		.amdhsa_system_sgpr_workgroup_id_y 0
		.amdhsa_system_sgpr_workgroup_id_z 0
		.amdhsa_system_sgpr_workgroup_info 0
		.amdhsa_system_vgpr_workitem_id 1
		.amdhsa_next_free_vgpr 14
		.amdhsa_next_free_sgpr 20
		.amdhsa_reserve_vcc 1
		.amdhsa_float_round_mode_32 0
		.amdhsa_float_round_mode_16_64 0
		.amdhsa_float_denorm_mode_32 3
		.amdhsa_float_denorm_mode_16_64 3
		.amdhsa_dx10_clamp 1
		.amdhsa_ieee_mode 1
		.amdhsa_fp16_overflow 0
		.amdhsa_workgroup_processor_mode 1
		.amdhsa_memory_ordered 1
		.amdhsa_forward_progress 0
		.amdhsa_shared_vgpr_count 0
		.amdhsa_exception_fp_ieee_invalid_op 0
		.amdhsa_exception_fp_denorm_src 0
		.amdhsa_exception_fp_ieee_div_zero 0
		.amdhsa_exception_fp_ieee_overflow 0
		.amdhsa_exception_fp_ieee_underflow 0
		.amdhsa_exception_fp_ieee_inexact 0
		.amdhsa_exception_int_div_zero 0
	.end_amdhsa_kernel
	.section	.text._ZL28rocblas_dot_batched_4_kernelIiLi64ELi4ELb0EDF16_DF16_PKDF16_EviT5_lT_lS2_lS3_liPT4_,"axG",@progbits,_ZL28rocblas_dot_batched_4_kernelIiLi64ELi4ELb0EDF16_DF16_PKDF16_EviT5_lT_lS2_lS3_liPT4_,comdat
.Lfunc_end1:
	.size	_ZL28rocblas_dot_batched_4_kernelIiLi64ELi4ELb0EDF16_DF16_PKDF16_EviT5_lT_lS2_lS3_liPT4_, .Lfunc_end1-_ZL28rocblas_dot_batched_4_kernelIiLi64ELi4ELb0EDF16_DF16_PKDF16_EviT5_lT_lS2_lS3_liPT4_
                                        ; -- End function
	.section	.AMDGPU.csdata,"",@progbits
; Kernel info:
; codeLenInByte = 892
; NumSgprs: 22
; NumVgprs: 14
; ScratchSize: 0
; MemoryBound: 0
; FloatMode: 240
; IeeeMode: 1
; LDSByteSize: 0 bytes/workgroup (compile time only)
; SGPRBlocks: 2
; VGPRBlocks: 1
; NumSGPRsForWavesPerEU: 22
; NumVGPRsForWavesPerEU: 14
; Occupancy: 16
; WaveLimiterHint : 0
; COMPUTE_PGM_RSRC2:SCRATCH_EN: 0
; COMPUTE_PGM_RSRC2:USER_SGPR: 15
; COMPUTE_PGM_RSRC2:TRAP_HANDLER: 0
; COMPUTE_PGM_RSRC2:TGID_X_EN: 1
; COMPUTE_PGM_RSRC2:TGID_Y_EN: 0
; COMPUTE_PGM_RSRC2:TGID_Z_EN: 0
; COMPUTE_PGM_RSRC2:TIDIG_COMP_CNT: 1
	.section	.text._ZL26rocblas_dot_kernel_inc1by2ILb1ELi1024ELi32ELb0EDF16_PKDF16_DF16_EviT4_llS2_lliPT5_PT3_,"axG",@progbits,_ZL26rocblas_dot_kernel_inc1by2ILb1ELi1024ELi32ELb0EDF16_PKDF16_DF16_EviT4_llS2_lliPT5_PT3_,comdat
	.globl	_ZL26rocblas_dot_kernel_inc1by2ILb1ELi1024ELi32ELb0EDF16_PKDF16_DF16_EviT4_llS2_lliPT5_PT3_ ; -- Begin function _ZL26rocblas_dot_kernel_inc1by2ILb1ELi1024ELi32ELb0EDF16_PKDF16_DF16_EviT4_llS2_lliPT5_PT3_
	.p2align	8
	.type	_ZL26rocblas_dot_kernel_inc1by2ILb1ELi1024ELi32ELb0EDF16_PKDF16_DF16_EviT4_llS2_lliPT5_PT3_,@function
_ZL26rocblas_dot_kernel_inc1by2ILb1ELi1024ELi32ELb0EDF16_PKDF16_DF16_EviT4_llS2_lliPT5_PT3_: ; @_ZL26rocblas_dot_kernel_inc1by2ILb1ELi1024ELi32ELb0EDF16_PKDF16_DF16_EviT4_llS2_lliPT5_PT3_
; %bb.0:
	s_mov_b32 s2, s15
	s_clause 0x5
	s_load_b128 s[8:11], s[0:1], 0x10
	s_load_b128 s[4:7], s[0:1], 0x28
	s_load_b32 s17, s[0:1], 0x0
	s_load_b64 s[12:13], s[0:1], 0x48
	s_load_b64 s[14:15], s[0:1], 0x8
	;; [unrolled: 1-line block ×3, first 2 shown]
	v_dual_mov_b32 v5, 0 :: v_dual_lshlrev_b32 v6, 1, v0
	s_mov_b32 s3, 0
	s_waitcnt lgkmcnt(0)
	s_mul_i32 s11, s2, s11
	s_mul_hi_u32 s18, s2, s10
	s_mul_i32 s7, s2, s7
	s_mul_hi_u32 s19, s2, s6
	s_add_i32 s16, s17, -1
	s_add_i32 s11, s18, s11
	s_mul_i32 s10, s2, s10
	s_add_i32 s7, s19, s7
	s_mul_i32 s6, s2, s6
	s_mov_b32 s18, exec_lo
	v_cmpx_gt_i32_e64 s16, v6
	s_cbranch_execz .LBB2_4
; %bb.1:
	s_lshl_b64 s[22:23], s[4:5], 1
	s_lshl_b64 s[20:21], s[6:7], 1
	v_lshlrev_b32_e32 v3, 2, v0
	s_add_u32 s19, s0, s22
	s_addc_u32 s22, s1, s23
	s_add_u32 s19, s19, s20
	s_addc_u32 s20, s22, s21
	v_add_co_u32 v1, s19, s19, v3
	s_delay_alu instid0(VALU_DEP_1)
	v_add_co_ci_u32_e64 v2, null, s20, 0, s19
	s_lshl_b64 s[20:21], s[8:9], 1
	s_lshl_b64 s[22:23], s[10:11], 1
	s_add_u32 s19, s14, s20
	s_addc_u32 s20, s15, s21
	s_add_u32 s19, s19, s22
	s_addc_u32 s20, s20, s23
	v_add_co_u32 v3, s19, s19, v3
	v_mov_b32_e32 v5, 0
	v_add_co_ci_u32_e64 v4, null, s20, 0, s19
	s_mov_b32 s19, s3
	s_mov_b32 s20, s3
	.p2align	6
.LBB2_2:                                ; =>This Inner Loop Header: Depth=1
	global_load_b32 v7, v[1:2], off
	global_load_b32 v8, v[3:4], off
	v_add_co_u32 v1, vcc_lo, 0x1000, v1
	v_add_nc_u32_e32 v6, 0x800, v6
	v_add_co_ci_u32_e32 v2, vcc_lo, 0, v2, vcc_lo
	v_add_co_u32 v3, vcc_lo, 0x1000, v3
	v_add_co_ci_u32_e32 v4, vcc_lo, 0, v4, vcc_lo
	s_add_i32 s21, s20, 1
	v_cmp_le_i32_e32 vcc_lo, s16, v6
	s_cmp_gt_u32 s20, 30
	s_cselect_b32 s20, -1, 0
	s_delay_alu instid0(SALU_CYCLE_1) | instskip(NEXT) | instid1(SALU_CYCLE_1)
	s_or_b32 s20, s20, vcc_lo
	s_and_b32 s20, exec_lo, s20
	s_delay_alu instid0(SALU_CYCLE_1) | instskip(SKIP_3) | instid1(VALU_DEP_1)
	s_or_b32 s19, s20, s19
	s_mov_b32 s20, s21
	s_waitcnt vmcnt(0)
	v_pk_mul_f16 v7, v7, v8
	v_add_f16_e32 v5, v5, v7
	v_lshrrev_b32_e32 v7, 16, v7
	s_delay_alu instid0(VALU_DEP_1)
	v_add_f16_e32 v5, v5, v7
	s_and_not1_b32 exec_lo, exec_lo, s19
	s_cbranch_execnz .LBB2_2
; %bb.3:
	s_or_b32 exec_lo, exec_lo, s19
.LBB2_4:
	s_delay_alu instid0(SALU_CYCLE_1) | instskip(SKIP_3) | instid1(SALU_CYCLE_1)
	s_or_b32 exec_lo, exec_lo, s18
	v_cmp_eq_u32_e32 vcc_lo, s16, v6
	s_bitcmp1_b32 s17, 0
	s_cselect_b32 s17, -1, 0
	s_and_b32 s17, s17, vcc_lo
	s_delay_alu instid0(SALU_CYCLE_1)
	s_and_saveexec_b32 s18, s17
	s_cbranch_execz .LBB2_6
; %bb.5:
	s_lshl_b64 s[10:11], s[10:11], 1
	s_mov_b32 s17, 0
	s_add_u32 s10, s14, s10
	s_addc_u32 s11, s15, s11
	s_lshl_b64 s[8:9], s[8:9], 1
	v_mov_b32_e32 v1, 0
	s_add_u32 s8, s10, s8
	s_addc_u32 s9, s11, s9
	s_lshl_b64 s[6:7], s[6:7], 1
	s_delay_alu instid0(SALU_CYCLE_1) | instskip(SKIP_2) | instid1(SALU_CYCLE_1)
	s_add_u32 s6, s0, s6
	s_addc_u32 s7, s1, s7
	s_lshl_b64 s[0:1], s[4:5], 1
	s_add_u32 s6, s6, s0
	s_addc_u32 s7, s7, s1
	s_lshl_b64 s[0:1], s[16:17], 1
	s_delay_alu instid0(SALU_CYCLE_1)
	s_add_u32 s4, s8, s0
	s_addc_u32 s5, s9, s1
	s_add_u32 s0, s6, s0
	s_addc_u32 s1, s7, s1
	s_clause 0x1
	global_load_u16 v2, v1, s[0:1]
	global_load_u16 v1, v1, s[4:5]
	s_waitcnt vmcnt(0)
	v_fmac_f16_e32 v5, v2, v1
.LBB2_6:
	s_or_b32 exec_lo, exec_lo, s18
	v_and_b32_e32 v6, 31, v0
	v_cmp_gt_u32_e32 vcc_lo, 32, v0
	s_delay_alu instid0(VALU_DEP_2)
	v_lshlrev_b32_e32 v1, 1, v6
	s_and_saveexec_b32 s0, vcc_lo
	s_cbranch_execz .LBB2_8
; %bb.7:
	v_mov_b32_e32 v2, 0
	ds_store_b16 v1, v2
.LBB2_8:
	s_or_b32 exec_lo, exec_lo, s0
	v_mbcnt_lo_u32_b32 v7, -1, 0
	v_and_b32_e32 v3, 0xffff, v5
	s_mov_b32 s1, exec_lo
	s_waitcnt lgkmcnt(0)
	s_barrier
	v_cmp_gt_u32_e64 s0, 16, v7
	buffer_gl0_inv
	v_cndmask_b32_e64 v2, 0, 1, s0
	v_cmp_gt_u32_e64 s0, 24, v7
	s_delay_alu instid0(VALU_DEP_2) | instskip(NEXT) | instid1(VALU_DEP_1)
	v_lshlrev_b32_e32 v2, 4, v2
	v_add_lshl_u32 v2, v2, v7, 2
	ds_bpermute_b32 v4, v2, v3
	v_cndmask_b32_e64 v3, 0, 1, s0
	v_cmp_gt_u32_e64 s0, 28, v7
	s_delay_alu instid0(VALU_DEP_2) | instskip(NEXT) | instid1(VALU_DEP_1)
	v_lshlrev_b32_e32 v3, 3, v3
	v_add_lshl_u32 v3, v3, v7, 2
	s_waitcnt lgkmcnt(0)
	v_add_f16_e32 v5, v5, v4
	s_delay_alu instid0(VALU_DEP_1) | instskip(NEXT) | instid1(VALU_DEP_1)
	v_and_b32_e32 v8, 0xffff, v5
	v_and_or_b32 v4, 0xffff0000, v4, v8
	ds_bpermute_b32 v8, v3, v4
	v_cndmask_b32_e64 v4, 0, 1, s0
	v_cmp_gt_u32_e64 s0, 30, v7
	s_delay_alu instid0(VALU_DEP_2) | instskip(NEXT) | instid1(VALU_DEP_1)
	v_lshlrev_b32_e32 v4, 2, v4
	v_add_lshl_u32 v4, v4, v7, 2
	s_waitcnt lgkmcnt(0)
	v_add_f16_e32 v5, v5, v8
	s_delay_alu instid0(VALU_DEP_1) | instskip(NEXT) | instid1(VALU_DEP_1)
	v_and_b32_e32 v9, 0xffff, v5
	v_and_or_b32 v8, 0xffff0000, v8, v9
	v_cndmask_b32_e64 v9, 0, 1, s0
	v_cmp_ne_u32_e64 s0, 31, v7
	ds_bpermute_b32 v8, v4, v8
	s_waitcnt lgkmcnt(0)
	v_add_f16_e32 v10, v5, v8
	v_lshlrev_b32_e32 v5, 1, v9
	s_delay_alu instid0(VALU_DEP_2) | instskip(NEXT) | instid1(VALU_DEP_2)
	v_and_b32_e32 v9, 0xffff, v10
	v_add_lshl_u32 v5, v5, v7, 2
	v_add_co_ci_u32_e64 v7, s0, 0, v7, s0
	s_delay_alu instid0(VALU_DEP_3) | instskip(NEXT) | instid1(VALU_DEP_2)
	v_and_or_b32 v8, 0xffff0000, v8, v9
	v_lshlrev_b32_e32 v7, 2, v7
	ds_bpermute_b32 v9, v5, v8
	s_waitcnt lgkmcnt(0)
	v_add_f16_e32 v8, v10, v9
	s_delay_alu instid0(VALU_DEP_1) | instskip(NEXT) | instid1(VALU_DEP_1)
	v_and_b32_e32 v10, 0xffff, v8
	v_and_or_b32 v9, 0xffff0000, v9, v10
	ds_bpermute_b32 v9, v7, v9
	v_cmpx_eq_u32_e32 0, v6
	s_cbranch_execz .LBB2_10
; %bb.9:
	v_lshrrev_b32_e32 v6, 4, v0
	s_waitcnt lgkmcnt(0)
	v_add_f16_e32 v8, v8, v9
	s_delay_alu instid0(VALU_DEP_2)
	v_and_b32_e32 v6, 62, v6
	ds_store_b16 v6, v8
.LBB2_10:
	s_or_b32 exec_lo, exec_lo, s1
	v_mov_b32_e32 v6, 0
	s_waitcnt lgkmcnt(0)
	s_barrier
	buffer_gl0_inv
	s_and_saveexec_b32 s0, vcc_lo
	s_cbranch_execz .LBB2_12
; %bb.11:
	ds_load_u16 v6, v1
.LBB2_12:
	s_or_b32 exec_lo, exec_lo, s0
	s_and_saveexec_b32 s0, vcc_lo
	s_cbranch_execz .LBB2_14
; %bb.13:
	s_waitcnt lgkmcnt(0)
	v_and_b32_e32 v1, 0xffff, v6
	ds_bpermute_b32 v1, v2, v1
	s_waitcnt lgkmcnt(0)
	v_add_f16_e32 v2, v6, v1
	s_delay_alu instid0(VALU_DEP_1) | instskip(NEXT) | instid1(VALU_DEP_1)
	v_and_b32_e32 v6, 0xffff, v2
	v_and_or_b32 v1, 0xffff0000, v1, v6
	ds_bpermute_b32 v1, v3, v1
	s_waitcnt lgkmcnt(0)
	v_add_f16_e32 v2, v2, v1
	s_delay_alu instid0(VALU_DEP_1) | instskip(NEXT) | instid1(VALU_DEP_1)
	v_and_b32_e32 v3, 0xffff, v2
	v_and_or_b32 v1, 0xffff0000, v1, v3
	;; [unrolled: 6-line block ×4, first 2 shown]
	ds_bpermute_b32 v1, v7, v1
	s_waitcnt lgkmcnt(0)
	v_add_f16_e32 v6, v2, v1
.LBB2_14:
	s_or_b32 exec_lo, exec_lo, s0
	s_delay_alu instid0(SALU_CYCLE_1)
	s_mov_b32 s0, exec_lo
	v_cmpx_eq_u32_e32 0, v0
	s_cbranch_execz .LBB2_16
; %bb.15:
	s_lshl_b64 s[0:1], s[2:3], 1
	v_mov_b32_e32 v0, 0
	s_add_u32 s0, s12, s0
	s_addc_u32 s1, s13, s1
	s_waitcnt lgkmcnt(0)
	global_store_b16 v0, v6, s[0:1]
.LBB2_16:
	s_nop 0
	s_sendmsg sendmsg(MSG_DEALLOC_VGPRS)
	s_endpgm
	.section	.rodata,"a",@progbits
	.p2align	6, 0x0
	.amdhsa_kernel _ZL26rocblas_dot_kernel_inc1by2ILb1ELi1024ELi32ELb0EDF16_PKDF16_DF16_EviT4_llS2_lliPT5_PT3_
		.amdhsa_group_segment_fixed_size 64
		.amdhsa_private_segment_fixed_size 0
		.amdhsa_kernarg_size 80
		.amdhsa_user_sgpr_count 14
		.amdhsa_user_sgpr_dispatch_ptr 0
		.amdhsa_user_sgpr_queue_ptr 0
		.amdhsa_user_sgpr_kernarg_segment_ptr 1
		.amdhsa_user_sgpr_dispatch_id 0
		.amdhsa_user_sgpr_private_segment_size 0
		.amdhsa_wavefront_size32 1
		.amdhsa_uses_dynamic_stack 0
		.amdhsa_enable_private_segment 0
		.amdhsa_system_sgpr_workgroup_id_x 1
		.amdhsa_system_sgpr_workgroup_id_y 0
		.amdhsa_system_sgpr_workgroup_id_z 1
		.amdhsa_system_sgpr_workgroup_info 0
		.amdhsa_system_vgpr_workitem_id 0
		.amdhsa_next_free_vgpr 11
		.amdhsa_next_free_sgpr 24
		.amdhsa_reserve_vcc 1
		.amdhsa_float_round_mode_32 0
		.amdhsa_float_round_mode_16_64 0
		.amdhsa_float_denorm_mode_32 3
		.amdhsa_float_denorm_mode_16_64 3
		.amdhsa_dx10_clamp 1
		.amdhsa_ieee_mode 1
		.amdhsa_fp16_overflow 0
		.amdhsa_workgroup_processor_mode 1
		.amdhsa_memory_ordered 1
		.amdhsa_forward_progress 0
		.amdhsa_shared_vgpr_count 0
		.amdhsa_exception_fp_ieee_invalid_op 0
		.amdhsa_exception_fp_denorm_src 0
		.amdhsa_exception_fp_ieee_div_zero 0
		.amdhsa_exception_fp_ieee_overflow 0
		.amdhsa_exception_fp_ieee_underflow 0
		.amdhsa_exception_fp_ieee_inexact 0
		.amdhsa_exception_int_div_zero 0
	.end_amdhsa_kernel
	.section	.text._ZL26rocblas_dot_kernel_inc1by2ILb1ELi1024ELi32ELb0EDF16_PKDF16_DF16_EviT4_llS2_lliPT5_PT3_,"axG",@progbits,_ZL26rocblas_dot_kernel_inc1by2ILb1ELi1024ELi32ELb0EDF16_PKDF16_DF16_EviT4_llS2_lliPT5_PT3_,comdat
.Lfunc_end2:
	.size	_ZL26rocblas_dot_kernel_inc1by2ILb1ELi1024ELi32ELb0EDF16_PKDF16_DF16_EviT4_llS2_lliPT5_PT3_, .Lfunc_end2-_ZL26rocblas_dot_kernel_inc1by2ILb1ELi1024ELi32ELb0EDF16_PKDF16_DF16_EviT4_llS2_lliPT5_PT3_
                                        ; -- End function
	.section	.AMDGPU.csdata,"",@progbits
; Kernel info:
; codeLenInByte = 1240
; NumSgprs: 26
; NumVgprs: 11
; ScratchSize: 0
; MemoryBound: 0
; FloatMode: 240
; IeeeMode: 1
; LDSByteSize: 64 bytes/workgroup (compile time only)
; SGPRBlocks: 3
; VGPRBlocks: 1
; NumSGPRsForWavesPerEU: 26
; NumVGPRsForWavesPerEU: 11
; Occupancy: 16
; WaveLimiterHint : 0
; COMPUTE_PGM_RSRC2:SCRATCH_EN: 0
; COMPUTE_PGM_RSRC2:USER_SGPR: 14
; COMPUTE_PGM_RSRC2:TRAP_HANDLER: 0
; COMPUTE_PGM_RSRC2:TGID_X_EN: 1
; COMPUTE_PGM_RSRC2:TGID_Y_EN: 0
; COMPUTE_PGM_RSRC2:TGID_Z_EN: 1
; COMPUTE_PGM_RSRC2:TIDIG_COMP_CNT: 0
	.section	.text._ZL18rocblas_dot_kernelIiLb1ELi1024ELi32ELb0EDF16_PKDF16_DF16_EviT5_lT_lS2_lS3_liPT6_PT4_,"axG",@progbits,_ZL18rocblas_dot_kernelIiLb1ELi1024ELi32ELb0EDF16_PKDF16_DF16_EviT5_lT_lS2_lS3_liPT6_PT4_,comdat
	.globl	_ZL18rocblas_dot_kernelIiLb1ELi1024ELi32ELb0EDF16_PKDF16_DF16_EviT5_lT_lS2_lS3_liPT6_PT4_ ; -- Begin function _ZL18rocblas_dot_kernelIiLb1ELi1024ELi32ELb0EDF16_PKDF16_DF16_EviT5_lT_lS2_lS3_liPT6_PT4_
	.p2align	8
	.type	_ZL18rocblas_dot_kernelIiLb1ELi1024ELi32ELb0EDF16_PKDF16_DF16_EviT5_lT_lS2_lS3_liPT6_PT4_,@function
_ZL18rocblas_dot_kernelIiLb1ELi1024ELi32ELb0EDF16_PKDF16_DF16_EviT5_lT_lS2_lS3_liPT6_PT4_: ; @_ZL18rocblas_dot_kernelIiLb1ELi1024ELi32ELb0EDF16_PKDF16_DF16_EviT5_lT_lS2_lS3_liPT6_PT4_
; %bb.0:
	s_clause 0x1
	s_load_b32 s10, s[0:1], 0x0
	s_load_b64 s[2:3], s[0:1], 0x58
	v_mov_b32_e32 v5, 0
	s_mov_b32 s8, s15
	s_mov_b32 s9, 0
	s_mov_b32 s11, exec_lo
	s_waitcnt lgkmcnt(0)
	v_cmpx_gt_i32_e64 s10, v0
	s_cbranch_execz .LBB3_4
; %bb.1:
	s_clause 0x6
	s_load_b32 s20, s[0:1], 0x60
	s_load_b128 s[4:7], s[0:1], 0x20
	s_load_b32 s22, s[0:1], 0x18
	s_load_b128 s[12:15], s[0:1], 0x8
	s_load_b64 s[16:17], s[0:1], 0x40
	s_load_b32 s23, s[0:1], 0x38
	s_load_b64 s[18:19], s[0:1], 0x30
	v_mov_b32_e32 v5, 0
	s_waitcnt lgkmcnt(0)
	s_lshl_b32 s1, s20, 10
	s_mul_i32 s0, s5, s8
	v_mad_i64_i32 v[1:2], null, s22, v0, 0
	s_mul_hi_u32 s5, s4, s8
	s_mul_i32 s4, s4, s8
	v_mad_i64_i32 v[3:4], null, s23, v0, 0
	s_add_i32 s5, s5, s0
	s_lshl_b64 s[14:15], s[14:15], 1
	s_delay_alu instid0(VALU_DEP_2)
	v_lshlrev_b64 v[1:2], 1, v[1:2]
	s_lshl_b64 s[4:5], s[4:5], 1
	s_add_u32 s0, s12, s14
	s_addc_u32 s12, s13, s15
	s_mul_i32 s17, s17, s8
	s_mul_hi_u32 s24, s16, s8
	s_add_u32 s0, s0, s4
	s_mul_i32 s16, s16, s8
	s_mul_hi_i32 s21, s22, s1
	s_mul_i32 s20, s22, s1
	s_addc_u32 s12, s12, s5
	s_add_i32 s17, s24, s17
	v_add_co_u32 v1, vcc_lo, s0, v1
	s_lshl_b64 s[14:15], s[18:19], 1
	v_lshlrev_b64 v[3:4], 1, v[3:4]
	s_lshl_b64 s[4:5], s[20:21], 1
	v_add_co_ci_u32_e32 v2, vcc_lo, s12, v2, vcc_lo
	s_lshl_b64 s[12:13], s[16:17], 1
	s_add_u32 s0, s6, s14
	s_addc_u32 s6, s7, s15
	s_add_u32 s0, s0, s12
	s_addc_u32 s6, s6, s13
	v_add_co_u32 v3, vcc_lo, s0, v3
	v_or_b32_e32 v6, s1, v0
	v_add_co_ci_u32_e32 v4, vcc_lo, s6, v4, vcc_lo
	s_mul_hi_i32 s7, s23, s1
	s_mul_i32 s6, s23, s1
	s_mov_b32 s12, s9
	s_lshl_b64 s[6:7], s[6:7], 1
	s_mov_b32 s13, s9
	.p2align	6
.LBB3_2:                                ; =>This Inner Loop Header: Depth=1
	global_load_u16 v7, v[3:4], off
	global_load_u16 v8, v[1:2], off
	v_add_co_u32 v1, s0, v1, s4
	s_delay_alu instid0(VALU_DEP_1)
	v_add_co_ci_u32_e64 v2, s0, s5, v2, s0
	s_add_i32 s14, s13, 1
	v_cmp_le_i32_e32 vcc_lo, s10, v6
	v_add_co_u32 v3, s0, v3, s6
	s_cmp_gt_u32 s13, 30
	v_add_co_ci_u32_e64 v4, s0, s7, v4, s0
	s_cselect_b32 s0, -1, 0
	v_add_nc_u32_e32 v6, s1, v6
	s_or_b32 s0, s0, vcc_lo
	s_mov_b32 s13, s14
	s_and_b32 s0, exec_lo, s0
	s_delay_alu instid0(SALU_CYCLE_1)
	s_or_b32 s12, s0, s12
	s_waitcnt vmcnt(0)
	v_fmac_f16_e32 v5, v7, v8
	s_and_not1_b32 exec_lo, exec_lo, s12
	s_cbranch_execnz .LBB3_2
; %bb.3:
	s_or_b32 exec_lo, exec_lo, s12
.LBB3_4:
	s_delay_alu instid0(SALU_CYCLE_1) | instskip(SKIP_2) | instid1(VALU_DEP_2)
	s_or_b32 exec_lo, exec_lo, s11
	v_and_b32_e32 v6, 31, v0
	v_cmp_gt_u32_e32 vcc_lo, 32, v0
	v_lshlrev_b32_e32 v1, 1, v6
	s_and_saveexec_b32 s0, vcc_lo
	s_cbranch_execz .LBB3_6
; %bb.5:
	v_mov_b32_e32 v2, 0
	ds_store_b16 v1, v2
.LBB3_6:
	s_or_b32 exec_lo, exec_lo, s0
	v_mbcnt_lo_u32_b32 v7, -1, 0
	v_and_b32_e32 v3, 0xffff, v5
	s_mov_b32 s1, exec_lo
	s_waitcnt lgkmcnt(0)
	s_barrier
	v_cmp_gt_u32_e64 s0, 16, v7
	buffer_gl0_inv
	v_cndmask_b32_e64 v2, 0, 1, s0
	v_cmp_gt_u32_e64 s0, 24, v7
	s_delay_alu instid0(VALU_DEP_2) | instskip(NEXT) | instid1(VALU_DEP_1)
	v_lshlrev_b32_e32 v2, 4, v2
	v_add_lshl_u32 v2, v2, v7, 2
	ds_bpermute_b32 v4, v2, v3
	v_cndmask_b32_e64 v3, 0, 1, s0
	v_cmp_gt_u32_e64 s0, 28, v7
	s_delay_alu instid0(VALU_DEP_2) | instskip(NEXT) | instid1(VALU_DEP_1)
	v_lshlrev_b32_e32 v3, 3, v3
	v_add_lshl_u32 v3, v3, v7, 2
	s_waitcnt lgkmcnt(0)
	v_add_f16_e32 v5, v5, v4
	s_delay_alu instid0(VALU_DEP_1) | instskip(NEXT) | instid1(VALU_DEP_1)
	v_and_b32_e32 v8, 0xffff, v5
	v_and_or_b32 v4, 0xffff0000, v4, v8
	ds_bpermute_b32 v8, v3, v4
	v_cndmask_b32_e64 v4, 0, 1, s0
	v_cmp_gt_u32_e64 s0, 30, v7
	s_delay_alu instid0(VALU_DEP_2) | instskip(NEXT) | instid1(VALU_DEP_1)
	v_lshlrev_b32_e32 v4, 2, v4
	v_add_lshl_u32 v4, v4, v7, 2
	s_waitcnt lgkmcnt(0)
	v_add_f16_e32 v5, v5, v8
	s_delay_alu instid0(VALU_DEP_1) | instskip(NEXT) | instid1(VALU_DEP_1)
	v_and_b32_e32 v9, 0xffff, v5
	v_and_or_b32 v8, 0xffff0000, v8, v9
	v_cndmask_b32_e64 v9, 0, 1, s0
	v_cmp_ne_u32_e64 s0, 31, v7
	ds_bpermute_b32 v8, v4, v8
	s_waitcnt lgkmcnt(0)
	v_add_f16_e32 v10, v5, v8
	v_lshlrev_b32_e32 v5, 1, v9
	s_delay_alu instid0(VALU_DEP_2) | instskip(NEXT) | instid1(VALU_DEP_2)
	v_and_b32_e32 v9, 0xffff, v10
	v_add_lshl_u32 v5, v5, v7, 2
	v_add_co_ci_u32_e64 v7, s0, 0, v7, s0
	s_delay_alu instid0(VALU_DEP_3) | instskip(NEXT) | instid1(VALU_DEP_2)
	v_and_or_b32 v8, 0xffff0000, v8, v9
	v_lshlrev_b32_e32 v7, 2, v7
	ds_bpermute_b32 v9, v5, v8
	s_waitcnt lgkmcnt(0)
	v_add_f16_e32 v8, v10, v9
	s_delay_alu instid0(VALU_DEP_1) | instskip(NEXT) | instid1(VALU_DEP_1)
	v_and_b32_e32 v10, 0xffff, v8
	v_and_or_b32 v9, 0xffff0000, v9, v10
	ds_bpermute_b32 v9, v7, v9
	v_cmpx_eq_u32_e32 0, v6
	s_cbranch_execz .LBB3_8
; %bb.7:
	v_lshrrev_b32_e32 v6, 4, v0
	s_waitcnt lgkmcnt(0)
	v_add_f16_e32 v8, v8, v9
	s_delay_alu instid0(VALU_DEP_2)
	v_and_b32_e32 v6, 62, v6
	ds_store_b16 v6, v8
.LBB3_8:
	s_or_b32 exec_lo, exec_lo, s1
	v_mov_b32_e32 v6, 0
	s_waitcnt lgkmcnt(0)
	s_barrier
	buffer_gl0_inv
	s_and_saveexec_b32 s0, vcc_lo
	s_cbranch_execz .LBB3_10
; %bb.9:
	ds_load_u16 v6, v1
.LBB3_10:
	s_or_b32 exec_lo, exec_lo, s0
	s_and_saveexec_b32 s0, vcc_lo
	s_cbranch_execz .LBB3_12
; %bb.11:
	s_waitcnt lgkmcnt(0)
	v_and_b32_e32 v1, 0xffff, v6
	ds_bpermute_b32 v1, v2, v1
	s_waitcnt lgkmcnt(0)
	v_add_f16_e32 v2, v6, v1
	s_delay_alu instid0(VALU_DEP_1) | instskip(NEXT) | instid1(VALU_DEP_1)
	v_and_b32_e32 v6, 0xffff, v2
	v_and_or_b32 v1, 0xffff0000, v1, v6
	ds_bpermute_b32 v1, v3, v1
	s_waitcnt lgkmcnt(0)
	v_add_f16_e32 v2, v2, v1
	s_delay_alu instid0(VALU_DEP_1) | instskip(NEXT) | instid1(VALU_DEP_1)
	v_and_b32_e32 v3, 0xffff, v2
	v_and_or_b32 v1, 0xffff0000, v1, v3
	;; [unrolled: 6-line block ×4, first 2 shown]
	ds_bpermute_b32 v1, v7, v1
	s_waitcnt lgkmcnt(0)
	v_add_f16_e32 v6, v2, v1
.LBB3_12:
	s_or_b32 exec_lo, exec_lo, s0
	s_delay_alu instid0(SALU_CYCLE_1)
	s_mov_b32 s0, exec_lo
	v_cmpx_eq_u32_e32 0, v0
	s_cbranch_execz .LBB3_14
; %bb.13:
	s_lshl_b64 s[0:1], s[8:9], 1
	v_mov_b32_e32 v0, 0
	s_add_u32 s0, s2, s0
	s_addc_u32 s1, s3, s1
	s_waitcnt lgkmcnt(0)
	global_store_b16 v0, v6, s[0:1]
.LBB3_14:
	s_nop 0
	s_sendmsg sendmsg(MSG_DEALLOC_VGPRS)
	s_endpgm
	.section	.rodata,"a",@progbits
	.p2align	6, 0x0
	.amdhsa_kernel _ZL18rocblas_dot_kernelIiLb1ELi1024ELi32ELb0EDF16_PKDF16_DF16_EviT5_lT_lS2_lS3_liPT6_PT4_
		.amdhsa_group_segment_fixed_size 64
		.amdhsa_private_segment_fixed_size 0
		.amdhsa_kernarg_size 352
		.amdhsa_user_sgpr_count 14
		.amdhsa_user_sgpr_dispatch_ptr 0
		.amdhsa_user_sgpr_queue_ptr 0
		.amdhsa_user_sgpr_kernarg_segment_ptr 1
		.amdhsa_user_sgpr_dispatch_id 0
		.amdhsa_user_sgpr_private_segment_size 0
		.amdhsa_wavefront_size32 1
		.amdhsa_uses_dynamic_stack 0
		.amdhsa_enable_private_segment 0
		.amdhsa_system_sgpr_workgroup_id_x 1
		.amdhsa_system_sgpr_workgroup_id_y 0
		.amdhsa_system_sgpr_workgroup_id_z 1
		.amdhsa_system_sgpr_workgroup_info 0
		.amdhsa_system_vgpr_workitem_id 0
		.amdhsa_next_free_vgpr 11
		.amdhsa_next_free_sgpr 25
		.amdhsa_reserve_vcc 1
		.amdhsa_float_round_mode_32 0
		.amdhsa_float_round_mode_16_64 0
		.amdhsa_float_denorm_mode_32 3
		.amdhsa_float_denorm_mode_16_64 3
		.amdhsa_dx10_clamp 1
		.amdhsa_ieee_mode 1
		.amdhsa_fp16_overflow 0
		.amdhsa_workgroup_processor_mode 1
		.amdhsa_memory_ordered 1
		.amdhsa_forward_progress 0
		.amdhsa_shared_vgpr_count 0
		.amdhsa_exception_fp_ieee_invalid_op 0
		.amdhsa_exception_fp_denorm_src 0
		.amdhsa_exception_fp_ieee_div_zero 0
		.amdhsa_exception_fp_ieee_overflow 0
		.amdhsa_exception_fp_ieee_underflow 0
		.amdhsa_exception_fp_ieee_inexact 0
		.amdhsa_exception_int_div_zero 0
	.end_amdhsa_kernel
	.section	.text._ZL18rocblas_dot_kernelIiLb1ELi1024ELi32ELb0EDF16_PKDF16_DF16_EviT5_lT_lS2_lS3_liPT6_PT4_,"axG",@progbits,_ZL18rocblas_dot_kernelIiLb1ELi1024ELi32ELb0EDF16_PKDF16_DF16_EviT5_lT_lS2_lS3_liPT6_PT4_,comdat
.Lfunc_end3:
	.size	_ZL18rocblas_dot_kernelIiLb1ELi1024ELi32ELb0EDF16_PKDF16_DF16_EviT5_lT_lS2_lS3_liPT6_PT4_, .Lfunc_end3-_ZL18rocblas_dot_kernelIiLb1ELi1024ELi32ELb0EDF16_PKDF16_DF16_EviT5_lT_lS2_lS3_liPT6_PT4_
                                        ; -- End function
	.section	.AMDGPU.csdata,"",@progbits
; Kernel info:
; codeLenInByte = 1144
; NumSgprs: 27
; NumVgprs: 11
; ScratchSize: 0
; MemoryBound: 0
; FloatMode: 240
; IeeeMode: 1
; LDSByteSize: 64 bytes/workgroup (compile time only)
; SGPRBlocks: 3
; VGPRBlocks: 1
; NumSGPRsForWavesPerEU: 27
; NumVGPRsForWavesPerEU: 11
; Occupancy: 16
; WaveLimiterHint : 0
; COMPUTE_PGM_RSRC2:SCRATCH_EN: 0
; COMPUTE_PGM_RSRC2:USER_SGPR: 14
; COMPUTE_PGM_RSRC2:TRAP_HANDLER: 0
; COMPUTE_PGM_RSRC2:TGID_X_EN: 1
; COMPUTE_PGM_RSRC2:TGID_Y_EN: 0
; COMPUTE_PGM_RSRC2:TGID_Z_EN: 1
; COMPUTE_PGM_RSRC2:TIDIG_COMP_CNT: 0
	.section	.text._ZL24rocblas_dot_kernel_magsqIiLb1ELi1024ELi32ELb0EDF16_PKDF16_DF16_EviT5_lT_liPT6_PT4_,"axG",@progbits,_ZL24rocblas_dot_kernel_magsqIiLb1ELi1024ELi32ELb0EDF16_PKDF16_DF16_EviT5_lT_liPT6_PT4_,comdat
	.globl	_ZL24rocblas_dot_kernel_magsqIiLb1ELi1024ELi32ELb0EDF16_PKDF16_DF16_EviT5_lT_liPT6_PT4_ ; -- Begin function _ZL24rocblas_dot_kernel_magsqIiLb1ELi1024ELi32ELb0EDF16_PKDF16_DF16_EviT5_lT_liPT6_PT4_
	.p2align	8
	.type	_ZL24rocblas_dot_kernel_magsqIiLb1ELi1024ELi32ELb0EDF16_PKDF16_DF16_EviT5_lT_liPT6_PT4_,@function
_ZL24rocblas_dot_kernel_magsqIiLb1ELi1024ELi32ELb0EDF16_PKDF16_DF16_EviT5_lT_liPT6_PT4_: ; @_ZL24rocblas_dot_kernel_magsqIiLb1ELi1024ELi32ELb0EDF16_PKDF16_DF16_EviT5_lT_liPT6_PT4_
; %bb.0:
	s_clause 0x1
	s_load_b32 s8, s[0:1], 0x0
	s_load_b64 s[2:3], s[0:1], 0x38
	v_mov_b32_e32 v3, 0
	s_mov_b32 s4, s15
	s_mov_b32 s5, 0
	s_mov_b32 s9, exec_lo
	s_waitcnt lgkmcnt(0)
	v_cmpx_gt_i32_e64 s8, v0
	s_cbranch_execz .LBB4_4
; %bb.1:
	s_clause 0x3
	s_load_b32 s10, s[0:1], 0x40
	s_load_b64 s[6:7], s[0:1], 0x20
	s_load_b32 s16, s[0:1], 0x18
	s_load_b128 s[12:15], s[0:1], 0x8
	v_mov_b32_e32 v3, 0
	s_waitcnt lgkmcnt(0)
	s_lshl_b32 s1, s10, 10
	s_mul_i32 s0, s7, s4
	v_mad_i64_i32 v[1:2], null, s16, v0, 0
	s_mul_hi_u32 s7, s6, s4
	s_mul_i32 s6, s6, s4
	s_add_i32 s7, s7, s0
	s_lshl_b64 s[10:11], s[14:15], 1
	s_lshl_b64 s[6:7], s[6:7], 1
	s_add_u32 s0, s12, s10
	s_delay_alu instid0(VALU_DEP_1)
	v_lshlrev_b64 v[1:2], 1, v[1:2]
	s_addc_u32 s10, s13, s11
	s_add_u32 s0, s0, s6
	s_addc_u32 s6, s10, s7
	v_or_b32_e32 v4, s1, v0
	s_mul_hi_i32 s15, s16, s1
	v_add_co_u32 v1, vcc_lo, s0, v1
	v_add_co_ci_u32_e32 v2, vcc_lo, s6, v2, vcc_lo
	s_mul_i32 s14, s16, s1
	s_mov_b32 s10, s5
	s_lshl_b64 s[6:7], s[14:15], 1
	s_mov_b32 s11, s5
	.p2align	6
.LBB4_2:                                ; =>This Inner Loop Header: Depth=1
	global_load_u16 v5, v[1:2], off
	s_add_i32 s12, s11, 1
	v_cmp_le_i32_e32 vcc_lo, s8, v4
	v_add_co_u32 v1, s0, v1, s6
	s_cmp_gt_u32 s11, 30
	v_add_co_ci_u32_e64 v2, s0, s7, v2, s0
	s_cselect_b32 s0, -1, 0
	v_add_nc_u32_e32 v4, s1, v4
	s_or_b32 s0, s0, vcc_lo
	s_mov_b32 s11, s12
	s_and_b32 s0, exec_lo, s0
	s_delay_alu instid0(SALU_CYCLE_1)
	s_or_b32 s10, s0, s10
	s_waitcnt vmcnt(0)
	v_fmac_f16_e32 v3, v5, v5
	s_and_not1_b32 exec_lo, exec_lo, s10
	s_cbranch_execnz .LBB4_2
; %bb.3:
	s_or_b32 exec_lo, exec_lo, s10
.LBB4_4:
	s_delay_alu instid0(SALU_CYCLE_1) | instskip(SKIP_2) | instid1(VALU_DEP_2)
	s_or_b32 exec_lo, exec_lo, s9
	v_and_b32_e32 v5, 31, v0
	v_cmp_gt_u32_e32 vcc_lo, 32, v0
	v_lshlrev_b32_e32 v1, 1, v5
	s_and_saveexec_b32 s0, vcc_lo
	s_cbranch_execz .LBB4_6
; %bb.5:
	v_mov_b32_e32 v2, 0
	ds_store_b16 v1, v2
.LBB4_6:
	s_or_b32 exec_lo, exec_lo, s0
	v_mbcnt_lo_u32_b32 v7, -1, 0
	v_and_b32_e32 v4, 0xffff, v3
	s_mov_b32 s1, exec_lo
	s_waitcnt lgkmcnt(0)
	s_barrier
	v_cmp_gt_u32_e64 s0, 16, v7
	buffer_gl0_inv
	v_cndmask_b32_e64 v2, 0, 1, s0
	v_cmp_gt_u32_e64 s0, 24, v7
	s_delay_alu instid0(VALU_DEP_2) | instskip(NEXT) | instid1(VALU_DEP_2)
	v_lshlrev_b32_e32 v2, 4, v2
	v_cndmask_b32_e64 v6, 0, 1, s0
	v_cmp_gt_u32_e64 s0, 28, v7
	s_delay_alu instid0(VALU_DEP_3) | instskip(SKIP_4) | instid1(VALU_DEP_2)
	v_add_lshl_u32 v2, v2, v7, 2
	ds_bpermute_b32 v4, v2, v4
	s_waitcnt lgkmcnt(0)
	v_add_f16_e32 v8, v3, v4
	v_lshlrev_b32_e32 v3, 3, v6
	v_and_b32_e32 v6, 0xffff, v8
	s_delay_alu instid0(VALU_DEP_2) | instskip(NEXT) | instid1(VALU_DEP_2)
	v_add_lshl_u32 v3, v3, v7, 2
	v_and_or_b32 v4, 0xffff0000, v4, v6
	ds_bpermute_b32 v6, v3, v4
	v_cndmask_b32_e64 v4, 0, 1, s0
	v_cmp_gt_u32_e64 s0, 30, v7
	s_delay_alu instid0(VALU_DEP_2) | instskip(NEXT) | instid1(VALU_DEP_1)
	v_lshlrev_b32_e32 v4, 2, v4
	v_add_lshl_u32 v4, v4, v7, 2
	s_waitcnt lgkmcnt(0)
	v_add_f16_e32 v8, v8, v6
	s_delay_alu instid0(VALU_DEP_1) | instskip(NEXT) | instid1(VALU_DEP_1)
	v_and_b32_e32 v9, 0xffff, v8
	v_and_or_b32 v6, 0xffff0000, v6, v9
	ds_bpermute_b32 v9, v4, v6
	v_cndmask_b32_e64 v6, 0, 1, s0
	v_cmp_ne_u32_e64 s0, 31, v7
	s_delay_alu instid0(VALU_DEP_2) | instskip(NEXT) | instid1(VALU_DEP_1)
	v_lshlrev_b32_e32 v6, 1, v6
	v_add_lshl_u32 v6, v6, v7, 2
	s_delay_alu instid0(VALU_DEP_3) | instskip(NEXT) | instid1(VALU_DEP_1)
	v_add_co_ci_u32_e64 v7, s0, 0, v7, s0
	v_lshlrev_b32_e32 v7, 2, v7
	s_waitcnt lgkmcnt(0)
	v_add_f16_e32 v8, v8, v9
	s_delay_alu instid0(VALU_DEP_1) | instskip(NEXT) | instid1(VALU_DEP_1)
	v_and_b32_e32 v10, 0xffff, v8
	v_and_or_b32 v9, 0xffff0000, v9, v10
	ds_bpermute_b32 v9, v6, v9
	s_waitcnt lgkmcnt(0)
	v_add_f16_e32 v8, v8, v9
	s_delay_alu instid0(VALU_DEP_1) | instskip(NEXT) | instid1(VALU_DEP_1)
	v_and_b32_e32 v10, 0xffff, v8
	v_and_or_b32 v9, 0xffff0000, v9, v10
	ds_bpermute_b32 v9, v7, v9
	v_cmpx_eq_u32_e32 0, v5
	s_cbranch_execz .LBB4_8
; %bb.7:
	v_lshrrev_b32_e32 v5, 4, v0
	s_waitcnt lgkmcnt(0)
	v_add_f16_e32 v8, v8, v9
	s_delay_alu instid0(VALU_DEP_2)
	v_and_b32_e32 v5, 62, v5
	ds_store_b16 v5, v8
.LBB4_8:
	s_or_b32 exec_lo, exec_lo, s1
	v_mov_b32_e32 v5, 0
	s_waitcnt lgkmcnt(0)
	s_barrier
	buffer_gl0_inv
	s_and_saveexec_b32 s0, vcc_lo
	s_cbranch_execz .LBB4_10
; %bb.9:
	ds_load_u16 v5, v1
.LBB4_10:
	s_or_b32 exec_lo, exec_lo, s0
	s_and_saveexec_b32 s0, vcc_lo
	s_cbranch_execz .LBB4_12
; %bb.11:
	s_waitcnt lgkmcnt(0)
	v_and_b32_e32 v1, 0xffff, v5
	ds_bpermute_b32 v1, v2, v1
	s_waitcnt lgkmcnt(0)
	v_add_f16_e32 v2, v5, v1
	s_delay_alu instid0(VALU_DEP_1) | instskip(NEXT) | instid1(VALU_DEP_1)
	v_and_b32_e32 v5, 0xffff, v2
	v_and_or_b32 v1, 0xffff0000, v1, v5
	ds_bpermute_b32 v1, v3, v1
	s_waitcnt lgkmcnt(0)
	v_add_f16_e32 v2, v2, v1
	s_delay_alu instid0(VALU_DEP_1) | instskip(NEXT) | instid1(VALU_DEP_1)
	v_and_b32_e32 v3, 0xffff, v2
	v_and_or_b32 v1, 0xffff0000, v1, v3
	;; [unrolled: 6-line block ×4, first 2 shown]
	ds_bpermute_b32 v1, v7, v1
	s_waitcnt lgkmcnt(0)
	v_add_f16_e32 v5, v2, v1
.LBB4_12:
	s_or_b32 exec_lo, exec_lo, s0
	s_delay_alu instid0(SALU_CYCLE_1)
	s_mov_b32 s0, exec_lo
	v_cmpx_eq_u32_e32 0, v0
	s_cbranch_execz .LBB4_14
; %bb.13:
	s_lshl_b64 s[0:1], s[4:5], 1
	v_mov_b32_e32 v0, 0
	s_add_u32 s0, s2, s0
	s_addc_u32 s1, s3, s1
	s_waitcnt lgkmcnt(0)
	global_store_b16 v0, v5, s[0:1]
.LBB4_14:
	s_nop 0
	s_sendmsg sendmsg(MSG_DEALLOC_VGPRS)
	s_endpgm
	.section	.rodata,"a",@progbits
	.p2align	6, 0x0
	.amdhsa_kernel _ZL24rocblas_dot_kernel_magsqIiLb1ELi1024ELi32ELb0EDF16_PKDF16_DF16_EviT5_lT_liPT6_PT4_
		.amdhsa_group_segment_fixed_size 64
		.amdhsa_private_segment_fixed_size 0
		.amdhsa_kernarg_size 320
		.amdhsa_user_sgpr_count 14
		.amdhsa_user_sgpr_dispatch_ptr 0
		.amdhsa_user_sgpr_queue_ptr 0
		.amdhsa_user_sgpr_kernarg_segment_ptr 1
		.amdhsa_user_sgpr_dispatch_id 0
		.amdhsa_user_sgpr_private_segment_size 0
		.amdhsa_wavefront_size32 1
		.amdhsa_uses_dynamic_stack 0
		.amdhsa_enable_private_segment 0
		.amdhsa_system_sgpr_workgroup_id_x 1
		.amdhsa_system_sgpr_workgroup_id_y 0
		.amdhsa_system_sgpr_workgroup_id_z 1
		.amdhsa_system_sgpr_workgroup_info 0
		.amdhsa_system_vgpr_workitem_id 0
		.amdhsa_next_free_vgpr 11
		.amdhsa_next_free_sgpr 17
		.amdhsa_reserve_vcc 1
		.amdhsa_float_round_mode_32 0
		.amdhsa_float_round_mode_16_64 0
		.amdhsa_float_denorm_mode_32 3
		.amdhsa_float_denorm_mode_16_64 3
		.amdhsa_dx10_clamp 1
		.amdhsa_ieee_mode 1
		.amdhsa_fp16_overflow 0
		.amdhsa_workgroup_processor_mode 1
		.amdhsa_memory_ordered 1
		.amdhsa_forward_progress 0
		.amdhsa_shared_vgpr_count 0
		.amdhsa_exception_fp_ieee_invalid_op 0
		.amdhsa_exception_fp_denorm_src 0
		.amdhsa_exception_fp_ieee_div_zero 0
		.amdhsa_exception_fp_ieee_overflow 0
		.amdhsa_exception_fp_ieee_underflow 0
		.amdhsa_exception_fp_ieee_inexact 0
		.amdhsa_exception_int_div_zero 0
	.end_amdhsa_kernel
	.section	.text._ZL24rocblas_dot_kernel_magsqIiLb1ELi1024ELi32ELb0EDF16_PKDF16_DF16_EviT5_lT_liPT6_PT4_,"axG",@progbits,_ZL24rocblas_dot_kernel_magsqIiLb1ELi1024ELi32ELb0EDF16_PKDF16_DF16_EviT5_lT_liPT6_PT4_,comdat
.Lfunc_end4:
	.size	_ZL24rocblas_dot_kernel_magsqIiLb1ELi1024ELi32ELb0EDF16_PKDF16_DF16_EviT5_lT_liPT6_PT4_, .Lfunc_end4-_ZL24rocblas_dot_kernel_magsqIiLb1ELi1024ELi32ELb0EDF16_PKDF16_DF16_EviT5_lT_liPT6_PT4_
                                        ; -- End function
	.section	.AMDGPU.csdata,"",@progbits
; Kernel info:
; codeLenInByte = 1016
; NumSgprs: 19
; NumVgprs: 11
; ScratchSize: 0
; MemoryBound: 0
; FloatMode: 240
; IeeeMode: 1
; LDSByteSize: 64 bytes/workgroup (compile time only)
; SGPRBlocks: 2
; VGPRBlocks: 1
; NumSGPRsForWavesPerEU: 19
; NumVGPRsForWavesPerEU: 11
; Occupancy: 16
; WaveLimiterHint : 0
; COMPUTE_PGM_RSRC2:SCRATCH_EN: 0
; COMPUTE_PGM_RSRC2:USER_SGPR: 14
; COMPUTE_PGM_RSRC2:TRAP_HANDLER: 0
; COMPUTE_PGM_RSRC2:TGID_X_EN: 1
; COMPUTE_PGM_RSRC2:TGID_Y_EN: 0
; COMPUTE_PGM_RSRC2:TGID_Z_EN: 1
; COMPUTE_PGM_RSRC2:TIDIG_COMP_CNT: 0
	.section	.text._ZL38rocblas_dot_kernel_gfx942_float_doubleIiLi1024EDF16_PKDF16_DF16_EviT2_lT_lS2_lS3_lPT3_PT1_,"axG",@progbits,_ZL38rocblas_dot_kernel_gfx942_float_doubleIiLi1024EDF16_PKDF16_DF16_EviT2_lT_lS2_lS3_lPT3_PT1_,comdat
	.globl	_ZL38rocblas_dot_kernel_gfx942_float_doubleIiLi1024EDF16_PKDF16_DF16_EviT2_lT_lS2_lS3_lPT3_PT1_ ; -- Begin function _ZL38rocblas_dot_kernel_gfx942_float_doubleIiLi1024EDF16_PKDF16_DF16_EviT2_lT_lS2_lS3_lPT3_PT1_
	.p2align	8
	.type	_ZL38rocblas_dot_kernel_gfx942_float_doubleIiLi1024EDF16_PKDF16_DF16_EviT2_lT_lS2_lS3_lPT3_PT1_,@function
_ZL38rocblas_dot_kernel_gfx942_float_doubleIiLi1024EDF16_PKDF16_DF16_EviT2_lT_lS2_lS3_lPT3_PT1_: ; @_ZL38rocblas_dot_kernel_gfx942_float_doubleIiLi1024EDF16_PKDF16_DF16_EviT2_lT_lS2_lS3_lPT3_PT1_
; %bb.0:
	s_endpgm
	.section	.rodata,"a",@progbits
	.p2align	6, 0x0
	.amdhsa_kernel _ZL38rocblas_dot_kernel_gfx942_float_doubleIiLi1024EDF16_PKDF16_DF16_EviT2_lT_lS2_lS3_lPT3_PT1_
		.amdhsa_group_segment_fixed_size 0
		.amdhsa_private_segment_fixed_size 0
		.amdhsa_kernarg_size 88
		.amdhsa_user_sgpr_count 15
		.amdhsa_user_sgpr_dispatch_ptr 0
		.amdhsa_user_sgpr_queue_ptr 0
		.amdhsa_user_sgpr_kernarg_segment_ptr 1
		.amdhsa_user_sgpr_dispatch_id 0
		.amdhsa_user_sgpr_private_segment_size 0
		.amdhsa_wavefront_size32 1
		.amdhsa_uses_dynamic_stack 0
		.amdhsa_enable_private_segment 0
		.amdhsa_system_sgpr_workgroup_id_x 1
		.amdhsa_system_sgpr_workgroup_id_y 0
		.amdhsa_system_sgpr_workgroup_id_z 0
		.amdhsa_system_sgpr_workgroup_info 0
		.amdhsa_system_vgpr_workitem_id 0
		.amdhsa_next_free_vgpr 1
		.amdhsa_next_free_sgpr 1
		.amdhsa_reserve_vcc 0
		.amdhsa_float_round_mode_32 0
		.amdhsa_float_round_mode_16_64 0
		.amdhsa_float_denorm_mode_32 3
		.amdhsa_float_denorm_mode_16_64 3
		.amdhsa_dx10_clamp 1
		.amdhsa_ieee_mode 1
		.amdhsa_fp16_overflow 0
		.amdhsa_workgroup_processor_mode 1
		.amdhsa_memory_ordered 1
		.amdhsa_forward_progress 0
		.amdhsa_shared_vgpr_count 0
		.amdhsa_exception_fp_ieee_invalid_op 0
		.amdhsa_exception_fp_denorm_src 0
		.amdhsa_exception_fp_ieee_div_zero 0
		.amdhsa_exception_fp_ieee_overflow 0
		.amdhsa_exception_fp_ieee_underflow 0
		.amdhsa_exception_fp_ieee_inexact 0
		.amdhsa_exception_int_div_zero 0
	.end_amdhsa_kernel
	.section	.text._ZL38rocblas_dot_kernel_gfx942_float_doubleIiLi1024EDF16_PKDF16_DF16_EviT2_lT_lS2_lS3_lPT3_PT1_,"axG",@progbits,_ZL38rocblas_dot_kernel_gfx942_float_doubleIiLi1024EDF16_PKDF16_DF16_EviT2_lT_lS2_lS3_lPT3_PT1_,comdat
.Lfunc_end5:
	.size	_ZL38rocblas_dot_kernel_gfx942_float_doubleIiLi1024EDF16_PKDF16_DF16_EviT2_lT_lS2_lS3_lPT3_PT1_, .Lfunc_end5-_ZL38rocblas_dot_kernel_gfx942_float_doubleIiLi1024EDF16_PKDF16_DF16_EviT2_lT_lS2_lS3_lPT3_PT1_
                                        ; -- End function
	.section	.AMDGPU.csdata,"",@progbits
; Kernel info:
; codeLenInByte = 4
; NumSgprs: 0
; NumVgprs: 0
; ScratchSize: 0
; MemoryBound: 0
; FloatMode: 240
; IeeeMode: 1
; LDSByteSize: 0 bytes/workgroup (compile time only)
; SGPRBlocks: 0
; VGPRBlocks: 0
; NumSGPRsForWavesPerEU: 1
; NumVGPRsForWavesPerEU: 1
; Occupancy: 16
; WaveLimiterHint : 0
; COMPUTE_PGM_RSRC2:SCRATCH_EN: 0
; COMPUTE_PGM_RSRC2:USER_SGPR: 15
; COMPUTE_PGM_RSRC2:TRAP_HANDLER: 0
; COMPUTE_PGM_RSRC2:TGID_X_EN: 1
; COMPUTE_PGM_RSRC2:TGID_Y_EN: 0
; COMPUTE_PGM_RSRC2:TGID_Z_EN: 0
; COMPUTE_PGM_RSRC2:TIDIG_COMP_CNT: 0
	.section	.text._ZL30rocblas_reduction_kernel_part2ILi1024ELi4E25rocblas_finalize_identityDF16_DF16_EviPT2_PT3_,"axG",@progbits,_ZL30rocblas_reduction_kernel_part2ILi1024ELi4E25rocblas_finalize_identityDF16_DF16_EviPT2_PT3_,comdat
	.globl	_ZL30rocblas_reduction_kernel_part2ILi1024ELi4E25rocblas_finalize_identityDF16_DF16_EviPT2_PT3_ ; -- Begin function _ZL30rocblas_reduction_kernel_part2ILi1024ELi4E25rocblas_finalize_identityDF16_DF16_EviPT2_PT3_
	.p2align	8
	.type	_ZL30rocblas_reduction_kernel_part2ILi1024ELi4E25rocblas_finalize_identityDF16_DF16_EviPT2_PT3_,@function
_ZL30rocblas_reduction_kernel_part2ILi1024ELi4E25rocblas_finalize_identityDF16_DF16_EviPT2_PT3_: ; @_ZL30rocblas_reduction_kernel_part2ILi1024ELi4E25rocblas_finalize_identityDF16_DF16_EviPT2_PT3_
; %bb.0:
	s_clause 0x1
	s_load_b32 s10, s[0:1], 0x0
	s_load_b128 s[4:7], s[0:1], 0x8
	v_dual_mov_b32 v3, 0 :: v_dual_lshlrev_b32 v4, 2, v0
	s_mov_b32 s2, s15
	s_mov_b32 s3, 0
	s_mov_b32 s11, exec_lo
	s_waitcnt lgkmcnt(0)
	s_ashr_i32 s0, s10, 31
	s_mul_hi_u32 s8, s10, s15
	s_lshr_b32 s1, s0, 30
	s_mul_i32 s0, s0, s15
	s_add_i32 s1, s10, s1
	s_add_i32 s9, s8, s0
	s_and_b32 s1, s1, -4
	s_mul_i32 s8, s10, s15
	v_cmpx_gt_i32_e64 s1, v4
	s_cbranch_execz .LBB6_4
; %bb.1:
	v_lshlrev_b32_e32 v1, 3, v0
	s_lshl_b64 s[12:13], s[8:9], 1
	v_mov_b32_e32 v3, 0
	s_add_u32 s0, s4, s12
	s_addc_u32 s12, s5, s13
	v_add_co_u32 v1, s0, s0, v1
	s_delay_alu instid0(VALU_DEP_1) | instskip(SKIP_1) | instid1(VALU_DEP_2)
	v_add_co_ci_u32_e64 v2, null, s12, 0, s0
	s_mov_b32 s12, s3
	v_add_co_u32 v1, vcc_lo, v1, 4
	s_delay_alu instid0(VALU_DEP_2)
	v_add_co_ci_u32_e32 v2, vcc_lo, 0, v2, vcc_lo
	.p2align	6
.LBB6_2:                                ; =>This Inner Loop Header: Depth=1
	global_load_b64 v[5:6], v[1:2], off offset:-4
	v_add_nc_u32_e32 v4, 0x1000, v4
	v_add_co_u32 v1, vcc_lo, 0x2000, v1
	v_add_co_ci_u32_e32 v2, vcc_lo, 0, v2, vcc_lo
	s_delay_alu instid0(VALU_DEP_3) | instskip(NEXT) | instid1(VALU_DEP_1)
	v_cmp_le_i32_e64 s0, s1, v4
	s_or_b32 s12, s0, s12
	s_waitcnt vmcnt(0)
	v_lshrrev_b32_e32 v7, 16, v5
	v_add_f16_e32 v3, v3, v5
	v_lshrrev_b32_e32 v5, 16, v6
	s_delay_alu instid0(VALU_DEP_2) | instskip(NEXT) | instid1(VALU_DEP_1)
	v_add_f16_e32 v3, v3, v7
	v_add_f16_e32 v3, v3, v6
	s_delay_alu instid0(VALU_DEP_1)
	v_add_f16_e32 v3, v3, v5
	s_and_not1_b32 exec_lo, exec_lo, s12
	s_cbranch_execnz .LBB6_2
; %bb.3:
	s_or_b32 exec_lo, exec_lo, s12
.LBB6_4:
	s_delay_alu instid0(SALU_CYCLE_1) | instskip(SKIP_1) | instid1(SALU_CYCLE_1)
	s_or_b32 exec_lo, exec_lo, s11
	s_sub_i32 s0, s10, s1
	v_cmp_gt_u32_e32 vcc_lo, s0, v0
	s_and_saveexec_b32 s0, vcc_lo
	s_cbranch_execz .LBB6_6
; %bb.5:
	v_xad_u32 v1, v0, -1, s10
	v_mov_b32_e32 v2, 0
	s_lshl_b64 s[8:9], s[8:9], 1
	s_delay_alu instid0(SALU_CYCLE_1) | instskip(SKIP_1) | instid1(VALU_DEP_1)
	s_add_u32 s1, s4, s8
	s_addc_u32 s4, s5, s9
	v_lshlrev_b64 v[1:2], 1, v[1:2]
	s_delay_alu instid0(VALU_DEP_1) | instskip(NEXT) | instid1(VALU_DEP_2)
	v_add_co_u32 v1, vcc_lo, s1, v1
	v_add_co_ci_u32_e32 v2, vcc_lo, s4, v2, vcc_lo
	global_load_u16 v1, v[1:2], off
	s_waitcnt vmcnt(0)
	v_add_f16_e32 v3, v3, v1
.LBB6_6:
	s_or_b32 exec_lo, exec_lo, s0
	v_and_b32_e32 v5, 31, v0
	v_cmp_gt_u32_e32 vcc_lo, 32, v0
	s_delay_alu instid0(VALU_DEP_2)
	v_lshlrev_b32_e32 v1, 1, v5
	s_and_saveexec_b32 s0, vcc_lo
	s_cbranch_execz .LBB6_8
; %bb.7:
	v_mov_b32_e32 v2, 0
	ds_store_b16 v1, v2
.LBB6_8:
	s_or_b32 exec_lo, exec_lo, s0
	v_mbcnt_lo_u32_b32 v7, -1, 0
	v_and_b32_e32 v4, 0xffff, v3
	s_mov_b32 s1, exec_lo
	s_waitcnt lgkmcnt(0)
	s_barrier
	v_cmp_gt_u32_e64 s0, 16, v7
	buffer_gl0_inv
	v_cndmask_b32_e64 v2, 0, 1, s0
	v_cmp_gt_u32_e64 s0, 24, v7
	s_delay_alu instid0(VALU_DEP_2) | instskip(NEXT) | instid1(VALU_DEP_2)
	v_lshlrev_b32_e32 v2, 4, v2
	v_cndmask_b32_e64 v6, 0, 1, s0
	v_cmp_gt_u32_e64 s0, 28, v7
	s_delay_alu instid0(VALU_DEP_3) | instskip(SKIP_4) | instid1(VALU_DEP_2)
	v_add_lshl_u32 v2, v2, v7, 2
	ds_bpermute_b32 v4, v2, v4
	s_waitcnt lgkmcnt(0)
	v_add_f16_e32 v8, v3, v4
	v_lshlrev_b32_e32 v3, 3, v6
	v_and_b32_e32 v6, 0xffff, v8
	s_delay_alu instid0(VALU_DEP_2) | instskip(NEXT) | instid1(VALU_DEP_2)
	v_add_lshl_u32 v3, v3, v7, 2
	v_and_or_b32 v4, 0xffff0000, v4, v6
	ds_bpermute_b32 v6, v3, v4
	v_cndmask_b32_e64 v4, 0, 1, s0
	v_cmp_gt_u32_e64 s0, 30, v7
	s_delay_alu instid0(VALU_DEP_2) | instskip(NEXT) | instid1(VALU_DEP_1)
	v_lshlrev_b32_e32 v4, 2, v4
	v_add_lshl_u32 v4, v4, v7, 2
	s_waitcnt lgkmcnt(0)
	v_add_f16_e32 v8, v8, v6
	s_delay_alu instid0(VALU_DEP_1) | instskip(NEXT) | instid1(VALU_DEP_1)
	v_and_b32_e32 v9, 0xffff, v8
	v_and_or_b32 v6, 0xffff0000, v6, v9
	ds_bpermute_b32 v9, v4, v6
	v_cndmask_b32_e64 v6, 0, 1, s0
	v_cmp_ne_u32_e64 s0, 31, v7
	s_delay_alu instid0(VALU_DEP_2) | instskip(NEXT) | instid1(VALU_DEP_1)
	v_lshlrev_b32_e32 v6, 1, v6
	v_add_lshl_u32 v6, v6, v7, 2
	s_delay_alu instid0(VALU_DEP_3) | instskip(NEXT) | instid1(VALU_DEP_1)
	v_add_co_ci_u32_e64 v7, s0, 0, v7, s0
	v_lshlrev_b32_e32 v7, 2, v7
	s_waitcnt lgkmcnt(0)
	v_add_f16_e32 v8, v8, v9
	s_delay_alu instid0(VALU_DEP_1) | instskip(NEXT) | instid1(VALU_DEP_1)
	v_and_b32_e32 v10, 0xffff, v8
	v_and_or_b32 v9, 0xffff0000, v9, v10
	ds_bpermute_b32 v9, v6, v9
	s_waitcnt lgkmcnt(0)
	v_add_f16_e32 v8, v8, v9
	s_delay_alu instid0(VALU_DEP_1) | instskip(NEXT) | instid1(VALU_DEP_1)
	v_and_b32_e32 v10, 0xffff, v8
	v_and_or_b32 v9, 0xffff0000, v9, v10
	ds_bpermute_b32 v9, v7, v9
	v_cmpx_eq_u32_e32 0, v5
	s_cbranch_execz .LBB6_10
; %bb.9:
	v_lshrrev_b32_e32 v5, 4, v0
	s_waitcnt lgkmcnt(0)
	v_add_f16_e32 v8, v8, v9
	s_delay_alu instid0(VALU_DEP_2)
	v_and_b32_e32 v5, 62, v5
	ds_store_b16 v5, v8
.LBB6_10:
	s_or_b32 exec_lo, exec_lo, s1
	v_mov_b32_e32 v5, 0
	s_waitcnt lgkmcnt(0)
	s_barrier
	buffer_gl0_inv
	s_and_saveexec_b32 s0, vcc_lo
	s_cbranch_execz .LBB6_12
; %bb.11:
	ds_load_u16 v5, v1
.LBB6_12:
	s_or_b32 exec_lo, exec_lo, s0
	s_and_saveexec_b32 s0, vcc_lo
	s_cbranch_execz .LBB6_14
; %bb.13:
	s_waitcnt lgkmcnt(0)
	v_and_b32_e32 v1, 0xffff, v5
	ds_bpermute_b32 v1, v2, v1
	s_waitcnt lgkmcnt(0)
	v_add_f16_e32 v2, v5, v1
	s_delay_alu instid0(VALU_DEP_1) | instskip(NEXT) | instid1(VALU_DEP_1)
	v_and_b32_e32 v5, 0xffff, v2
	v_and_or_b32 v1, 0xffff0000, v1, v5
	ds_bpermute_b32 v1, v3, v1
	s_waitcnt lgkmcnt(0)
	v_add_f16_e32 v2, v2, v1
	s_delay_alu instid0(VALU_DEP_1) | instskip(NEXT) | instid1(VALU_DEP_1)
	v_and_b32_e32 v3, 0xffff, v2
	v_and_or_b32 v1, 0xffff0000, v1, v3
	;; [unrolled: 6-line block ×4, first 2 shown]
	ds_bpermute_b32 v1, v7, v1
	s_waitcnt lgkmcnt(0)
	v_add_f16_e32 v5, v2, v1
.LBB6_14:
	s_or_b32 exec_lo, exec_lo, s0
	s_delay_alu instid0(SALU_CYCLE_1)
	s_mov_b32 s0, exec_lo
	v_cmpx_eq_u32_e32 0, v0
	s_cbranch_execz .LBB6_16
; %bb.15:
	s_lshl_b64 s[0:1], s[2:3], 1
	v_mov_b32_e32 v0, 0
	s_add_u32 s0, s6, s0
	s_addc_u32 s1, s7, s1
	s_waitcnt lgkmcnt(0)
	global_store_b16 v0, v5, s[0:1]
.LBB6_16:
	s_nop 0
	s_sendmsg sendmsg(MSG_DEALLOC_VGPRS)
	s_endpgm
	.section	.rodata,"a",@progbits
	.p2align	6, 0x0
	.amdhsa_kernel _ZL30rocblas_reduction_kernel_part2ILi1024ELi4E25rocblas_finalize_identityDF16_DF16_EviPT2_PT3_
		.amdhsa_group_segment_fixed_size 64
		.amdhsa_private_segment_fixed_size 0
		.amdhsa_kernarg_size 24
		.amdhsa_user_sgpr_count 15
		.amdhsa_user_sgpr_dispatch_ptr 0
		.amdhsa_user_sgpr_queue_ptr 0
		.amdhsa_user_sgpr_kernarg_segment_ptr 1
		.amdhsa_user_sgpr_dispatch_id 0
		.amdhsa_user_sgpr_private_segment_size 0
		.amdhsa_wavefront_size32 1
		.amdhsa_uses_dynamic_stack 0
		.amdhsa_enable_private_segment 0
		.amdhsa_system_sgpr_workgroup_id_x 1
		.amdhsa_system_sgpr_workgroup_id_y 0
		.amdhsa_system_sgpr_workgroup_id_z 0
		.amdhsa_system_sgpr_workgroup_info 0
		.amdhsa_system_vgpr_workitem_id 0
		.amdhsa_next_free_vgpr 11
		.amdhsa_next_free_sgpr 16
		.amdhsa_reserve_vcc 1
		.amdhsa_float_round_mode_32 0
		.amdhsa_float_round_mode_16_64 0
		.amdhsa_float_denorm_mode_32 3
		.amdhsa_float_denorm_mode_16_64 3
		.amdhsa_dx10_clamp 1
		.amdhsa_ieee_mode 1
		.amdhsa_fp16_overflow 0
		.amdhsa_workgroup_processor_mode 1
		.amdhsa_memory_ordered 1
		.amdhsa_forward_progress 0
		.amdhsa_shared_vgpr_count 0
		.amdhsa_exception_fp_ieee_invalid_op 0
		.amdhsa_exception_fp_denorm_src 0
		.amdhsa_exception_fp_ieee_div_zero 0
		.amdhsa_exception_fp_ieee_overflow 0
		.amdhsa_exception_fp_ieee_underflow 0
		.amdhsa_exception_fp_ieee_inexact 0
		.amdhsa_exception_int_div_zero 0
	.end_amdhsa_kernel
	.section	.text._ZL30rocblas_reduction_kernel_part2ILi1024ELi4E25rocblas_finalize_identityDF16_DF16_EviPT2_PT3_,"axG",@progbits,_ZL30rocblas_reduction_kernel_part2ILi1024ELi4E25rocblas_finalize_identityDF16_DF16_EviPT2_PT3_,comdat
.Lfunc_end6:
	.size	_ZL30rocblas_reduction_kernel_part2ILi1024ELi4E25rocblas_finalize_identityDF16_DF16_EviPT2_PT3_, .Lfunc_end6-_ZL30rocblas_reduction_kernel_part2ILi1024ELi4E25rocblas_finalize_identityDF16_DF16_EviPT2_PT3_
                                        ; -- End function
	.section	.AMDGPU.csdata,"",@progbits
; Kernel info:
; codeLenInByte = 1072
; NumSgprs: 18
; NumVgprs: 11
; ScratchSize: 0
; MemoryBound: 0
; FloatMode: 240
; IeeeMode: 1
; LDSByteSize: 64 bytes/workgroup (compile time only)
; SGPRBlocks: 2
; VGPRBlocks: 1
; NumSGPRsForWavesPerEU: 18
; NumVGPRsForWavesPerEU: 11
; Occupancy: 16
; WaveLimiterHint : 0
; COMPUTE_PGM_RSRC2:SCRATCH_EN: 0
; COMPUTE_PGM_RSRC2:USER_SGPR: 15
; COMPUTE_PGM_RSRC2:TRAP_HANDLER: 0
; COMPUTE_PGM_RSRC2:TGID_X_EN: 1
; COMPUTE_PGM_RSRC2:TGID_Y_EN: 0
; COMPUTE_PGM_RSRC2:TGID_Z_EN: 0
; COMPUTE_PGM_RSRC2:TIDIG_COMP_CNT: 0
	.section	.text._ZL23rocblas_dot_kernel_inc1ILb0ELi512ELi8ELb0EDF16_PKDF16_DF16_EviT4_llS2_lliPT5_PT3_,"axG",@progbits,_ZL23rocblas_dot_kernel_inc1ILb0ELi512ELi8ELb0EDF16_PKDF16_DF16_EviT4_llS2_lliPT5_PT3_,comdat
	.globl	_ZL23rocblas_dot_kernel_inc1ILb0ELi512ELi8ELb0EDF16_PKDF16_DF16_EviT4_llS2_lliPT5_PT3_ ; -- Begin function _ZL23rocblas_dot_kernel_inc1ILb0ELi512ELi8ELb0EDF16_PKDF16_DF16_EviT4_llS2_lliPT5_PT3_
	.p2align	8
	.type	_ZL23rocblas_dot_kernel_inc1ILb0ELi512ELi8ELb0EDF16_PKDF16_DF16_EviT4_llS2_lliPT5_PT3_,@function
_ZL23rocblas_dot_kernel_inc1ILb0ELi512ELi8ELb0EDF16_PKDF16_DF16_EviT4_llS2_lliPT5_PT3_: ; @_ZL23rocblas_dot_kernel_inc1ILb0ELi512ELi8ELb0EDF16_PKDF16_DF16_EviT4_llS2_lliPT5_PT3_
; %bb.0:
	s_clause 0x2
	s_load_b32 s12, s[0:1], 0x50
	s_load_b32 s13, s[0:1], 0x0
	s_load_b128 s[4:7], s[0:1], 0x40
	v_lshl_or_b32 v1, s14, 9, v0
	v_mov_b32_e32 v4, 0
	s_mov_b32 s2, s15
	s_mov_b32 s3, 0
	s_mov_b32 s15, exec_lo
	s_waitcnt lgkmcnt(0)
	v_cmpx_gt_i32_e64 s13, v1
	s_cbranch_execz .LBB7_4
; %bb.1:
	s_clause 0x3
	s_load_b128 s[8:11], s[0:1], 0x10
	s_load_b128 s[20:23], s[0:1], 0x28
	s_load_b64 s[16:17], s[0:1], 0x8
	s_load_b64 s[18:19], s[0:1], 0x20
	v_ashrrev_i32_e32 v2, 31, v1
	s_delay_alu instid0(VALU_DEP_1)
	v_lshlrev_b64 v[2:3], 1, v[1:2]
	s_waitcnt lgkmcnt(0)
	s_mul_i32 s1, s2, s11
	s_mul_hi_u32 s11, s2, s10
	s_mul_i32 s0, s2, s10
	s_add_i32 s1, s11, s1
	s_mul_i32 s11, s2, s23
	s_lshl_b64 s[0:1], s[0:1], 1
	s_mul_hi_u32 s23, s2, s22
	s_add_u32 s0, s16, s0
	s_addc_u32 s16, s17, s1
	s_lshl_b64 s[8:9], s[8:9], 1
	s_mul_i32 s10, s2, s22
	s_add_u32 s1, s0, s8
	s_addc_u32 s16, s16, s9
	s_add_i32 s11, s23, s11
	s_delay_alu instid0(SALU_CYCLE_1) | instskip(NEXT) | instid1(SALU_CYCLE_1)
	s_lshl_b64 s[8:9], s[10:11], 1
	s_add_u32 s0, s18, s8
	s_addc_u32 s10, s19, s9
	s_lshl_b64 s[8:9], s[20:21], 1
	s_mov_b32 s19, s3
	s_add_u32 s17, s0, s8
	s_addc_u32 s18, s10, s9
	s_lshl_b32 s8, s12, 9
	s_delay_alu instid0(SALU_CYCLE_1) | instskip(SKIP_1) | instid1(SALU_CYCLE_1)
	v_dual_mov_b32 v4, 0 :: v_dual_add_nc_u32 v1, s8, v1
	s_ashr_i32 s9, s8, 31
	s_lshl_b64 s[10:11], s[8:9], 1
	s_mov_b32 s9, s3
	.p2align	6
.LBB7_2:                                ; =>This Inner Loop Header: Depth=1
	v_add_co_u32 v5, vcc_lo, s17, v2
	v_add_co_ci_u32_e32 v6, vcc_lo, s18, v3, vcc_lo
	v_add_co_u32 v7, vcc_lo, s1, v2
	v_add_co_ci_u32_e32 v8, vcc_lo, s16, v3, vcc_lo
	s_add_i32 s20, s19, 1
	global_load_u16 v5, v[5:6], off
	global_load_u16 v6, v[7:8], off
	v_cmp_le_i32_e32 vcc_lo, s13, v1
	v_add_co_u32 v2, s0, v2, s10
	s_cmp_gt_u32 s19, 6
	v_add_co_ci_u32_e64 v3, s0, s11, v3, s0
	s_cselect_b32 s0, -1, 0
	v_add_nc_u32_e32 v1, s8, v1
	s_or_b32 s0, s0, vcc_lo
	s_mov_b32 s19, s20
	s_and_b32 s0, exec_lo, s0
	s_delay_alu instid0(SALU_CYCLE_1)
	s_or_b32 s9, s0, s9
	s_waitcnt vmcnt(0)
	v_fmac_f16_e32 v4, v5, v6
	s_and_not1_b32 exec_lo, exec_lo, s9
	s_cbranch_execnz .LBB7_2
; %bb.3:
	s_or_b32 exec_lo, exec_lo, s9
.LBB7_4:
	s_delay_alu instid0(SALU_CYCLE_1) | instskip(SKIP_2) | instid1(VALU_DEP_2)
	s_or_b32 exec_lo, exec_lo, s15
	v_and_b32_e32 v2, 31, v0
	v_cmp_gt_u32_e32 vcc_lo, 32, v0
	v_lshlrev_b32_e32 v1, 1, v2
	s_and_saveexec_b32 s0, vcc_lo
	s_cbranch_execz .LBB7_6
; %bb.5:
	v_mov_b32_e32 v3, 0
	ds_store_b16 v1, v3
.LBB7_6:
	s_or_b32 exec_lo, exec_lo, s0
	v_mbcnt_lo_u32_b32 v6, -1, 0
	v_and_b32_e32 v5, 0xffff, v4
	s_mov_b32 s1, exec_lo
	s_waitcnt lgkmcnt(0)
	s_barrier
	v_cmp_gt_u32_e64 s0, 16, v6
	buffer_gl0_inv
	v_cndmask_b32_e64 v3, 0, 1, s0
	v_cmp_gt_u32_e64 s0, 24, v6
	s_delay_alu instid0(VALU_DEP_2) | instskip(NEXT) | instid1(VALU_DEP_1)
	v_lshlrev_b32_e32 v3, 4, v3
	v_add_lshl_u32 v3, v3, v6, 2
	ds_bpermute_b32 v5, v3, v5
	v_cndmask_b32_e64 v3, 0, 1, s0
	v_cmp_gt_u32_e64 s0, 28, v6
	s_delay_alu instid0(VALU_DEP_2) | instskip(NEXT) | instid1(VALU_DEP_1)
	v_lshlrev_b32_e32 v3, 3, v3
	v_add_lshl_u32 v3, v3, v6, 2
	s_waitcnt lgkmcnt(0)
	v_add_f16_e32 v4, v4, v5
	s_delay_alu instid0(VALU_DEP_1) | instskip(NEXT) | instid1(VALU_DEP_1)
	v_and_b32_e32 v7, 0xffff, v4
	v_and_or_b32 v5, 0xffff0000, v5, v7
	v_cndmask_b32_e64 v7, 0, 1, s0
	v_cmp_gt_u32_e64 s0, 30, v6
	ds_bpermute_b32 v5, v3, v5
	s_waitcnt lgkmcnt(0)
	v_add_f16_e32 v8, v4, v5
	v_lshlrev_b32_e32 v4, 2, v7
	s_delay_alu instid0(VALU_DEP_2) | instskip(NEXT) | instid1(VALU_DEP_2)
	v_and_b32_e32 v7, 0xffff, v8
	v_add_lshl_u32 v4, v4, v6, 2
	s_delay_alu instid0(VALU_DEP_2) | instskip(SKIP_3) | instid1(VALU_DEP_2)
	v_and_or_b32 v5, 0xffff0000, v5, v7
	ds_bpermute_b32 v7, v4, v5
	v_cndmask_b32_e64 v5, 0, 1, s0
	v_cmp_ne_u32_e64 s0, 31, v6
	v_lshlrev_b32_e32 v5, 1, v5
	s_delay_alu instid0(VALU_DEP_1) | instskip(NEXT) | instid1(VALU_DEP_3)
	v_add_lshl_u32 v5, v5, v6, 2
	v_add_co_ci_u32_e64 v6, s0, 0, v6, s0
	s_delay_alu instid0(VALU_DEP_1) | instskip(SKIP_2) | instid1(VALU_DEP_1)
	v_lshlrev_b32_e32 v6, 2, v6
	s_waitcnt lgkmcnt(0)
	v_add_f16_e32 v8, v8, v7
	v_and_b32_e32 v9, 0xffff, v8
	s_delay_alu instid0(VALU_DEP_1) | instskip(SKIP_3) | instid1(VALU_DEP_1)
	v_and_or_b32 v7, 0xffff0000, v7, v9
	ds_bpermute_b32 v9, v5, v7
	s_waitcnt lgkmcnt(0)
	v_add_f16_e32 v7, v8, v9
	v_and_b32_e32 v8, 0xffff, v7
	s_delay_alu instid0(VALU_DEP_1)
	v_and_or_b32 v8, 0xffff0000, v9, v8
	ds_bpermute_b32 v8, v6, v8
	v_cmpx_eq_u32_e32 0, v2
	s_cbranch_execz .LBB7_8
; %bb.7:
	v_lshrrev_b32_e32 v2, 4, v0
	s_waitcnt lgkmcnt(0)
	v_add_f16_e32 v7, v7, v8
	s_delay_alu instid0(VALU_DEP_2)
	v_and_b32_e32 v2, 30, v2
	ds_store_b16 v2, v7
.LBB7_8:
	s_or_b32 exec_lo, exec_lo, s1
	v_mov_b32_e32 v2, 0
	s_mov_b32 s1, exec_lo
	s_waitcnt lgkmcnt(0)
	s_barrier
	buffer_gl0_inv
	v_cmpx_gt_u32_e32 16, v0
	s_cbranch_execz .LBB7_10
; %bb.9:
	ds_load_u16 v2, v1
.LBB7_10:
	s_or_b32 exec_lo, exec_lo, s1
	s_and_saveexec_b32 s0, vcc_lo
	s_cbranch_execz .LBB7_12
; %bb.11:
	s_waitcnt lgkmcnt(0)
	v_and_b32_e32 v1, 0xffff, v2
	ds_bpermute_b32 v1, v3, v1
	s_waitcnt lgkmcnt(0)
	v_add_f16_e32 v2, v2, v1
	s_delay_alu instid0(VALU_DEP_1) | instskip(NEXT) | instid1(VALU_DEP_1)
	v_and_b32_e32 v3, 0xffff, v2
	v_and_or_b32 v1, 0xffff0000, v1, v3
	ds_bpermute_b32 v1, v4, v1
	s_waitcnt lgkmcnt(0)
	v_add_f16_e32 v2, v2, v1
	s_delay_alu instid0(VALU_DEP_1) | instskip(NEXT) | instid1(VALU_DEP_1)
	v_and_b32_e32 v3, 0xffff, v2
	v_and_or_b32 v1, 0xffff0000, v1, v3
	;; [unrolled: 6-line block ×3, first 2 shown]
	ds_bpermute_b32 v1, v6, v1
	s_waitcnt lgkmcnt(0)
	v_add_f16_e32 v2, v2, v1
.LBB7_12:
	s_or_b32 exec_lo, exec_lo, s0
	s_delay_alu instid0(SALU_CYCLE_1)
	s_mov_b32 s0, exec_lo
	v_cmpx_eq_u32_e32 0, v0
	s_cbranch_execz .LBB7_18
; %bb.13:
	s_cmp_lg_u32 s12, 1
	s_cbranch_scc0 .LBB7_15
; %bb.14:
	s_mul_hi_u32 s1, s12, s2
	s_mul_i32 s0, s12, s2
	s_mov_b32 s15, 0
	s_lshl_b64 s[0:1], s[0:1], 1
	s_delay_alu instid0(SALU_CYCLE_1) | instskip(SKIP_2) | instid1(SALU_CYCLE_1)
	s_add_u32 s4, s4, s0
	s_addc_u32 s5, s5, s1
	s_lshl_b64 s[0:1], s[14:15], 1
	s_add_u32 s0, s4, s0
	s_addc_u32 s1, s5, s1
	s_cbranch_execz .LBB7_16
	s_branch .LBB7_17
.LBB7_15:
                                        ; implicit-def: $sgpr0_sgpr1
.LBB7_16:
	s_lshl_b64 s[0:1], s[2:3], 1
	s_delay_alu instid0(SALU_CYCLE_1)
	s_add_u32 s0, s6, s0
	s_addc_u32 s1, s7, s1
.LBB7_17:
	v_mov_b32_e32 v0, 0
	s_waitcnt lgkmcnt(0)
	global_store_b16 v0, v2, s[0:1]
.LBB7_18:
	s_nop 0
	s_sendmsg sendmsg(MSG_DEALLOC_VGPRS)
	s_endpgm
	.section	.rodata,"a",@progbits
	.p2align	6, 0x0
	.amdhsa_kernel _ZL23rocblas_dot_kernel_inc1ILb0ELi512ELi8ELb0EDF16_PKDF16_DF16_EviT4_llS2_lliPT5_PT3_
		.amdhsa_group_segment_fixed_size 64
		.amdhsa_private_segment_fixed_size 0
		.amdhsa_kernarg_size 336
		.amdhsa_user_sgpr_count 14
		.amdhsa_user_sgpr_dispatch_ptr 0
		.amdhsa_user_sgpr_queue_ptr 0
		.amdhsa_user_sgpr_kernarg_segment_ptr 1
		.amdhsa_user_sgpr_dispatch_id 0
		.amdhsa_user_sgpr_private_segment_size 0
		.amdhsa_wavefront_size32 1
		.amdhsa_uses_dynamic_stack 0
		.amdhsa_enable_private_segment 0
		.amdhsa_system_sgpr_workgroup_id_x 1
		.amdhsa_system_sgpr_workgroup_id_y 0
		.amdhsa_system_sgpr_workgroup_id_z 1
		.amdhsa_system_sgpr_workgroup_info 0
		.amdhsa_system_vgpr_workitem_id 0
		.amdhsa_next_free_vgpr 10
		.amdhsa_next_free_sgpr 24
		.amdhsa_reserve_vcc 1
		.amdhsa_float_round_mode_32 0
		.amdhsa_float_round_mode_16_64 0
		.amdhsa_float_denorm_mode_32 3
		.amdhsa_float_denorm_mode_16_64 3
		.amdhsa_dx10_clamp 1
		.amdhsa_ieee_mode 1
		.amdhsa_fp16_overflow 0
		.amdhsa_workgroup_processor_mode 1
		.amdhsa_memory_ordered 1
		.amdhsa_forward_progress 0
		.amdhsa_shared_vgpr_count 0
		.amdhsa_exception_fp_ieee_invalid_op 0
		.amdhsa_exception_fp_denorm_src 0
		.amdhsa_exception_fp_ieee_div_zero 0
		.amdhsa_exception_fp_ieee_overflow 0
		.amdhsa_exception_fp_ieee_underflow 0
		.amdhsa_exception_fp_ieee_inexact 0
		.amdhsa_exception_int_div_zero 0
	.end_amdhsa_kernel
	.section	.text._ZL23rocblas_dot_kernel_inc1ILb0ELi512ELi8ELb0EDF16_PKDF16_DF16_EviT4_llS2_lliPT5_PT3_,"axG",@progbits,_ZL23rocblas_dot_kernel_inc1ILb0ELi512ELi8ELb0EDF16_PKDF16_DF16_EviT4_llS2_lliPT5_PT3_,comdat
.Lfunc_end7:
	.size	_ZL23rocblas_dot_kernel_inc1ILb0ELi512ELi8ELb0EDF16_PKDF16_DF16_EviT4_llS2_lliPT5_PT3_, .Lfunc_end7-_ZL23rocblas_dot_kernel_inc1ILb0ELi512ELi8ELb0EDF16_PKDF16_DF16_EviT4_llS2_lliPT5_PT3_
                                        ; -- End function
	.section	.AMDGPU.csdata,"",@progbits
; Kernel info:
; codeLenInByte = 1116
; NumSgprs: 26
; NumVgprs: 10
; ScratchSize: 0
; MemoryBound: 0
; FloatMode: 240
; IeeeMode: 1
; LDSByteSize: 64 bytes/workgroup (compile time only)
; SGPRBlocks: 3
; VGPRBlocks: 1
; NumSGPRsForWavesPerEU: 26
; NumVGPRsForWavesPerEU: 10
; Occupancy: 16
; WaveLimiterHint : 0
; COMPUTE_PGM_RSRC2:SCRATCH_EN: 0
; COMPUTE_PGM_RSRC2:USER_SGPR: 14
; COMPUTE_PGM_RSRC2:TRAP_HANDLER: 0
; COMPUTE_PGM_RSRC2:TGID_X_EN: 1
; COMPUTE_PGM_RSRC2:TGID_Y_EN: 0
; COMPUTE_PGM_RSRC2:TGID_Z_EN: 1
; COMPUTE_PGM_RSRC2:TIDIG_COMP_CNT: 0
	.section	.text._ZL18rocblas_dot_kernelIiLb0ELi512ELi8ELb0EDF16_PKDF16_DF16_EviT5_lT_lS2_lS3_liPT6_PT4_,"axG",@progbits,_ZL18rocblas_dot_kernelIiLb0ELi512ELi8ELb0EDF16_PKDF16_DF16_EviT5_lT_lS2_lS3_liPT6_PT4_,comdat
	.globl	_ZL18rocblas_dot_kernelIiLb0ELi512ELi8ELb0EDF16_PKDF16_DF16_EviT5_lT_lS2_lS3_liPT6_PT4_ ; -- Begin function _ZL18rocblas_dot_kernelIiLb0ELi512ELi8ELb0EDF16_PKDF16_DF16_EviT5_lT_lS2_lS3_liPT6_PT4_
	.p2align	8
	.type	_ZL18rocblas_dot_kernelIiLb0ELi512ELi8ELb0EDF16_PKDF16_DF16_EviT5_lT_lS2_lS3_liPT6_PT4_,@function
_ZL18rocblas_dot_kernelIiLb0ELi512ELi8ELb0EDF16_PKDF16_DF16_EviT5_lT_lS2_lS3_liPT6_PT4_: ; @_ZL18rocblas_dot_kernelIiLb0ELi512ELi8ELb0EDF16_PKDF16_DF16_EviT5_lT_lS2_lS3_liPT6_PT4_
; %bb.0:
	s_clause 0x2
	s_load_b32 s12, s[0:1], 0x60
	s_load_b32 s13, s[0:1], 0x0
	s_load_b128 s[4:7], s[0:1], 0x50
	v_lshl_or_b32 v1, s14, 9, v0
	v_mov_b32_e32 v6, 0
	s_mov_b32 s2, s15
	s_mov_b32 s3, 0
	s_mov_b32 s15, exec_lo
	s_waitcnt lgkmcnt(0)
	v_cmpx_gt_i32_e64 s13, v1
	s_cbranch_execz .LBB8_4
; %bb.1:
	s_clause 0x5
	s_load_b32 s17, s[0:1], 0x18
	s_load_b128 s[8:11], s[0:1], 0x20
	s_load_b128 s[20:23], s[0:1], 0x8
	s_load_b32 s26, s[0:1], 0x38
	s_load_b64 s[18:19], s[0:1], 0x40
	s_load_b64 s[0:1], s[0:1], 0x30
	s_lshl_b32 s16, s12, 9
	s_delay_alu instid0(SALU_CYCLE_1)
	v_add_nc_u32_e32 v5, s16, v1
	s_waitcnt lgkmcnt(0)
	v_mad_i64_i32 v[2:3], null, s17, v1, 0
	s_mul_i32 s9, s9, s2
	s_mul_hi_u32 s27, s8, s2
	v_mad_i64_i32 v[6:7], null, s26, v1, 0
	s_mul_i32 s8, s8, s2
	s_add_i32 s9, s27, s9
	s_lshl_b64 s[22:23], s[22:23], 1
	s_lshl_b64 s[8:9], s[8:9], 1
	s_add_u32 s20, s20, s22
	s_mul_hi_i32 s25, s17, s16
	s_mul_i32 s24, s17, s16
	s_mul_i32 s17, s19, s2
	s_mul_hi_u32 s19, s18, s2
	s_addc_u32 s21, s21, s23
	v_lshlrev_b64 v[1:2], 1, v[2:3]
	s_add_u32 s20, s20, s8
	s_mul_i32 s18, s18, s2
	s_addc_u32 s21, s21, s9
	s_add_i32 s19, s19, s17
	v_lshlrev_b64 v[3:4], 1, v[6:7]
	v_mov_b32_e32 v6, 0
	s_lshl_b64 s[0:1], s[0:1], 1
	s_lshl_b64 s[8:9], s[24:25], 1
	;; [unrolled: 1-line block ×3, first 2 shown]
	s_add_u32 s0, s10, s0
	v_add_co_u32 v1, vcc_lo, s20, v1
	s_addc_u32 s1, s11, s1
	s_add_u32 s0, s0, s18
	v_add_co_ci_u32_e32 v2, vcc_lo, s21, v2, vcc_lo
	s_addc_u32 s1, s1, s19
	v_add_co_u32 v3, vcc_lo, s0, v3
	v_add_co_ci_u32_e32 v4, vcc_lo, s1, v4, vcc_lo
	s_mul_hi_i32 s1, s26, s16
	s_mul_i32 s0, s26, s16
	s_mov_b32 s17, s3
	s_lshl_b64 s[10:11], s[0:1], 1
	s_mov_b32 s1, s3
	.p2align	6
.LBB8_2:                                ; =>This Inner Loop Header: Depth=1
	global_load_u16 v7, v[3:4], off
	global_load_u16 v8, v[1:2], off
	v_add_co_u32 v1, s0, v1, s8
	s_delay_alu instid0(VALU_DEP_1)
	v_add_co_ci_u32_e64 v2, s0, s9, v2, s0
	s_add_i32 s18, s17, 1
	v_cmp_le_i32_e32 vcc_lo, s13, v5
	v_add_co_u32 v3, s0, v3, s10
	s_cmp_gt_u32 s17, 6
	v_add_co_ci_u32_e64 v4, s0, s11, v4, s0
	s_cselect_b32 s0, -1, 0
	v_add_nc_u32_e32 v5, s16, v5
	s_or_b32 s0, s0, vcc_lo
	s_mov_b32 s17, s18
	s_and_b32 s0, exec_lo, s0
	s_delay_alu instid0(SALU_CYCLE_1)
	s_or_b32 s1, s0, s1
	s_waitcnt vmcnt(0)
	v_fmac_f16_e32 v6, v7, v8
	s_and_not1_b32 exec_lo, exec_lo, s1
	s_cbranch_execnz .LBB8_2
; %bb.3:
	s_or_b32 exec_lo, exec_lo, s1
.LBB8_4:
	s_delay_alu instid0(SALU_CYCLE_1) | instskip(SKIP_2) | instid1(VALU_DEP_2)
	s_or_b32 exec_lo, exec_lo, s15
	v_and_b32_e32 v2, 31, v0
	v_cmp_gt_u32_e32 vcc_lo, 32, v0
	v_lshlrev_b32_e32 v1, 1, v2
	s_and_saveexec_b32 s0, vcc_lo
	s_cbranch_execz .LBB8_6
; %bb.5:
	v_mov_b32_e32 v3, 0
	ds_store_b16 v1, v3
.LBB8_6:
	s_or_b32 exec_lo, exec_lo, s0
	v_mbcnt_lo_u32_b32 v8, -1, 0
	v_and_b32_e32 v4, 0xffff, v6
	s_mov_b32 s1, exec_lo
	s_waitcnt lgkmcnt(0)
	s_barrier
	v_cmp_gt_u32_e64 s0, 16, v8
	buffer_gl0_inv
	v_cndmask_b32_e64 v3, 0, 1, s0
	v_cmp_gt_u32_e64 s0, 24, v8
	s_delay_alu instid0(VALU_DEP_2) | instskip(NEXT) | instid1(VALU_DEP_1)
	v_lshlrev_b32_e32 v3, 4, v3
	v_add_lshl_u32 v3, v3, v8, 2
	ds_bpermute_b32 v4, v3, v4
	v_cndmask_b32_e64 v3, 0, 1, s0
	v_cmp_gt_u32_e64 s0, 28, v8
	s_delay_alu instid0(VALU_DEP_2) | instskip(NEXT) | instid1(VALU_DEP_1)
	v_lshlrev_b32_e32 v3, 3, v3
	v_add_lshl_u32 v3, v3, v8, 2
	s_waitcnt lgkmcnt(0)
	v_add_f16_e32 v5, v6, v4
	s_delay_alu instid0(VALU_DEP_1) | instskip(NEXT) | instid1(VALU_DEP_1)
	v_and_b32_e32 v6, 0xffff, v5
	v_and_or_b32 v4, 0xffff0000, v4, v6
	ds_bpermute_b32 v6, v3, v4
	v_cndmask_b32_e64 v4, 0, 1, s0
	v_cmp_gt_u32_e64 s0, 30, v8
	s_delay_alu instid0(VALU_DEP_2) | instskip(NEXT) | instid1(VALU_DEP_1)
	v_lshlrev_b32_e32 v4, 2, v4
	v_add_lshl_u32 v4, v4, v8, 2
	s_waitcnt lgkmcnt(0)
	v_add_f16_e32 v5, v5, v6
	s_delay_alu instid0(VALU_DEP_1) | instskip(NEXT) | instid1(VALU_DEP_1)
	v_and_b32_e32 v7, 0xffff, v5
	v_and_or_b32 v6, 0xffff0000, v6, v7
	v_cndmask_b32_e64 v7, 0, 1, s0
	v_cmp_ne_u32_e64 s0, 31, v8
	ds_bpermute_b32 v6, v4, v6
	s_waitcnt lgkmcnt(0)
	v_add_f16_e32 v9, v5, v6
	v_lshlrev_b32_e32 v5, 1, v7
	s_delay_alu instid0(VALU_DEP_2) | instskip(NEXT) | instid1(VALU_DEP_2)
	v_and_b32_e32 v7, 0xffff, v9
	v_add_lshl_u32 v5, v5, v8, 2
	v_add_co_ci_u32_e64 v8, s0, 0, v8, s0
	s_delay_alu instid0(VALU_DEP_3) | instskip(SKIP_3) | instid1(VALU_DEP_1)
	v_and_or_b32 v6, 0xffff0000, v6, v7
	ds_bpermute_b32 v6, v5, v6
	s_waitcnt lgkmcnt(0)
	v_add_f16_e32 v7, v9, v6
	v_and_b32_e32 v9, 0xffff, v7
	s_delay_alu instid0(VALU_DEP_1)
	v_and_or_b32 v9, 0xffff0000, v6, v9
	v_lshlrev_b32_e32 v6, 2, v8
	ds_bpermute_b32 v8, v6, v9
	v_cmpx_eq_u32_e32 0, v2
	s_cbranch_execz .LBB8_8
; %bb.7:
	v_lshrrev_b32_e32 v2, 4, v0
	s_waitcnt lgkmcnt(0)
	v_add_f16_e32 v7, v7, v8
	s_delay_alu instid0(VALU_DEP_2)
	v_and_b32_e32 v2, 30, v2
	ds_store_b16 v2, v7
.LBB8_8:
	s_or_b32 exec_lo, exec_lo, s1
	v_mov_b32_e32 v2, 0
	s_mov_b32 s1, exec_lo
	s_waitcnt lgkmcnt(0)
	s_barrier
	buffer_gl0_inv
	v_cmpx_gt_u32_e32 16, v0
	s_cbranch_execz .LBB8_10
; %bb.9:
	ds_load_u16 v2, v1
.LBB8_10:
	s_or_b32 exec_lo, exec_lo, s1
	s_and_saveexec_b32 s0, vcc_lo
	s_cbranch_execz .LBB8_12
; %bb.11:
	s_waitcnt lgkmcnt(0)
	v_and_b32_e32 v1, 0xffff, v2
	ds_bpermute_b32 v1, v3, v1
	s_waitcnt lgkmcnt(0)
	v_add_f16_e32 v2, v2, v1
	s_delay_alu instid0(VALU_DEP_1) | instskip(NEXT) | instid1(VALU_DEP_1)
	v_and_b32_e32 v3, 0xffff, v2
	v_and_or_b32 v1, 0xffff0000, v1, v3
	ds_bpermute_b32 v1, v4, v1
	s_waitcnt lgkmcnt(0)
	v_add_f16_e32 v2, v2, v1
	s_delay_alu instid0(VALU_DEP_1) | instskip(NEXT) | instid1(VALU_DEP_1)
	v_and_b32_e32 v3, 0xffff, v2
	v_and_or_b32 v1, 0xffff0000, v1, v3
	;; [unrolled: 6-line block ×3, first 2 shown]
	ds_bpermute_b32 v1, v6, v1
	s_waitcnt lgkmcnt(0)
	v_add_f16_e32 v2, v2, v1
.LBB8_12:
	s_or_b32 exec_lo, exec_lo, s0
	s_delay_alu instid0(SALU_CYCLE_1)
	s_mov_b32 s0, exec_lo
	v_cmpx_eq_u32_e32 0, v0
	s_cbranch_execz .LBB8_18
; %bb.13:
	s_cmp_lg_u32 s12, 1
	s_cbranch_scc0 .LBB8_15
; %bb.14:
	s_mul_hi_u32 s1, s12, s2
	s_mul_i32 s0, s12, s2
	s_mov_b32 s15, 0
	s_lshl_b64 s[0:1], s[0:1], 1
	s_delay_alu instid0(SALU_CYCLE_1) | instskip(SKIP_2) | instid1(SALU_CYCLE_1)
	s_add_u32 s4, s4, s0
	s_addc_u32 s5, s5, s1
	s_lshl_b64 s[0:1], s[14:15], 1
	s_add_u32 s0, s4, s0
	s_addc_u32 s1, s5, s1
	s_cbranch_execz .LBB8_16
	s_branch .LBB8_17
.LBB8_15:
                                        ; implicit-def: $sgpr0_sgpr1
.LBB8_16:
	s_lshl_b64 s[0:1], s[2:3], 1
	s_delay_alu instid0(SALU_CYCLE_1)
	s_add_u32 s0, s6, s0
	s_addc_u32 s1, s7, s1
.LBB8_17:
	v_mov_b32_e32 v0, 0
	s_waitcnt lgkmcnt(0)
	global_store_b16 v0, v2, s[0:1]
.LBB8_18:
	s_nop 0
	s_sendmsg sendmsg(MSG_DEALLOC_VGPRS)
	s_endpgm
	.section	.rodata,"a",@progbits
	.p2align	6, 0x0
	.amdhsa_kernel _ZL18rocblas_dot_kernelIiLb0ELi512ELi8ELb0EDF16_PKDF16_DF16_EviT5_lT_lS2_lS3_liPT6_PT4_
		.amdhsa_group_segment_fixed_size 64
		.amdhsa_private_segment_fixed_size 0
		.amdhsa_kernarg_size 352
		.amdhsa_user_sgpr_count 14
		.amdhsa_user_sgpr_dispatch_ptr 0
		.amdhsa_user_sgpr_queue_ptr 0
		.amdhsa_user_sgpr_kernarg_segment_ptr 1
		.amdhsa_user_sgpr_dispatch_id 0
		.amdhsa_user_sgpr_private_segment_size 0
		.amdhsa_wavefront_size32 1
		.amdhsa_uses_dynamic_stack 0
		.amdhsa_enable_private_segment 0
		.amdhsa_system_sgpr_workgroup_id_x 1
		.amdhsa_system_sgpr_workgroup_id_y 0
		.amdhsa_system_sgpr_workgroup_id_z 1
		.amdhsa_system_sgpr_workgroup_info 0
		.amdhsa_system_vgpr_workitem_id 0
		.amdhsa_next_free_vgpr 10
		.amdhsa_next_free_sgpr 28
		.amdhsa_reserve_vcc 1
		.amdhsa_float_round_mode_32 0
		.amdhsa_float_round_mode_16_64 0
		.amdhsa_float_denorm_mode_32 3
		.amdhsa_float_denorm_mode_16_64 3
		.amdhsa_dx10_clamp 1
		.amdhsa_ieee_mode 1
		.amdhsa_fp16_overflow 0
		.amdhsa_workgroup_processor_mode 1
		.amdhsa_memory_ordered 1
		.amdhsa_forward_progress 0
		.amdhsa_shared_vgpr_count 0
		.amdhsa_exception_fp_ieee_invalid_op 0
		.amdhsa_exception_fp_denorm_src 0
		.amdhsa_exception_fp_ieee_div_zero 0
		.amdhsa_exception_fp_ieee_overflow 0
		.amdhsa_exception_fp_ieee_underflow 0
		.amdhsa_exception_fp_ieee_inexact 0
		.amdhsa_exception_int_div_zero 0
	.end_amdhsa_kernel
	.section	.text._ZL18rocblas_dot_kernelIiLb0ELi512ELi8ELb0EDF16_PKDF16_DF16_EviT5_lT_lS2_lS3_liPT6_PT4_,"axG",@progbits,_ZL18rocblas_dot_kernelIiLb0ELi512ELi8ELb0EDF16_PKDF16_DF16_EviT5_lT_lS2_lS3_liPT6_PT4_,comdat
.Lfunc_end8:
	.size	_ZL18rocblas_dot_kernelIiLb0ELi512ELi8ELb0EDF16_PKDF16_DF16_EviT5_lT_lS2_lS3_liPT6_PT4_, .Lfunc_end8-_ZL18rocblas_dot_kernelIiLb0ELi512ELi8ELb0EDF16_PKDF16_DF16_EviT5_lT_lS2_lS3_liPT6_PT4_
                                        ; -- End function
	.section	.AMDGPU.csdata,"",@progbits
; Kernel info:
; codeLenInByte = 1176
; NumSgprs: 30
; NumVgprs: 10
; ScratchSize: 0
; MemoryBound: 0
; FloatMode: 240
; IeeeMode: 1
; LDSByteSize: 64 bytes/workgroup (compile time only)
; SGPRBlocks: 3
; VGPRBlocks: 1
; NumSGPRsForWavesPerEU: 30
; NumVGPRsForWavesPerEU: 10
; Occupancy: 16
; WaveLimiterHint : 0
; COMPUTE_PGM_RSRC2:SCRATCH_EN: 0
; COMPUTE_PGM_RSRC2:USER_SGPR: 14
; COMPUTE_PGM_RSRC2:TRAP_HANDLER: 0
; COMPUTE_PGM_RSRC2:TGID_X_EN: 1
; COMPUTE_PGM_RSRC2:TGID_Y_EN: 0
; COMPUTE_PGM_RSRC2:TGID_Z_EN: 1
; COMPUTE_PGM_RSRC2:TIDIG_COMP_CNT: 0
	.section	.text._ZL24rocblas_dot_kernel_magsqIiLb0ELi512ELi8ELb0EDF16_PKDF16_DF16_EviT5_lT_liPT6_PT4_,"axG",@progbits,_ZL24rocblas_dot_kernel_magsqIiLb0ELi512ELi8ELb0EDF16_PKDF16_DF16_EviT5_lT_liPT6_PT4_,comdat
	.globl	_ZL24rocblas_dot_kernel_magsqIiLb0ELi512ELi8ELb0EDF16_PKDF16_DF16_EviT5_lT_liPT6_PT4_ ; -- Begin function _ZL24rocblas_dot_kernel_magsqIiLb0ELi512ELi8ELb0EDF16_PKDF16_DF16_EviT5_lT_liPT6_PT4_
	.p2align	8
	.type	_ZL24rocblas_dot_kernel_magsqIiLb0ELi512ELi8ELb0EDF16_PKDF16_DF16_EviT5_lT_liPT6_PT4_,@function
_ZL24rocblas_dot_kernel_magsqIiLb0ELi512ELi8ELb0EDF16_PKDF16_DF16_EviT5_lT_liPT6_PT4_: ; @_ZL24rocblas_dot_kernel_magsqIiLb0ELi512ELi8ELb0EDF16_PKDF16_DF16_EviT5_lT_liPT6_PT4_
; %bb.0:
	s_clause 0x2
	s_load_b32 s11, s[0:1], 0x0
	s_load_b128 s[4:7], s[0:1], 0x30
	s_load_b32 s10, s[0:1], 0x40
	v_lshl_or_b32 v1, s14, 9, v0
	v_mov_b32_e32 v3, 0
	s_mov_b32 s2, s15
	s_mov_b32 s3, 0
	s_mov_b32 s12, exec_lo
	s_waitcnt lgkmcnt(0)
	v_cmpx_gt_i32_e64 s11, v1
	s_cbranch_execz .LBB9_4
; %bb.1:
	s_clause 0x2
	s_load_b32 s13, s[0:1], 0x18
	s_load_b64 s[8:9], s[0:1], 0x20
	s_load_b128 s[16:19], s[0:1], 0x8
	s_lshl_b32 s1, s10, 9
	s_mov_b32 s15, s3
	v_add_nc_u32_e32 v4, s1, v1
	s_waitcnt lgkmcnt(0)
	v_mad_i64_i32 v[2:3], null, s13, v1, 0
	s_mul_i32 s0, s9, s2
	s_mul_hi_u32 s9, s8, s2
	s_mul_i32 s8, s8, s2
	s_add_i32 s9, s9, s0
	s_lshl_b64 s[18:19], s[18:19], 1
	s_lshl_b64 s[8:9], s[8:9], 1
	s_delay_alu instid0(VALU_DEP_1)
	v_lshlrev_b64 v[1:2], 1, v[2:3]
	v_mov_b32_e32 v3, 0
	s_add_u32 s0, s16, s18
	s_mul_hi_i32 s21, s13, s1
	s_mul_i32 s20, s13, s1
	s_addc_u32 s13, s17, s19
	s_add_u32 s0, s0, s8
	s_addc_u32 s8, s13, s9
	v_add_co_u32 v1, vcc_lo, s0, v1
	v_add_co_ci_u32_e32 v2, vcc_lo, s8, v2, vcc_lo
	s_lshl_b64 s[8:9], s[20:21], 1
	s_mov_b32 s13, s3
	.p2align	6
.LBB9_2:                                ; =>This Inner Loop Header: Depth=1
	global_load_u16 v5, v[1:2], off
	s_add_i32 s16, s15, 1
	v_cmp_le_i32_e32 vcc_lo, s11, v4
	v_add_co_u32 v1, s0, v1, s8
	s_cmp_gt_u32 s15, 6
	v_add_co_ci_u32_e64 v2, s0, s9, v2, s0
	s_cselect_b32 s0, -1, 0
	v_add_nc_u32_e32 v4, s1, v4
	s_or_b32 s0, s0, vcc_lo
	s_mov_b32 s15, s16
	s_and_b32 s0, exec_lo, s0
	s_delay_alu instid0(SALU_CYCLE_1)
	s_or_b32 s13, s0, s13
	s_waitcnt vmcnt(0)
	v_fmac_f16_e32 v3, v5, v5
	s_and_not1_b32 exec_lo, exec_lo, s13
	s_cbranch_execnz .LBB9_2
; %bb.3:
	s_or_b32 exec_lo, exec_lo, s13
.LBB9_4:
	s_delay_alu instid0(SALU_CYCLE_1) | instskip(SKIP_2) | instid1(VALU_DEP_2)
	s_or_b32 exec_lo, exec_lo, s12
	v_and_b32_e32 v2, 31, v0
	v_cmp_gt_u32_e32 vcc_lo, 32, v0
	v_lshlrev_b32_e32 v1, 1, v2
	s_and_saveexec_b32 s0, vcc_lo
	s_cbranch_execz .LBB9_6
; %bb.5:
	v_mov_b32_e32 v4, 0
	ds_store_b16 v1, v4
.LBB9_6:
	s_or_b32 exec_lo, exec_lo, s0
	v_mbcnt_lo_u32_b32 v6, -1, 0
	v_and_b32_e32 v5, 0xffff, v3
	s_mov_b32 s1, exec_lo
	s_waitcnt lgkmcnt(0)
	s_barrier
	v_cmp_gt_u32_e64 s0, 16, v6
	buffer_gl0_inv
	v_cndmask_b32_e64 v4, 0, 1, s0
	v_cmp_gt_u32_e64 s0, 24, v6
	s_delay_alu instid0(VALU_DEP_2) | instskip(NEXT) | instid1(VALU_DEP_1)
	v_lshlrev_b32_e32 v4, 4, v4
	v_add_lshl_u32 v4, v4, v6, 2
	ds_bpermute_b32 v4, v4, v5
	v_cndmask_b32_e64 v5, 0, 1, s0
	v_cmp_gt_u32_e64 s0, 28, v6
	s_waitcnt lgkmcnt(0)
	v_add_f16_e32 v7, v3, v4
	s_delay_alu instid0(VALU_DEP_3) | instskip(NEXT) | instid1(VALU_DEP_2)
	v_lshlrev_b32_e32 v3, 3, v5
	v_and_b32_e32 v5, 0xffff, v7
	s_delay_alu instid0(VALU_DEP_2) | instskip(NEXT) | instid1(VALU_DEP_2)
	v_add_lshl_u32 v3, v3, v6, 2
	v_and_or_b32 v4, 0xffff0000, v4, v5
	ds_bpermute_b32 v5, v3, v4
	v_cndmask_b32_e64 v4, 0, 1, s0
	v_cmp_gt_u32_e64 s0, 30, v6
	s_delay_alu instid0(VALU_DEP_2) | instskip(NEXT) | instid1(VALU_DEP_1)
	v_lshlrev_b32_e32 v4, 2, v4
	v_add_lshl_u32 v4, v4, v6, 2
	s_waitcnt lgkmcnt(0)
	v_add_f16_e32 v7, v7, v5
	s_delay_alu instid0(VALU_DEP_1) | instskip(NEXT) | instid1(VALU_DEP_1)
	v_and_b32_e32 v8, 0xffff, v7
	v_and_or_b32 v5, 0xffff0000, v5, v8
	ds_bpermute_b32 v8, v4, v5
	v_cndmask_b32_e64 v5, 0, 1, s0
	v_cmp_ne_u32_e64 s0, 31, v6
	s_delay_alu instid0(VALU_DEP_2) | instskip(NEXT) | instid1(VALU_DEP_1)
	v_lshlrev_b32_e32 v5, 1, v5
	v_add_lshl_u32 v5, v5, v6, 2
	s_delay_alu instid0(VALU_DEP_3) | instskip(NEXT) | instid1(VALU_DEP_1)
	v_add_co_ci_u32_e64 v6, s0, 0, v6, s0
	v_lshlrev_b32_e32 v6, 2, v6
	s_waitcnt lgkmcnt(0)
	v_add_f16_e32 v7, v7, v8
	s_delay_alu instid0(VALU_DEP_1) | instskip(NEXT) | instid1(VALU_DEP_1)
	v_and_b32_e32 v9, 0xffff, v7
	v_and_or_b32 v8, 0xffff0000, v8, v9
	ds_bpermute_b32 v8, v5, v8
	s_waitcnt lgkmcnt(0)
	v_add_f16_e32 v7, v7, v8
	s_delay_alu instid0(VALU_DEP_1) | instskip(NEXT) | instid1(VALU_DEP_1)
	v_and_b32_e32 v9, 0xffff, v7
	v_and_or_b32 v8, 0xffff0000, v8, v9
	ds_bpermute_b32 v8, v6, v8
	v_cmpx_eq_u32_e32 0, v2
	s_cbranch_execz .LBB9_8
; %bb.7:
	v_lshrrev_b32_e32 v2, 4, v0
	s_waitcnt lgkmcnt(0)
	v_add_f16_e32 v7, v7, v8
	s_delay_alu instid0(VALU_DEP_2)
	v_and_b32_e32 v2, 30, v2
	ds_store_b16 v2, v7
.LBB9_8:
	s_or_b32 exec_lo, exec_lo, s1
	v_mov_b32_e32 v2, 0
	s_mov_b32 s1, exec_lo
	s_waitcnt lgkmcnt(0)
	s_barrier
	buffer_gl0_inv
	v_cmpx_gt_u32_e32 16, v0
	s_cbranch_execz .LBB9_10
; %bb.9:
	ds_load_u16 v2, v1
.LBB9_10:
	s_or_b32 exec_lo, exec_lo, s1
	s_and_saveexec_b32 s0, vcc_lo
	s_cbranch_execz .LBB9_12
; %bb.11:
	s_waitcnt lgkmcnt(0)
	v_and_b32_e32 v1, 0xffff, v2
	ds_bpermute_b32 v1, v3, v1
	s_waitcnt lgkmcnt(0)
	v_add_f16_e32 v2, v2, v1
	s_delay_alu instid0(VALU_DEP_1) | instskip(NEXT) | instid1(VALU_DEP_1)
	v_and_b32_e32 v3, 0xffff, v2
	v_and_or_b32 v1, 0xffff0000, v1, v3
	ds_bpermute_b32 v1, v4, v1
	s_waitcnt lgkmcnt(0)
	v_add_f16_e32 v2, v2, v1
	s_delay_alu instid0(VALU_DEP_1) | instskip(NEXT) | instid1(VALU_DEP_1)
	v_and_b32_e32 v3, 0xffff, v2
	v_and_or_b32 v1, 0xffff0000, v1, v3
	;; [unrolled: 6-line block ×3, first 2 shown]
	ds_bpermute_b32 v1, v6, v1
	s_waitcnt lgkmcnt(0)
	v_add_f16_e32 v2, v2, v1
.LBB9_12:
	s_or_b32 exec_lo, exec_lo, s0
	s_delay_alu instid0(SALU_CYCLE_1)
	s_mov_b32 s0, exec_lo
	v_cmpx_eq_u32_e32 0, v0
	s_cbranch_execz .LBB9_18
; %bb.13:
	s_cmp_lg_u32 s10, 1
	s_cbranch_scc0 .LBB9_15
; %bb.14:
	s_mul_hi_u32 s1, s10, s2
	s_mul_i32 s0, s10, s2
	s_mov_b32 s15, 0
	s_lshl_b64 s[0:1], s[0:1], 1
	s_delay_alu instid0(SALU_CYCLE_1) | instskip(SKIP_2) | instid1(SALU_CYCLE_1)
	s_add_u32 s4, s4, s0
	s_addc_u32 s5, s5, s1
	s_lshl_b64 s[0:1], s[14:15], 1
	s_add_u32 s0, s4, s0
	s_addc_u32 s1, s5, s1
	s_cbranch_execz .LBB9_16
	s_branch .LBB9_17
.LBB9_15:
                                        ; implicit-def: $sgpr0_sgpr1
.LBB9_16:
	s_lshl_b64 s[0:1], s[2:3], 1
	s_delay_alu instid0(SALU_CYCLE_1)
	s_add_u32 s0, s6, s0
	s_addc_u32 s1, s7, s1
.LBB9_17:
	v_mov_b32_e32 v0, 0
	s_waitcnt lgkmcnt(0)
	global_store_b16 v0, v2, s[0:1]
.LBB9_18:
	s_nop 0
	s_sendmsg sendmsg(MSG_DEALLOC_VGPRS)
	s_endpgm
	.section	.rodata,"a",@progbits
	.p2align	6, 0x0
	.amdhsa_kernel _ZL24rocblas_dot_kernel_magsqIiLb0ELi512ELi8ELb0EDF16_PKDF16_DF16_EviT5_lT_liPT6_PT4_
		.amdhsa_group_segment_fixed_size 64
		.amdhsa_private_segment_fixed_size 0
		.amdhsa_kernarg_size 320
		.amdhsa_user_sgpr_count 14
		.amdhsa_user_sgpr_dispatch_ptr 0
		.amdhsa_user_sgpr_queue_ptr 0
		.amdhsa_user_sgpr_kernarg_segment_ptr 1
		.amdhsa_user_sgpr_dispatch_id 0
		.amdhsa_user_sgpr_private_segment_size 0
		.amdhsa_wavefront_size32 1
		.amdhsa_uses_dynamic_stack 0
		.amdhsa_enable_private_segment 0
		.amdhsa_system_sgpr_workgroup_id_x 1
		.amdhsa_system_sgpr_workgroup_id_y 0
		.amdhsa_system_sgpr_workgroup_id_z 1
		.amdhsa_system_sgpr_workgroup_info 0
		.amdhsa_system_vgpr_workitem_id 0
		.amdhsa_next_free_vgpr 10
		.amdhsa_next_free_sgpr 22
		.amdhsa_reserve_vcc 1
		.amdhsa_float_round_mode_32 0
		.amdhsa_float_round_mode_16_64 0
		.amdhsa_float_denorm_mode_32 3
		.amdhsa_float_denorm_mode_16_64 3
		.amdhsa_dx10_clamp 1
		.amdhsa_ieee_mode 1
		.amdhsa_fp16_overflow 0
		.amdhsa_workgroup_processor_mode 1
		.amdhsa_memory_ordered 1
		.amdhsa_forward_progress 0
		.amdhsa_shared_vgpr_count 0
		.amdhsa_exception_fp_ieee_invalid_op 0
		.amdhsa_exception_fp_denorm_src 0
		.amdhsa_exception_fp_ieee_div_zero 0
		.amdhsa_exception_fp_ieee_overflow 0
		.amdhsa_exception_fp_ieee_underflow 0
		.amdhsa_exception_fp_ieee_inexact 0
		.amdhsa_exception_int_div_zero 0
	.end_amdhsa_kernel
	.section	.text._ZL24rocblas_dot_kernel_magsqIiLb0ELi512ELi8ELb0EDF16_PKDF16_DF16_EviT5_lT_liPT6_PT4_,"axG",@progbits,_ZL24rocblas_dot_kernel_magsqIiLb0ELi512ELi8ELb0EDF16_PKDF16_DF16_EviT5_lT_liPT6_PT4_,comdat
.Lfunc_end9:
	.size	_ZL24rocblas_dot_kernel_magsqIiLb0ELi512ELi8ELb0EDF16_PKDF16_DF16_EviT5_lT_liPT6_PT4_, .Lfunc_end9-_ZL24rocblas_dot_kernel_magsqIiLb0ELi512ELi8ELb0EDF16_PKDF16_DF16_EviT5_lT_liPT6_PT4_
                                        ; -- End function
	.section	.AMDGPU.csdata,"",@progbits
; Kernel info:
; codeLenInByte = 1048
; NumSgprs: 24
; NumVgprs: 10
; ScratchSize: 0
; MemoryBound: 0
; FloatMode: 240
; IeeeMode: 1
; LDSByteSize: 64 bytes/workgroup (compile time only)
; SGPRBlocks: 2
; VGPRBlocks: 1
; NumSGPRsForWavesPerEU: 24
; NumVGPRsForWavesPerEU: 10
; Occupancy: 16
; WaveLimiterHint : 0
; COMPUTE_PGM_RSRC2:SCRATCH_EN: 0
; COMPUTE_PGM_RSRC2:USER_SGPR: 14
; COMPUTE_PGM_RSRC2:TRAP_HANDLER: 0
; COMPUTE_PGM_RSRC2:TGID_X_EN: 1
; COMPUTE_PGM_RSRC2:TGID_Y_EN: 0
; COMPUTE_PGM_RSRC2:TGID_Z_EN: 1
; COMPUTE_PGM_RSRC2:TIDIG_COMP_CNT: 0
	.section	.text._ZL28rocblas_dot_batched_4_kernelIlLi32ELi4ELb0EDF16_DF16_PKDF16_EviT5_lT_lS2_lS3_liPT4_,"axG",@progbits,_ZL28rocblas_dot_batched_4_kernelIlLi32ELi4ELb0EDF16_DF16_PKDF16_EviT5_lT_lS2_lS3_liPT4_,comdat
	.globl	_ZL28rocblas_dot_batched_4_kernelIlLi32ELi4ELb0EDF16_DF16_PKDF16_EviT5_lT_lS2_lS3_liPT4_ ; -- Begin function _ZL28rocblas_dot_batched_4_kernelIlLi32ELi4ELb0EDF16_DF16_PKDF16_EviT5_lT_lS2_lS3_liPT4_
	.p2align	8
	.type	_ZL28rocblas_dot_batched_4_kernelIlLi32ELi4ELb0EDF16_DF16_PKDF16_EviT5_lT_lS2_lS3_liPT4_,@function
_ZL28rocblas_dot_batched_4_kernelIlLi32ELi4ELb0EDF16_DF16_PKDF16_EviT5_lT_lS2_lS3_liPT4_: ; @_ZL28rocblas_dot_batched_4_kernelIlLi32ELi4ELb0EDF16_DF16_PKDF16_EviT5_lT_lS2_lS3_liPT4_
; %bb.0:
	s_load_b32 s2, s[0:1], 0x48
	v_bfe_u32 v1, v0, 10, 10
	s_delay_alu instid0(VALU_DEP_1) | instskip(SKIP_1) | instid1(VALU_DEP_1)
	v_lshl_add_u32 v1, s15, 2, v1
	s_waitcnt lgkmcnt(0)
	v_cmp_gt_u32_e32 vcc_lo, s2, v1
	s_and_saveexec_b32 s2, vcc_lo
	s_cbranch_execz .LBB10_7
; %bb.1:
	s_clause 0x1
	s_load_b32 s16, s[0:1], 0x0
	s_load_b64 s[2:3], s[0:1], 0x50
	v_mov_b32_e32 v2, 0
	v_and_b32_e32 v0, 0x3ff, v0
	s_mov_b32 s17, exec_lo
	s_delay_alu instid0(VALU_DEP_2) | instskip(SKIP_1) | instid1(VALU_DEP_2)
	v_mov_b32_e32 v7, v2
	s_waitcnt lgkmcnt(0)
	v_cmpx_gt_i32_e64 s16, v0
	s_cbranch_execz .LBB10_5
; %bb.2:
	s_clause 0x3
	s_load_b128 s[12:15], s[0:1], 0x10
	s_load_b256 s[4:11], s[0:1], 0x20
	s_load_b64 s[18:19], s[0:1], 0x40
	s_load_b64 s[0:1], s[0:1], 0x8
	s_waitcnt lgkmcnt(0)
	v_mad_u64_u32 v[3:4], null, s14, v0, 0
	v_mad_u64_u32 v[5:6], null, s4, v1, 0
	;; [unrolled: 1-line block ×4, first 2 shown]
	s_lshl_b64 s[12:13], s[12:13], 1
	s_delay_alu instid0(VALU_DEP_3) | instskip(SKIP_4) | instid1(VALU_DEP_2)
	v_mad_u64_u32 v[12:13], null, s15, v0, v[4:5]
	v_mov_b32_e32 v7, 0
	s_add_u32 s12, s0, s12
	s_addc_u32 s13, s1, s13
	s_lshl_b64 s[0:1], s[8:9], 1
	v_mov_b32_e32 v4, v12
	v_mad_u64_u32 v[13:14], null, s5, v1, v[6:7]
	v_mad_u64_u32 v[14:15], null, s11, v0, v[9:10]
	;; [unrolled: 1-line block ×3, first 2 shown]
	s_delay_alu instid0(VALU_DEP_4) | instskip(SKIP_1) | instid1(VALU_DEP_4)
	v_lshlrev_b64 v[3:4], 1, v[3:4]
	s_lshl_b64 s[4:5], s[14:15], 6
	v_mov_b32_e32 v6, v13
	s_add_u32 s0, s6, s0
	s_delay_alu instid0(VALU_DEP_4) | instskip(SKIP_1) | instid1(VALU_DEP_4)
	v_mov_b32_e32 v9, v14
	s_addc_u32 s1, s7, s1
	v_mov_b32_e32 v11, v15
	v_lshlrev_b64 v[5:6], 1, v[5:6]
	s_lshl_b64 s[6:7], s[10:11], 6
	v_lshlrev_b64 v[8:9], 1, v[8:9]
	s_delay_alu instid0(VALU_DEP_3) | instskip(NEXT) | instid1(VALU_DEP_3)
	v_lshlrev_b64 v[10:11], 1, v[10:11]
	v_add_co_u32 v3, vcc_lo, v3, v5
	s_delay_alu instid0(VALU_DEP_4) | instskip(NEXT) | instid1(VALU_DEP_3)
	v_add_co_ci_u32_e32 v4, vcc_lo, v4, v6, vcc_lo
	v_add_co_u32 v5, vcc_lo, v8, v10
	v_mov_b32_e32 v8, v0
	v_add_co_ci_u32_e32 v6, vcc_lo, v9, v11, vcc_lo
	v_add_co_u32 v3, vcc_lo, s12, v3
	v_add_co_ci_u32_e32 v4, vcc_lo, s13, v4, vcc_lo
	v_add_co_u32 v5, vcc_lo, s0, v5
	s_delay_alu instid0(VALU_DEP_4)
	v_add_co_ci_u32_e32 v6, vcc_lo, s1, v6, vcc_lo
	s_mov_b32 s1, 0
	.p2align	6
.LBB10_3:                               ; =>This Inner Loop Header: Depth=1
	global_load_u16 v9, v[3:4], off
	global_load_u16 v10, v[5:6], off
	v_add_nc_u32_e32 v8, 32, v8
	v_add_co_u32 v3, vcc_lo, v3, s4
	v_add_co_ci_u32_e32 v4, vcc_lo, s5, v4, vcc_lo
	v_add_co_u32 v5, vcc_lo, v5, s6
	s_delay_alu instid0(VALU_DEP_4) | instskip(SKIP_1) | instid1(VALU_DEP_2)
	v_cmp_le_i32_e64 s0, s16, v8
	v_add_co_ci_u32_e32 v6, vcc_lo, s7, v6, vcc_lo
	s_or_b32 s1, s0, s1
	s_waitcnt vmcnt(0)
	v_fmac_f16_e32 v7, v9, v10
	s_and_not1_b32 exec_lo, exec_lo, s1
	s_cbranch_execnz .LBB10_3
; %bb.4:
	s_or_b32 exec_lo, exec_lo, s1
.LBB10_5:
	s_delay_alu instid0(SALU_CYCLE_1)
	s_or_b32 exec_lo, exec_lo, s17
	v_mbcnt_lo_u32_b32 v4, -1, 0
	v_and_b32_e32 v5, 0xffff, v7
	s_barrier
	buffer_gl0_inv
	v_cmp_gt_u32_e32 vcc_lo, 16, v4
	v_cndmask_b32_e64 v3, 0, 1, vcc_lo
	v_cmp_gt_u32_e32 vcc_lo, 24, v4
	s_delay_alu instid0(VALU_DEP_2) | instskip(NEXT) | instid1(VALU_DEP_1)
	v_lshlrev_b32_e32 v3, 4, v3
	v_add_lshl_u32 v3, v3, v4, 2
	ds_bpermute_b32 v3, v3, v5
	v_cndmask_b32_e64 v5, 0, 1, vcc_lo
	v_cmp_gt_u32_e32 vcc_lo, 28, v4
	s_delay_alu instid0(VALU_DEP_2) | instskip(NEXT) | instid1(VALU_DEP_1)
	v_lshlrev_b32_e32 v5, 3, v5
	v_add_lshl_u32 v5, v5, v4, 2
	s_waitcnt lgkmcnt(0)
	v_add_f16_e32 v6, v7, v3
	s_delay_alu instid0(VALU_DEP_1) | instskip(NEXT) | instid1(VALU_DEP_1)
	v_and_b32_e32 v7, 0xffff, v6
	v_and_or_b32 v3, 0xffff0000, v3, v7
	ds_bpermute_b32 v3, v5, v3
	v_cndmask_b32_e64 v5, 0, 1, vcc_lo
	v_cmp_gt_u32_e32 vcc_lo, 30, v4
	s_delay_alu instid0(VALU_DEP_2) | instskip(NEXT) | instid1(VALU_DEP_1)
	v_lshlrev_b32_e32 v5, 2, v5
	v_add_lshl_u32 v5, v5, v4, 2
	s_waitcnt lgkmcnt(0)
	v_add_f16_e32 v6, v6, v3
	s_delay_alu instid0(VALU_DEP_1) | instskip(NEXT) | instid1(VALU_DEP_1)
	v_and_b32_e32 v7, 0xffff, v6
	v_and_or_b32 v3, 0xffff0000, v3, v7
	ds_bpermute_b32 v3, v5, v3
	v_cndmask_b32_e64 v5, 0, 1, vcc_lo
	v_cmp_ne_u32_e32 vcc_lo, 31, v4
	s_delay_alu instid0(VALU_DEP_2) | instskip(NEXT) | instid1(VALU_DEP_1)
	v_lshlrev_b32_e32 v5, 1, v5
	v_add_lshl_u32 v5, v5, v4, 2
	v_add_co_ci_u32_e32 v4, vcc_lo, 0, v4, vcc_lo
	v_cmp_eq_u32_e32 vcc_lo, 0, v0
	s_delay_alu instid0(VALU_DEP_2) | instskip(SKIP_2) | instid1(VALU_DEP_1)
	v_lshlrev_b32_e32 v4, 2, v4
	s_waitcnt lgkmcnt(0)
	v_add_f16_e32 v6, v6, v3
	v_and_b32_e32 v7, 0xffff, v6
	s_delay_alu instid0(VALU_DEP_1) | instskip(SKIP_3) | instid1(VALU_DEP_1)
	v_and_or_b32 v3, 0xffff0000, v3, v7
	ds_bpermute_b32 v5, v5, v3
	s_waitcnt lgkmcnt(0)
	v_add_f16_e32 v3, v6, v5
	v_and_b32_e32 v6, 0xffff, v3
	s_delay_alu instid0(VALU_DEP_1)
	v_and_or_b32 v5, 0xffff0000, v5, v6
	ds_bpermute_b32 v4, v4, v5
	s_and_b32 exec_lo, exec_lo, vcc_lo
	s_cbranch_execz .LBB10_7
; %bb.6:
	v_lshlrev_b64 v[0:1], 1, v[1:2]
	s_waitcnt lgkmcnt(0)
	v_add_f16_e32 v2, v3, v4
	s_delay_alu instid0(VALU_DEP_2) | instskip(NEXT) | instid1(VALU_DEP_3)
	v_add_co_u32 v0, vcc_lo, s2, v0
	v_add_co_ci_u32_e32 v1, vcc_lo, s3, v1, vcc_lo
	global_store_b16 v[0:1], v2, off
.LBB10_7:
	s_nop 0
	s_sendmsg sendmsg(MSG_DEALLOC_VGPRS)
	s_endpgm
	.section	.rodata,"a",@progbits
	.p2align	6, 0x0
	.amdhsa_kernel _ZL28rocblas_dot_batched_4_kernelIlLi32ELi4ELb0EDF16_DF16_PKDF16_EviT5_lT_lS2_lS3_liPT4_
		.amdhsa_group_segment_fixed_size 0
		.amdhsa_private_segment_fixed_size 0
		.amdhsa_kernarg_size 88
		.amdhsa_user_sgpr_count 15
		.amdhsa_user_sgpr_dispatch_ptr 0
		.amdhsa_user_sgpr_queue_ptr 0
		.amdhsa_user_sgpr_kernarg_segment_ptr 1
		.amdhsa_user_sgpr_dispatch_id 0
		.amdhsa_user_sgpr_private_segment_size 0
		.amdhsa_wavefront_size32 1
		.amdhsa_uses_dynamic_stack 0
		.amdhsa_enable_private_segment 0
		.amdhsa_system_sgpr_workgroup_id_x 1
		.amdhsa_system_sgpr_workgroup_id_y 0
		.amdhsa_system_sgpr_workgroup_id_z 0
		.amdhsa_system_sgpr_workgroup_info 0
		.amdhsa_system_vgpr_workitem_id 1
		.amdhsa_next_free_vgpr 17
		.amdhsa_next_free_sgpr 20
		.amdhsa_reserve_vcc 1
		.amdhsa_float_round_mode_32 0
		.amdhsa_float_round_mode_16_64 0
		.amdhsa_float_denorm_mode_32 3
		.amdhsa_float_denorm_mode_16_64 3
		.amdhsa_dx10_clamp 1
		.amdhsa_ieee_mode 1
		.amdhsa_fp16_overflow 0
		.amdhsa_workgroup_processor_mode 1
		.amdhsa_memory_ordered 1
		.amdhsa_forward_progress 0
		.amdhsa_shared_vgpr_count 0
		.amdhsa_exception_fp_ieee_invalid_op 0
		.amdhsa_exception_fp_denorm_src 0
		.amdhsa_exception_fp_ieee_div_zero 0
		.amdhsa_exception_fp_ieee_overflow 0
		.amdhsa_exception_fp_ieee_underflow 0
		.amdhsa_exception_fp_ieee_inexact 0
		.amdhsa_exception_int_div_zero 0
	.end_amdhsa_kernel
	.section	.text._ZL28rocblas_dot_batched_4_kernelIlLi32ELi4ELb0EDF16_DF16_PKDF16_EviT5_lT_lS2_lS3_liPT4_,"axG",@progbits,_ZL28rocblas_dot_batched_4_kernelIlLi32ELi4ELb0EDF16_DF16_PKDF16_EviT5_lT_lS2_lS3_liPT4_,comdat
.Lfunc_end10:
	.size	_ZL28rocblas_dot_batched_4_kernelIlLi32ELi4ELb0EDF16_DF16_PKDF16_EviT5_lT_lS2_lS3_liPT4_, .Lfunc_end10-_ZL28rocblas_dot_batched_4_kernelIlLi32ELi4ELb0EDF16_DF16_PKDF16_EviT5_lT_lS2_lS3_liPT4_
                                        ; -- End function
	.section	.AMDGPU.csdata,"",@progbits
; Kernel info:
; codeLenInByte = 848
; NumSgprs: 22
; NumVgprs: 17
; ScratchSize: 0
; MemoryBound: 0
; FloatMode: 240
; IeeeMode: 1
; LDSByteSize: 0 bytes/workgroup (compile time only)
; SGPRBlocks: 2
; VGPRBlocks: 2
; NumSGPRsForWavesPerEU: 22
; NumVGPRsForWavesPerEU: 17
; Occupancy: 16
; WaveLimiterHint : 0
; COMPUTE_PGM_RSRC2:SCRATCH_EN: 0
; COMPUTE_PGM_RSRC2:USER_SGPR: 15
; COMPUTE_PGM_RSRC2:TRAP_HANDLER: 0
; COMPUTE_PGM_RSRC2:TGID_X_EN: 1
; COMPUTE_PGM_RSRC2:TGID_Y_EN: 0
; COMPUTE_PGM_RSRC2:TGID_Z_EN: 0
; COMPUTE_PGM_RSRC2:TIDIG_COMP_CNT: 1
	.section	.text._ZL28rocblas_dot_batched_4_kernelIlLi64ELi4ELb0EDF16_DF16_PKDF16_EviT5_lT_lS2_lS3_liPT4_,"axG",@progbits,_ZL28rocblas_dot_batched_4_kernelIlLi64ELi4ELb0EDF16_DF16_PKDF16_EviT5_lT_lS2_lS3_liPT4_,comdat
	.globl	_ZL28rocblas_dot_batched_4_kernelIlLi64ELi4ELb0EDF16_DF16_PKDF16_EviT5_lT_lS2_lS3_liPT4_ ; -- Begin function _ZL28rocblas_dot_batched_4_kernelIlLi64ELi4ELb0EDF16_DF16_PKDF16_EviT5_lT_lS2_lS3_liPT4_
	.p2align	8
	.type	_ZL28rocblas_dot_batched_4_kernelIlLi64ELi4ELb0EDF16_DF16_PKDF16_EviT5_lT_lS2_lS3_liPT4_,@function
_ZL28rocblas_dot_batched_4_kernelIlLi64ELi4ELb0EDF16_DF16_PKDF16_EviT5_lT_lS2_lS3_liPT4_: ; @_ZL28rocblas_dot_batched_4_kernelIlLi64ELi4ELb0EDF16_DF16_PKDF16_EviT5_lT_lS2_lS3_liPT4_
; %bb.0:
	s_load_b32 s2, s[0:1], 0x48
	v_bfe_u32 v1, v0, 10, 10
	s_delay_alu instid0(VALU_DEP_1) | instskip(SKIP_1) | instid1(VALU_DEP_1)
	v_lshl_add_u32 v1, s15, 2, v1
	s_waitcnt lgkmcnt(0)
	v_cmp_gt_u32_e32 vcc_lo, s2, v1
	s_and_saveexec_b32 s2, vcc_lo
	s_cbranch_execz .LBB11_7
; %bb.1:
	s_clause 0x1
	s_load_b32 s16, s[0:1], 0x0
	s_load_b64 s[2:3], s[0:1], 0x50
	v_mov_b32_e32 v2, 0
	v_and_b32_e32 v0, 0x3ff, v0
	s_mov_b32 s17, exec_lo
	s_delay_alu instid0(VALU_DEP_2) | instskip(SKIP_1) | instid1(VALU_DEP_2)
	v_mov_b32_e32 v7, v2
	s_waitcnt lgkmcnt(0)
	v_cmpx_gt_i32_e64 s16, v0
	s_cbranch_execz .LBB11_5
; %bb.2:
	s_clause 0x3
	s_load_b128 s[12:15], s[0:1], 0x10
	s_load_b256 s[4:11], s[0:1], 0x20
	s_load_b64 s[18:19], s[0:1], 0x40
	s_load_b64 s[0:1], s[0:1], 0x8
	s_waitcnt lgkmcnt(0)
	v_mad_u64_u32 v[3:4], null, s14, v0, 0
	v_mad_u64_u32 v[5:6], null, s4, v1, 0
	;; [unrolled: 1-line block ×4, first 2 shown]
	s_lshl_b64 s[12:13], s[12:13], 1
	s_delay_alu instid0(VALU_DEP_3) | instskip(SKIP_4) | instid1(VALU_DEP_2)
	v_mad_u64_u32 v[12:13], null, s15, v0, v[4:5]
	v_mov_b32_e32 v7, 0
	s_add_u32 s12, s0, s12
	s_addc_u32 s13, s1, s13
	s_lshl_b64 s[0:1], s[8:9], 1
	v_mov_b32_e32 v4, v12
	v_mad_u64_u32 v[13:14], null, s5, v1, v[6:7]
	v_mad_u64_u32 v[14:15], null, s11, v0, v[9:10]
	;; [unrolled: 1-line block ×3, first 2 shown]
	s_delay_alu instid0(VALU_DEP_4) | instskip(SKIP_1) | instid1(VALU_DEP_4)
	v_lshlrev_b64 v[3:4], 1, v[3:4]
	s_lshl_b64 s[4:5], s[14:15], 7
	v_mov_b32_e32 v6, v13
	s_add_u32 s0, s6, s0
	s_delay_alu instid0(VALU_DEP_4) | instskip(SKIP_1) | instid1(VALU_DEP_4)
	v_mov_b32_e32 v9, v14
	s_addc_u32 s1, s7, s1
	v_mov_b32_e32 v11, v15
	v_lshlrev_b64 v[5:6], 1, v[5:6]
	s_lshl_b64 s[6:7], s[10:11], 7
	v_lshlrev_b64 v[8:9], 1, v[8:9]
	s_delay_alu instid0(VALU_DEP_3) | instskip(NEXT) | instid1(VALU_DEP_3)
	v_lshlrev_b64 v[10:11], 1, v[10:11]
	v_add_co_u32 v3, vcc_lo, v3, v5
	s_delay_alu instid0(VALU_DEP_4) | instskip(NEXT) | instid1(VALU_DEP_3)
	v_add_co_ci_u32_e32 v4, vcc_lo, v4, v6, vcc_lo
	v_add_co_u32 v5, vcc_lo, v8, v10
	v_mov_b32_e32 v8, v0
	v_add_co_ci_u32_e32 v6, vcc_lo, v9, v11, vcc_lo
	v_add_co_u32 v3, vcc_lo, s12, v3
	v_add_co_ci_u32_e32 v4, vcc_lo, s13, v4, vcc_lo
	v_add_co_u32 v5, vcc_lo, s0, v5
	s_delay_alu instid0(VALU_DEP_4)
	v_add_co_ci_u32_e32 v6, vcc_lo, s1, v6, vcc_lo
	s_mov_b32 s1, 0
	.p2align	6
.LBB11_3:                               ; =>This Inner Loop Header: Depth=1
	global_load_u16 v9, v[3:4], off
	global_load_u16 v10, v[5:6], off
	v_add_nc_u32_e32 v8, 64, v8
	v_add_co_u32 v3, vcc_lo, v3, s4
	v_add_co_ci_u32_e32 v4, vcc_lo, s5, v4, vcc_lo
	v_add_co_u32 v5, vcc_lo, v5, s6
	s_delay_alu instid0(VALU_DEP_4) | instskip(SKIP_1) | instid1(VALU_DEP_2)
	v_cmp_le_i32_e64 s0, s16, v8
	v_add_co_ci_u32_e32 v6, vcc_lo, s7, v6, vcc_lo
	s_or_b32 s1, s0, s1
	s_waitcnt vmcnt(0)
	v_fmac_f16_e32 v7, v9, v10
	s_and_not1_b32 exec_lo, exec_lo, s1
	s_cbranch_execnz .LBB11_3
; %bb.4:
	s_or_b32 exec_lo, exec_lo, s1
.LBB11_5:
	s_delay_alu instid0(SALU_CYCLE_1)
	s_or_b32 exec_lo, exec_lo, s17
	v_mbcnt_lo_u32_b32 v4, -1, 0
	v_and_b32_e32 v3, 0xffff, v7
	s_barrier
	buffer_gl0_inv
	v_lshlrev_b32_e32 v5, 2, v4
	v_cmp_gt_u32_e32 vcc_lo, 16, v4
	ds_bpermute_b32 v3, v5, v3
	v_cndmask_b32_e64 v5, 0, 1, vcc_lo
	v_cmp_gt_u32_e32 vcc_lo, 24, v4
	s_delay_alu instid0(VALU_DEP_2) | instskip(NEXT) | instid1(VALU_DEP_1)
	v_lshlrev_b32_e32 v5, 4, v5
	v_add_lshl_u32 v5, v5, v4, 2
	s_waitcnt lgkmcnt(0)
	v_add_f16_e32 v6, v7, v3
	s_delay_alu instid0(VALU_DEP_1) | instskip(NEXT) | instid1(VALU_DEP_1)
	v_and_b32_e32 v7, 0xffff, v6
	v_and_or_b32 v3, 0xffff0000, v3, v7
	ds_bpermute_b32 v3, v5, v3
	v_cndmask_b32_e64 v5, 0, 1, vcc_lo
	v_cmp_gt_u32_e32 vcc_lo, 28, v4
	s_delay_alu instid0(VALU_DEP_2) | instskip(NEXT) | instid1(VALU_DEP_1)
	v_lshlrev_b32_e32 v5, 3, v5
	v_add_lshl_u32 v5, v5, v4, 2
	s_waitcnt lgkmcnt(0)
	v_add_f16_e32 v6, v6, v3
	s_delay_alu instid0(VALU_DEP_1) | instskip(NEXT) | instid1(VALU_DEP_1)
	v_and_b32_e32 v7, 0xffff, v6
	v_and_or_b32 v3, 0xffff0000, v3, v7
	;; [unrolled: 11-line block ×3, first 2 shown]
	ds_bpermute_b32 v3, v5, v3
	v_cndmask_b32_e64 v5, 0, 1, vcc_lo
	v_cmp_ne_u32_e32 vcc_lo, 31, v4
	s_delay_alu instid0(VALU_DEP_2) | instskip(NEXT) | instid1(VALU_DEP_1)
	v_lshlrev_b32_e32 v5, 1, v5
	v_add_lshl_u32 v5, v5, v4, 2
	v_add_co_ci_u32_e32 v4, vcc_lo, 0, v4, vcc_lo
	v_cmp_eq_u32_e32 vcc_lo, 0, v0
	s_delay_alu instid0(VALU_DEP_2) | instskip(SKIP_2) | instid1(VALU_DEP_1)
	v_lshlrev_b32_e32 v4, 2, v4
	s_waitcnt lgkmcnt(0)
	v_add_f16_e32 v6, v6, v3
	v_and_b32_e32 v7, 0xffff, v6
	s_delay_alu instid0(VALU_DEP_1) | instskip(SKIP_3) | instid1(VALU_DEP_1)
	v_and_or_b32 v3, 0xffff0000, v3, v7
	ds_bpermute_b32 v5, v5, v3
	s_waitcnt lgkmcnt(0)
	v_add_f16_e32 v3, v6, v5
	v_and_b32_e32 v6, 0xffff, v3
	s_delay_alu instid0(VALU_DEP_1)
	v_and_or_b32 v5, 0xffff0000, v5, v6
	ds_bpermute_b32 v4, v4, v5
	s_and_b32 exec_lo, exec_lo, vcc_lo
	s_cbranch_execz .LBB11_7
; %bb.6:
	v_lshlrev_b64 v[0:1], 1, v[1:2]
	s_waitcnt lgkmcnt(0)
	v_add_f16_e32 v2, v3, v4
	s_delay_alu instid0(VALU_DEP_2) | instskip(NEXT) | instid1(VALU_DEP_3)
	v_add_co_u32 v0, vcc_lo, s2, v0
	v_add_co_ci_u32_e32 v1, vcc_lo, s3, v1, vcc_lo
	global_store_b16 v[0:1], v2, off
.LBB11_7:
	s_nop 0
	s_sendmsg sendmsg(MSG_DEALLOC_VGPRS)
	s_endpgm
	.section	.rodata,"a",@progbits
	.p2align	6, 0x0
	.amdhsa_kernel _ZL28rocblas_dot_batched_4_kernelIlLi64ELi4ELb0EDF16_DF16_PKDF16_EviT5_lT_lS2_lS3_liPT4_
		.amdhsa_group_segment_fixed_size 0
		.amdhsa_private_segment_fixed_size 0
		.amdhsa_kernarg_size 88
		.amdhsa_user_sgpr_count 15
		.amdhsa_user_sgpr_dispatch_ptr 0
		.amdhsa_user_sgpr_queue_ptr 0
		.amdhsa_user_sgpr_kernarg_segment_ptr 1
		.amdhsa_user_sgpr_dispatch_id 0
		.amdhsa_user_sgpr_private_segment_size 0
		.amdhsa_wavefront_size32 1
		.amdhsa_uses_dynamic_stack 0
		.amdhsa_enable_private_segment 0
		.amdhsa_system_sgpr_workgroup_id_x 1
		.amdhsa_system_sgpr_workgroup_id_y 0
		.amdhsa_system_sgpr_workgroup_id_z 0
		.amdhsa_system_sgpr_workgroup_info 0
		.amdhsa_system_vgpr_workitem_id 1
		.amdhsa_next_free_vgpr 17
		.amdhsa_next_free_sgpr 20
		.amdhsa_reserve_vcc 1
		.amdhsa_float_round_mode_32 0
		.amdhsa_float_round_mode_16_64 0
		.amdhsa_float_denorm_mode_32 3
		.amdhsa_float_denorm_mode_16_64 3
		.amdhsa_dx10_clamp 1
		.amdhsa_ieee_mode 1
		.amdhsa_fp16_overflow 0
		.amdhsa_workgroup_processor_mode 1
		.amdhsa_memory_ordered 1
		.amdhsa_forward_progress 0
		.amdhsa_shared_vgpr_count 0
		.amdhsa_exception_fp_ieee_invalid_op 0
		.amdhsa_exception_fp_denorm_src 0
		.amdhsa_exception_fp_ieee_div_zero 0
		.amdhsa_exception_fp_ieee_overflow 0
		.amdhsa_exception_fp_ieee_underflow 0
		.amdhsa_exception_fp_ieee_inexact 0
		.amdhsa_exception_int_div_zero 0
	.end_amdhsa_kernel
	.section	.text._ZL28rocblas_dot_batched_4_kernelIlLi64ELi4ELb0EDF16_DF16_PKDF16_EviT5_lT_lS2_lS3_liPT4_,"axG",@progbits,_ZL28rocblas_dot_batched_4_kernelIlLi64ELi4ELb0EDF16_DF16_PKDF16_EviT5_lT_lS2_lS3_liPT4_,comdat
.Lfunc_end11:
	.size	_ZL28rocblas_dot_batched_4_kernelIlLi64ELi4ELb0EDF16_DF16_PKDF16_EviT5_lT_lS2_lS3_liPT4_, .Lfunc_end11-_ZL28rocblas_dot_batched_4_kernelIlLi64ELi4ELb0EDF16_DF16_PKDF16_EviT5_lT_lS2_lS3_liPT4_
                                        ; -- End function
	.section	.AMDGPU.csdata,"",@progbits
; Kernel info:
; codeLenInByte = 892
; NumSgprs: 22
; NumVgprs: 17
; ScratchSize: 0
; MemoryBound: 0
; FloatMode: 240
; IeeeMode: 1
; LDSByteSize: 0 bytes/workgroup (compile time only)
; SGPRBlocks: 2
; VGPRBlocks: 2
; NumSGPRsForWavesPerEU: 22
; NumVGPRsForWavesPerEU: 17
; Occupancy: 16
; WaveLimiterHint : 0
; COMPUTE_PGM_RSRC2:SCRATCH_EN: 0
; COMPUTE_PGM_RSRC2:USER_SGPR: 15
; COMPUTE_PGM_RSRC2:TRAP_HANDLER: 0
; COMPUTE_PGM_RSRC2:TGID_X_EN: 1
; COMPUTE_PGM_RSRC2:TGID_Y_EN: 0
; COMPUTE_PGM_RSRC2:TGID_Z_EN: 0
; COMPUTE_PGM_RSRC2:TIDIG_COMP_CNT: 1
	.section	.text._ZL18rocblas_dot_kernelIlLb1ELi1024ELi32ELb0EDF16_PKDF16_DF16_EviT5_lT_lS2_lS3_liPT6_PT4_,"axG",@progbits,_ZL18rocblas_dot_kernelIlLb1ELi1024ELi32ELb0EDF16_PKDF16_DF16_EviT5_lT_lS2_lS3_liPT6_PT4_,comdat
	.globl	_ZL18rocblas_dot_kernelIlLb1ELi1024ELi32ELb0EDF16_PKDF16_DF16_EviT5_lT_lS2_lS3_liPT6_PT4_ ; -- Begin function _ZL18rocblas_dot_kernelIlLb1ELi1024ELi32ELb0EDF16_PKDF16_DF16_EviT5_lT_lS2_lS3_liPT6_PT4_
	.p2align	8
	.type	_ZL18rocblas_dot_kernelIlLb1ELi1024ELi32ELb0EDF16_PKDF16_DF16_EviT5_lT_lS2_lS3_liPT6_PT4_,@function
_ZL18rocblas_dot_kernelIlLb1ELi1024ELi32ELb0EDF16_PKDF16_DF16_EviT5_lT_lS2_lS3_liPT6_PT4_: ; @_ZL18rocblas_dot_kernelIlLb1ELi1024ELi32ELb0EDF16_PKDF16_DF16_EviT5_lT_lS2_lS3_liPT6_PT4_
; %bb.0:
	s_clause 0x1
	s_load_b32 s18, s[0:1], 0x0
	s_load_b64 s[2:3], s[0:1], 0x58
	v_mov_b32_e32 v6, 0
	s_mov_b32 s16, s15
	s_mov_b32 s17, 0
	s_mov_b32 s19, exec_lo
	s_waitcnt lgkmcnt(0)
	v_cmpx_gt_i32_e64 s18, v0
	s_cbranch_execz .LBB12_4
; %bb.1:
	s_clause 0x4
	s_load_b32 s24, s[0:1], 0x60
	s_load_b256 s[4:11], s[0:1], 0x20
	s_load_b128 s[12:15], s[0:1], 0x10
	s_load_b64 s[20:21], s[0:1], 0x40
	s_load_b64 s[22:23], s[0:1], 0x8
	s_waitcnt lgkmcnt(0)
	s_lshl_b32 s1, s24, 10
	v_mad_u64_u32 v[3:4], null, s10, v0, 0
	v_mad_u64_u32 v[1:2], null, s14, v0, 0
	v_or_b32_e32 v5, s1, v0
	s_mul_i32 s0, s5, s16
	s_mul_hi_u32 s5, s4, s16
	s_mul_i32 s4, s4, s16
	s_add_i32 s5, s5, s0
	s_lshl_b64 s[12:13], s[12:13], 1
	s_delay_alu instid0(VALU_DEP_2)
	v_mad_u64_u32 v[6:7], null, s15, v0, v[2:3]
	v_mad_u64_u32 v[7:8], null, s11, v0, v[4:5]
	s_lshl_b64 s[4:5], s[4:5], 1
	s_add_u32 s12, s22, s12
	s_addc_u32 s13, s23, s13
	s_add_u32 s22, s12, s4
	s_delay_alu instid0(VALU_DEP_2)
	v_mov_b32_e32 v2, v6
	s_addc_u32 s23, s13, s5
	s_ashr_i32 s4, s1, 31
	s_mul_hi_u32 s0, s14, s1
	s_mul_i32 s5, s14, s4
	v_mov_b32_e32 v4, v7
	s_mul_i32 s21, s21, s16
	s_mul_hi_u32 s25, s20, s16
	s_mul_i32 s26, s15, s1
	s_add_i32 s0, s0, s5
	v_lshlrev_b64 v[1:2], 1, v[1:2]
	s_mul_i32 s20, s20, s16
	s_mul_i32 s24, s14, s1
	s_add_i32 s21, s25, s21
	s_add_i32 s25, s0, s26
	s_lshl_b64 s[8:9], s[8:9], 1
	v_lshlrev_b64 v[3:4], 1, v[3:4]
	s_lshl_b64 s[12:13], s[20:21], 1
	s_mul_i32 s0, s10, s4
	s_lshl_b64 s[4:5], s[24:25], 1
	s_add_u32 s6, s6, s8
	s_addc_u32 s7, s7, s9
	v_add_co_u32 v1, vcc_lo, s22, v1
	s_add_u32 s6, s6, s12
	v_add_co_ci_u32_e32 v2, vcc_lo, s23, v2, vcc_lo
	s_mul_hi_u32 s8, s10, s1
	s_addc_u32 s7, s7, s13
	v_add_co_u32 v3, vcc_lo, s6, v3
	s_add_i32 s0, s8, s0
	s_mul_i32 s8, s11, s1
	v_add_co_ci_u32_e32 v4, vcc_lo, s7, v4, vcc_lo
	v_mov_b32_e32 v6, 0
	s_add_i32 s7, s0, s8
	s_mul_i32 s6, s10, s1
	s_mov_b32 s8, s17
	s_lshl_b64 s[6:7], s[6:7], 1
	s_mov_b32 s9, s17
	.p2align	6
.LBB12_2:                               ; =>This Inner Loop Header: Depth=1
	global_load_u16 v7, v[3:4], off
	global_load_u16 v8, v[1:2], off
	v_add_co_u32 v1, s0, v1, s4
	s_delay_alu instid0(VALU_DEP_1)
	v_add_co_ci_u32_e64 v2, s0, s5, v2, s0
	s_add_i32 s10, s9, 1
	v_cmp_le_i32_e32 vcc_lo, s18, v5
	v_add_co_u32 v3, s0, v3, s6
	s_cmp_gt_u32 s9, 30
	v_add_co_ci_u32_e64 v4, s0, s7, v4, s0
	s_cselect_b32 s0, -1, 0
	v_add_nc_u32_e32 v5, s1, v5
	s_or_b32 s0, s0, vcc_lo
	s_mov_b32 s9, s10
	s_and_b32 s0, exec_lo, s0
	s_delay_alu instid0(SALU_CYCLE_1)
	s_or_b32 s8, s0, s8
	s_waitcnt vmcnt(0)
	v_fmac_f16_e32 v6, v7, v8
	s_and_not1_b32 exec_lo, exec_lo, s8
	s_cbranch_execnz .LBB12_2
; %bb.3:
	s_or_b32 exec_lo, exec_lo, s8
.LBB12_4:
	s_delay_alu instid0(SALU_CYCLE_1) | instskip(SKIP_2) | instid1(VALU_DEP_2)
	s_or_b32 exec_lo, exec_lo, s19
	v_and_b32_e32 v5, 31, v0
	v_cmp_gt_u32_e32 vcc_lo, 32, v0
	v_lshlrev_b32_e32 v1, 1, v5
	s_and_saveexec_b32 s0, vcc_lo
	s_cbranch_execz .LBB12_6
; %bb.5:
	v_mov_b32_e32 v2, 0
	ds_store_b16 v1, v2
.LBB12_6:
	s_or_b32 exec_lo, exec_lo, s0
	v_mbcnt_lo_u32_b32 v7, -1, 0
	v_and_b32_e32 v3, 0xffff, v6
	s_mov_b32 s1, exec_lo
	s_waitcnt lgkmcnt(0)
	s_barrier
	v_cmp_gt_u32_e64 s0, 16, v7
	buffer_gl0_inv
	v_cndmask_b32_e64 v2, 0, 1, s0
	v_cmp_gt_u32_e64 s0, 24, v7
	s_delay_alu instid0(VALU_DEP_2) | instskip(NEXT) | instid1(VALU_DEP_1)
	v_lshlrev_b32_e32 v2, 4, v2
	v_add_lshl_u32 v2, v2, v7, 2
	ds_bpermute_b32 v4, v2, v3
	v_cndmask_b32_e64 v3, 0, 1, s0
	v_cmp_gt_u32_e64 s0, 28, v7
	s_delay_alu instid0(VALU_DEP_2) | instskip(NEXT) | instid1(VALU_DEP_1)
	v_lshlrev_b32_e32 v3, 3, v3
	v_add_lshl_u32 v3, v3, v7, 2
	s_waitcnt lgkmcnt(0)
	v_add_f16_e32 v6, v6, v4
	s_delay_alu instid0(VALU_DEP_1) | instskip(NEXT) | instid1(VALU_DEP_1)
	v_and_b32_e32 v8, 0xffff, v6
	v_and_or_b32 v4, 0xffff0000, v4, v8
	ds_bpermute_b32 v8, v3, v4
	v_cndmask_b32_e64 v4, 0, 1, s0
	v_cmp_gt_u32_e64 s0, 30, v7
	s_delay_alu instid0(VALU_DEP_2) | instskip(NEXT) | instid1(VALU_DEP_1)
	v_lshlrev_b32_e32 v4, 2, v4
	v_add_lshl_u32 v4, v4, v7, 2
	s_waitcnt lgkmcnt(0)
	v_add_f16_e32 v6, v6, v8
	s_delay_alu instid0(VALU_DEP_1) | instskip(NEXT) | instid1(VALU_DEP_1)
	v_and_b32_e32 v9, 0xffff, v6
	v_and_or_b32 v8, 0xffff0000, v8, v9
	v_cndmask_b32_e64 v9, 0, 1, s0
	v_cmp_ne_u32_e64 s0, 31, v7
	ds_bpermute_b32 v8, v4, v8
	s_waitcnt lgkmcnt(0)
	v_add_f16_e32 v10, v6, v8
	v_lshlrev_b32_e32 v6, 1, v9
	s_delay_alu instid0(VALU_DEP_2) | instskip(NEXT) | instid1(VALU_DEP_2)
	v_and_b32_e32 v9, 0xffff, v10
	v_add_lshl_u32 v6, v6, v7, 2
	v_add_co_ci_u32_e64 v7, s0, 0, v7, s0
	s_delay_alu instid0(VALU_DEP_3) | instskip(NEXT) | instid1(VALU_DEP_2)
	v_and_or_b32 v8, 0xffff0000, v8, v9
	v_lshlrev_b32_e32 v7, 2, v7
	ds_bpermute_b32 v9, v6, v8
	s_waitcnt lgkmcnt(0)
	v_add_f16_e32 v8, v10, v9
	s_delay_alu instid0(VALU_DEP_1) | instskip(NEXT) | instid1(VALU_DEP_1)
	v_and_b32_e32 v10, 0xffff, v8
	v_and_or_b32 v9, 0xffff0000, v9, v10
	ds_bpermute_b32 v9, v7, v9
	v_cmpx_eq_u32_e32 0, v5
	s_cbranch_execz .LBB12_8
; %bb.7:
	v_lshrrev_b32_e32 v5, 4, v0
	s_waitcnt lgkmcnt(0)
	v_add_f16_e32 v8, v8, v9
	s_delay_alu instid0(VALU_DEP_2)
	v_and_b32_e32 v5, 62, v5
	ds_store_b16 v5, v8
.LBB12_8:
	s_or_b32 exec_lo, exec_lo, s1
	v_mov_b32_e32 v5, 0
	s_waitcnt lgkmcnt(0)
	s_barrier
	buffer_gl0_inv
	s_and_saveexec_b32 s0, vcc_lo
	s_cbranch_execz .LBB12_10
; %bb.9:
	ds_load_u16 v5, v1
.LBB12_10:
	s_or_b32 exec_lo, exec_lo, s0
	s_and_saveexec_b32 s0, vcc_lo
	s_cbranch_execz .LBB12_12
; %bb.11:
	s_waitcnt lgkmcnt(0)
	v_and_b32_e32 v1, 0xffff, v5
	ds_bpermute_b32 v1, v2, v1
	s_waitcnt lgkmcnt(0)
	v_add_f16_e32 v2, v5, v1
	s_delay_alu instid0(VALU_DEP_1) | instskip(NEXT) | instid1(VALU_DEP_1)
	v_and_b32_e32 v5, 0xffff, v2
	v_and_or_b32 v1, 0xffff0000, v1, v5
	ds_bpermute_b32 v1, v3, v1
	s_waitcnt lgkmcnt(0)
	v_add_f16_e32 v2, v2, v1
	s_delay_alu instid0(VALU_DEP_1) | instskip(NEXT) | instid1(VALU_DEP_1)
	v_and_b32_e32 v3, 0xffff, v2
	v_and_or_b32 v1, 0xffff0000, v1, v3
	ds_bpermute_b32 v1, v4, v1
	s_waitcnt lgkmcnt(0)
	v_add_f16_e32 v2, v2, v1
	s_delay_alu instid0(VALU_DEP_1) | instskip(NEXT) | instid1(VALU_DEP_1)
	v_and_b32_e32 v3, 0xffff, v2
	v_and_or_b32 v1, 0xffff0000, v1, v3
	ds_bpermute_b32 v1, v6, v1
	s_waitcnt lgkmcnt(0)
	v_add_f16_e32 v2, v2, v1
	s_delay_alu instid0(VALU_DEP_1) | instskip(NEXT) | instid1(VALU_DEP_1)
	v_and_b32_e32 v3, 0xffff, v2
	v_and_or_b32 v1, 0xffff0000, v1, v3
	ds_bpermute_b32 v1, v7, v1
	s_waitcnt lgkmcnt(0)
	v_add_f16_e32 v5, v2, v1
.LBB12_12:
	s_or_b32 exec_lo, exec_lo, s0
	s_delay_alu instid0(SALU_CYCLE_1)
	s_mov_b32 s0, exec_lo
	v_cmpx_eq_u32_e32 0, v0
	s_cbranch_execz .LBB12_14
; %bb.13:
	s_lshl_b64 s[0:1], s[16:17], 1
	v_mov_b32_e32 v0, 0
	s_add_u32 s0, s2, s0
	s_addc_u32 s1, s3, s1
	s_waitcnt lgkmcnt(0)
	global_store_b16 v0, v5, s[0:1]
.LBB12_14:
	s_nop 0
	s_sendmsg sendmsg(MSG_DEALLOC_VGPRS)
	s_endpgm
	.section	.rodata,"a",@progbits
	.p2align	6, 0x0
	.amdhsa_kernel _ZL18rocblas_dot_kernelIlLb1ELi1024ELi32ELb0EDF16_PKDF16_DF16_EviT5_lT_lS2_lS3_liPT6_PT4_
		.amdhsa_group_segment_fixed_size 64
		.amdhsa_private_segment_fixed_size 0
		.amdhsa_kernarg_size 352
		.amdhsa_user_sgpr_count 14
		.amdhsa_user_sgpr_dispatch_ptr 0
		.amdhsa_user_sgpr_queue_ptr 0
		.amdhsa_user_sgpr_kernarg_segment_ptr 1
		.amdhsa_user_sgpr_dispatch_id 0
		.amdhsa_user_sgpr_private_segment_size 0
		.amdhsa_wavefront_size32 1
		.amdhsa_uses_dynamic_stack 0
		.amdhsa_enable_private_segment 0
		.amdhsa_system_sgpr_workgroup_id_x 1
		.amdhsa_system_sgpr_workgroup_id_y 0
		.amdhsa_system_sgpr_workgroup_id_z 1
		.amdhsa_system_sgpr_workgroup_info 0
		.amdhsa_system_vgpr_workitem_id 0
		.amdhsa_next_free_vgpr 11
		.amdhsa_next_free_sgpr 27
		.amdhsa_reserve_vcc 1
		.amdhsa_float_round_mode_32 0
		.amdhsa_float_round_mode_16_64 0
		.amdhsa_float_denorm_mode_32 3
		.amdhsa_float_denorm_mode_16_64 3
		.amdhsa_dx10_clamp 1
		.amdhsa_ieee_mode 1
		.amdhsa_fp16_overflow 0
		.amdhsa_workgroup_processor_mode 1
		.amdhsa_memory_ordered 1
		.amdhsa_forward_progress 0
		.amdhsa_shared_vgpr_count 0
		.amdhsa_exception_fp_ieee_invalid_op 0
		.amdhsa_exception_fp_denorm_src 0
		.amdhsa_exception_fp_ieee_div_zero 0
		.amdhsa_exception_fp_ieee_overflow 0
		.amdhsa_exception_fp_ieee_underflow 0
		.amdhsa_exception_fp_ieee_inexact 0
		.amdhsa_exception_int_div_zero 0
	.end_amdhsa_kernel
	.section	.text._ZL18rocblas_dot_kernelIlLb1ELi1024ELi32ELb0EDF16_PKDF16_DF16_EviT5_lT_lS2_lS3_liPT6_PT4_,"axG",@progbits,_ZL18rocblas_dot_kernelIlLb1ELi1024ELi32ELb0EDF16_PKDF16_DF16_EviT5_lT_lS2_lS3_liPT6_PT4_,comdat
.Lfunc_end12:
	.size	_ZL18rocblas_dot_kernelIlLb1ELi1024ELi32ELb0EDF16_PKDF16_DF16_EviT5_lT_lS2_lS3_liPT6_PT4_, .Lfunc_end12-_ZL18rocblas_dot_kernelIlLb1ELi1024ELi32ELb0EDF16_PKDF16_DF16_EviT5_lT_lS2_lS3_liPT6_PT4_
                                        ; -- End function
	.section	.AMDGPU.csdata,"",@progbits
; Kernel info:
; codeLenInByte = 1192
; NumSgprs: 29
; NumVgprs: 11
; ScratchSize: 0
; MemoryBound: 0
; FloatMode: 240
; IeeeMode: 1
; LDSByteSize: 64 bytes/workgroup (compile time only)
; SGPRBlocks: 3
; VGPRBlocks: 1
; NumSGPRsForWavesPerEU: 29
; NumVGPRsForWavesPerEU: 11
; Occupancy: 16
; WaveLimiterHint : 0
; COMPUTE_PGM_RSRC2:SCRATCH_EN: 0
; COMPUTE_PGM_RSRC2:USER_SGPR: 14
; COMPUTE_PGM_RSRC2:TRAP_HANDLER: 0
; COMPUTE_PGM_RSRC2:TGID_X_EN: 1
; COMPUTE_PGM_RSRC2:TGID_Y_EN: 0
; COMPUTE_PGM_RSRC2:TGID_Z_EN: 1
; COMPUTE_PGM_RSRC2:TIDIG_COMP_CNT: 0
	.section	.text._ZL24rocblas_dot_kernel_magsqIlLb1ELi1024ELi32ELb0EDF16_PKDF16_DF16_EviT5_lT_liPT6_PT4_,"axG",@progbits,_ZL24rocblas_dot_kernel_magsqIlLb1ELi1024ELi32ELb0EDF16_PKDF16_DF16_EviT5_lT_liPT6_PT4_,comdat
	.globl	_ZL24rocblas_dot_kernel_magsqIlLb1ELi1024ELi32ELb0EDF16_PKDF16_DF16_EviT5_lT_liPT6_PT4_ ; -- Begin function _ZL24rocblas_dot_kernel_magsqIlLb1ELi1024ELi32ELb0EDF16_PKDF16_DF16_EviT5_lT_liPT6_PT4_
	.p2align	8
	.type	_ZL24rocblas_dot_kernel_magsqIlLb1ELi1024ELi32ELb0EDF16_PKDF16_DF16_EviT5_lT_liPT6_PT4_,@function
_ZL24rocblas_dot_kernel_magsqIlLb1ELi1024ELi32ELb0EDF16_PKDF16_DF16_EviT5_lT_liPT6_PT4_: ; @_ZL24rocblas_dot_kernel_magsqIlLb1ELi1024ELi32ELb0EDF16_PKDF16_DF16_EviT5_lT_liPT6_PT4_
; %bb.0:
	s_clause 0x1
	s_load_b32 s8, s[0:1], 0x0
	s_load_b64 s[2:3], s[0:1], 0x38
	v_mov_b32_e32 v3, 0
	s_mov_b32 s4, s15
	s_mov_b32 s5, 0
	s_mov_b32 s9, exec_lo
	s_waitcnt lgkmcnt(0)
	v_cmpx_gt_i32_e64 s8, v0
	s_cbranch_execz .LBB13_4
; %bb.1:
	s_clause 0x3
	s_load_b128 s[12:15], s[0:1], 0x10
	s_load_b32 s16, s[0:1], 0x40
	s_load_b64 s[6:7], s[0:1], 0x20
	s_load_b64 s[10:11], s[0:1], 0x8
	s_waitcnt lgkmcnt(0)
	v_mad_u64_u32 v[1:2], null, s14, v0, 0
	s_mul_i32 s0, s7, s4
	s_mul_hi_u32 s7, s6, s4
	s_mul_i32 s6, s6, s4
	s_add_i32 s7, s7, s0
	s_lshl_b64 s[12:13], s[12:13], 1
	s_lshl_b32 s1, s16, 10
	s_delay_alu instid0(VALU_DEP_1)
	v_mad_u64_u32 v[3:4], null, s15, v0, v[2:3]
	s_lshl_b64 s[6:7], s[6:7], 1
	s_add_u32 s0, s10, s12
	s_addc_u32 s10, s11, s13
	s_add_u32 s0, s0, s6
	s_addc_u32 s10, s10, s7
	s_ashr_i32 s6, s1, 31
	s_delay_alu instid0(VALU_DEP_1) | instskip(SKIP_3) | instid1(VALU_DEP_1)
	v_dual_mov_b32 v2, v3 :: v_dual_mov_b32 v3, 0
	s_mul_hi_u32 s7, s14, s1
	s_mul_i32 s6, s14, s6
	s_mul_i32 s11, s15, s1
	v_lshlrev_b64 v[1:2], 1, v[1:2]
	s_add_i32 s7, s7, s6
	v_or_b32_e32 v4, s1, v0
	s_mul_i32 s6, s14, s1
	s_add_i32 s7, s7, s11
	s_mov_b32 s11, s5
	v_add_co_u32 v1, vcc_lo, s0, v1
	v_add_co_ci_u32_e32 v2, vcc_lo, s10, v2, vcc_lo
	s_lshl_b64 s[6:7], s[6:7], 1
	s_mov_b32 s10, s5
	.p2align	6
.LBB13_2:                               ; =>This Inner Loop Header: Depth=1
	global_load_u16 v5, v[1:2], off
	s_add_i32 s12, s11, 1
	v_cmp_le_i32_e32 vcc_lo, s8, v4
	v_add_co_u32 v1, s0, v1, s6
	s_cmp_gt_u32 s11, 30
	v_add_co_ci_u32_e64 v2, s0, s7, v2, s0
	s_cselect_b32 s0, -1, 0
	v_add_nc_u32_e32 v4, s1, v4
	s_or_b32 s0, s0, vcc_lo
	s_mov_b32 s11, s12
	s_and_b32 s0, exec_lo, s0
	s_delay_alu instid0(SALU_CYCLE_1)
	s_or_b32 s10, s0, s10
	s_waitcnt vmcnt(0)
	v_fmac_f16_e32 v3, v5, v5
	s_and_not1_b32 exec_lo, exec_lo, s10
	s_cbranch_execnz .LBB13_2
; %bb.3:
	s_or_b32 exec_lo, exec_lo, s10
.LBB13_4:
	s_delay_alu instid0(SALU_CYCLE_1) | instskip(SKIP_2) | instid1(VALU_DEP_2)
	s_or_b32 exec_lo, exec_lo, s9
	v_and_b32_e32 v5, 31, v0
	v_cmp_gt_u32_e32 vcc_lo, 32, v0
	v_lshlrev_b32_e32 v1, 1, v5
	s_and_saveexec_b32 s0, vcc_lo
	s_cbranch_execz .LBB13_6
; %bb.5:
	v_mov_b32_e32 v2, 0
	ds_store_b16 v1, v2
.LBB13_6:
	s_or_b32 exec_lo, exec_lo, s0
	v_mbcnt_lo_u32_b32 v7, -1, 0
	v_and_b32_e32 v4, 0xffff, v3
	s_mov_b32 s1, exec_lo
	s_waitcnt lgkmcnt(0)
	s_barrier
	v_cmp_gt_u32_e64 s0, 16, v7
	buffer_gl0_inv
	v_cndmask_b32_e64 v2, 0, 1, s0
	v_cmp_gt_u32_e64 s0, 24, v7
	s_delay_alu instid0(VALU_DEP_2) | instskip(NEXT) | instid1(VALU_DEP_2)
	v_lshlrev_b32_e32 v2, 4, v2
	v_cndmask_b32_e64 v6, 0, 1, s0
	v_cmp_gt_u32_e64 s0, 28, v7
	s_delay_alu instid0(VALU_DEP_3) | instskip(SKIP_4) | instid1(VALU_DEP_2)
	v_add_lshl_u32 v2, v2, v7, 2
	ds_bpermute_b32 v4, v2, v4
	s_waitcnt lgkmcnt(0)
	v_add_f16_e32 v8, v3, v4
	v_lshlrev_b32_e32 v3, 3, v6
	v_and_b32_e32 v6, 0xffff, v8
	s_delay_alu instid0(VALU_DEP_2) | instskip(NEXT) | instid1(VALU_DEP_2)
	v_add_lshl_u32 v3, v3, v7, 2
	v_and_or_b32 v4, 0xffff0000, v4, v6
	ds_bpermute_b32 v6, v3, v4
	v_cndmask_b32_e64 v4, 0, 1, s0
	v_cmp_gt_u32_e64 s0, 30, v7
	s_delay_alu instid0(VALU_DEP_2) | instskip(NEXT) | instid1(VALU_DEP_1)
	v_lshlrev_b32_e32 v4, 2, v4
	v_add_lshl_u32 v4, v4, v7, 2
	s_waitcnt lgkmcnt(0)
	v_add_f16_e32 v8, v8, v6
	s_delay_alu instid0(VALU_DEP_1) | instskip(NEXT) | instid1(VALU_DEP_1)
	v_and_b32_e32 v9, 0xffff, v8
	v_and_or_b32 v6, 0xffff0000, v6, v9
	ds_bpermute_b32 v9, v4, v6
	v_cndmask_b32_e64 v6, 0, 1, s0
	v_cmp_ne_u32_e64 s0, 31, v7
	s_delay_alu instid0(VALU_DEP_2) | instskip(NEXT) | instid1(VALU_DEP_1)
	v_lshlrev_b32_e32 v6, 1, v6
	v_add_lshl_u32 v6, v6, v7, 2
	s_delay_alu instid0(VALU_DEP_3) | instskip(NEXT) | instid1(VALU_DEP_1)
	v_add_co_ci_u32_e64 v7, s0, 0, v7, s0
	v_lshlrev_b32_e32 v7, 2, v7
	s_waitcnt lgkmcnt(0)
	v_add_f16_e32 v8, v8, v9
	s_delay_alu instid0(VALU_DEP_1) | instskip(NEXT) | instid1(VALU_DEP_1)
	v_and_b32_e32 v10, 0xffff, v8
	v_and_or_b32 v9, 0xffff0000, v9, v10
	ds_bpermute_b32 v9, v6, v9
	s_waitcnt lgkmcnt(0)
	v_add_f16_e32 v8, v8, v9
	s_delay_alu instid0(VALU_DEP_1) | instskip(NEXT) | instid1(VALU_DEP_1)
	v_and_b32_e32 v10, 0xffff, v8
	v_and_or_b32 v9, 0xffff0000, v9, v10
	ds_bpermute_b32 v9, v7, v9
	v_cmpx_eq_u32_e32 0, v5
	s_cbranch_execz .LBB13_8
; %bb.7:
	v_lshrrev_b32_e32 v5, 4, v0
	s_waitcnt lgkmcnt(0)
	v_add_f16_e32 v8, v8, v9
	s_delay_alu instid0(VALU_DEP_2)
	v_and_b32_e32 v5, 62, v5
	ds_store_b16 v5, v8
.LBB13_8:
	s_or_b32 exec_lo, exec_lo, s1
	v_mov_b32_e32 v5, 0
	s_waitcnt lgkmcnt(0)
	s_barrier
	buffer_gl0_inv
	s_and_saveexec_b32 s0, vcc_lo
	s_cbranch_execz .LBB13_10
; %bb.9:
	ds_load_u16 v5, v1
.LBB13_10:
	s_or_b32 exec_lo, exec_lo, s0
	s_and_saveexec_b32 s0, vcc_lo
	s_cbranch_execz .LBB13_12
; %bb.11:
	s_waitcnt lgkmcnt(0)
	v_and_b32_e32 v1, 0xffff, v5
	ds_bpermute_b32 v1, v2, v1
	s_waitcnt lgkmcnt(0)
	v_add_f16_e32 v2, v5, v1
	s_delay_alu instid0(VALU_DEP_1) | instskip(NEXT) | instid1(VALU_DEP_1)
	v_and_b32_e32 v5, 0xffff, v2
	v_and_or_b32 v1, 0xffff0000, v1, v5
	ds_bpermute_b32 v1, v3, v1
	s_waitcnt lgkmcnt(0)
	v_add_f16_e32 v2, v2, v1
	s_delay_alu instid0(VALU_DEP_1) | instskip(NEXT) | instid1(VALU_DEP_1)
	v_and_b32_e32 v3, 0xffff, v2
	v_and_or_b32 v1, 0xffff0000, v1, v3
	;; [unrolled: 6-line block ×4, first 2 shown]
	ds_bpermute_b32 v1, v7, v1
	s_waitcnt lgkmcnt(0)
	v_add_f16_e32 v5, v2, v1
.LBB13_12:
	s_or_b32 exec_lo, exec_lo, s0
	s_delay_alu instid0(SALU_CYCLE_1)
	s_mov_b32 s0, exec_lo
	v_cmpx_eq_u32_e32 0, v0
	s_cbranch_execz .LBB13_14
; %bb.13:
	s_lshl_b64 s[0:1], s[4:5], 1
	v_mov_b32_e32 v0, 0
	s_add_u32 s0, s2, s0
	s_addc_u32 s1, s3, s1
	s_waitcnt lgkmcnt(0)
	global_store_b16 v0, v5, s[0:1]
.LBB13_14:
	s_nop 0
	s_sendmsg sendmsg(MSG_DEALLOC_VGPRS)
	s_endpgm
	.section	.rodata,"a",@progbits
	.p2align	6, 0x0
	.amdhsa_kernel _ZL24rocblas_dot_kernel_magsqIlLb1ELi1024ELi32ELb0EDF16_PKDF16_DF16_EviT5_lT_liPT6_PT4_
		.amdhsa_group_segment_fixed_size 64
		.amdhsa_private_segment_fixed_size 0
		.amdhsa_kernarg_size 320
		.amdhsa_user_sgpr_count 14
		.amdhsa_user_sgpr_dispatch_ptr 0
		.amdhsa_user_sgpr_queue_ptr 0
		.amdhsa_user_sgpr_kernarg_segment_ptr 1
		.amdhsa_user_sgpr_dispatch_id 0
		.amdhsa_user_sgpr_private_segment_size 0
		.amdhsa_wavefront_size32 1
		.amdhsa_uses_dynamic_stack 0
		.amdhsa_enable_private_segment 0
		.amdhsa_system_sgpr_workgroup_id_x 1
		.amdhsa_system_sgpr_workgroup_id_y 0
		.amdhsa_system_sgpr_workgroup_id_z 1
		.amdhsa_system_sgpr_workgroup_info 0
		.amdhsa_system_vgpr_workitem_id 0
		.amdhsa_next_free_vgpr 11
		.amdhsa_next_free_sgpr 17
		.amdhsa_reserve_vcc 1
		.amdhsa_float_round_mode_32 0
		.amdhsa_float_round_mode_16_64 0
		.amdhsa_float_denorm_mode_32 3
		.amdhsa_float_denorm_mode_16_64 3
		.amdhsa_dx10_clamp 1
		.amdhsa_ieee_mode 1
		.amdhsa_fp16_overflow 0
		.amdhsa_workgroup_processor_mode 1
		.amdhsa_memory_ordered 1
		.amdhsa_forward_progress 0
		.amdhsa_shared_vgpr_count 0
		.amdhsa_exception_fp_ieee_invalid_op 0
		.amdhsa_exception_fp_denorm_src 0
		.amdhsa_exception_fp_ieee_div_zero 0
		.amdhsa_exception_fp_ieee_overflow 0
		.amdhsa_exception_fp_ieee_underflow 0
		.amdhsa_exception_fp_ieee_inexact 0
		.amdhsa_exception_int_div_zero 0
	.end_amdhsa_kernel
	.section	.text._ZL24rocblas_dot_kernel_magsqIlLb1ELi1024ELi32ELb0EDF16_PKDF16_DF16_EviT5_lT_liPT6_PT4_,"axG",@progbits,_ZL24rocblas_dot_kernel_magsqIlLb1ELi1024ELi32ELb0EDF16_PKDF16_DF16_EviT5_lT_liPT6_PT4_,comdat
.Lfunc_end13:
	.size	_ZL24rocblas_dot_kernel_magsqIlLb1ELi1024ELi32ELb0EDF16_PKDF16_DF16_EviT5_lT_liPT6_PT4_, .Lfunc_end13-_ZL24rocblas_dot_kernel_magsqIlLb1ELi1024ELi32ELb0EDF16_PKDF16_DF16_EviT5_lT_liPT6_PT4_
                                        ; -- End function
	.section	.AMDGPU.csdata,"",@progbits
; Kernel info:
; codeLenInByte = 1052
; NumSgprs: 19
; NumVgprs: 11
; ScratchSize: 0
; MemoryBound: 0
; FloatMode: 240
; IeeeMode: 1
; LDSByteSize: 64 bytes/workgroup (compile time only)
; SGPRBlocks: 2
; VGPRBlocks: 1
; NumSGPRsForWavesPerEU: 19
; NumVGPRsForWavesPerEU: 11
; Occupancy: 16
; WaveLimiterHint : 0
; COMPUTE_PGM_RSRC2:SCRATCH_EN: 0
; COMPUTE_PGM_RSRC2:USER_SGPR: 14
; COMPUTE_PGM_RSRC2:TRAP_HANDLER: 0
; COMPUTE_PGM_RSRC2:TGID_X_EN: 1
; COMPUTE_PGM_RSRC2:TGID_Y_EN: 0
; COMPUTE_PGM_RSRC2:TGID_Z_EN: 1
; COMPUTE_PGM_RSRC2:TIDIG_COMP_CNT: 0
	.section	.text._ZL38rocblas_dot_kernel_gfx942_float_doubleIlLi1024EDF16_PKDF16_DF16_EviT2_lT_lS2_lS3_lPT3_PT1_,"axG",@progbits,_ZL38rocblas_dot_kernel_gfx942_float_doubleIlLi1024EDF16_PKDF16_DF16_EviT2_lT_lS2_lS3_lPT3_PT1_,comdat
	.globl	_ZL38rocblas_dot_kernel_gfx942_float_doubleIlLi1024EDF16_PKDF16_DF16_EviT2_lT_lS2_lS3_lPT3_PT1_ ; -- Begin function _ZL38rocblas_dot_kernel_gfx942_float_doubleIlLi1024EDF16_PKDF16_DF16_EviT2_lT_lS2_lS3_lPT3_PT1_
	.p2align	8
	.type	_ZL38rocblas_dot_kernel_gfx942_float_doubleIlLi1024EDF16_PKDF16_DF16_EviT2_lT_lS2_lS3_lPT3_PT1_,@function
_ZL38rocblas_dot_kernel_gfx942_float_doubleIlLi1024EDF16_PKDF16_DF16_EviT2_lT_lS2_lS3_lPT3_PT1_: ; @_ZL38rocblas_dot_kernel_gfx942_float_doubleIlLi1024EDF16_PKDF16_DF16_EviT2_lT_lS2_lS3_lPT3_PT1_
; %bb.0:
	s_endpgm
	.section	.rodata,"a",@progbits
	.p2align	6, 0x0
	.amdhsa_kernel _ZL38rocblas_dot_kernel_gfx942_float_doubleIlLi1024EDF16_PKDF16_DF16_EviT2_lT_lS2_lS3_lPT3_PT1_
		.amdhsa_group_segment_fixed_size 0
		.amdhsa_private_segment_fixed_size 0
		.amdhsa_kernarg_size 88
		.amdhsa_user_sgpr_count 15
		.amdhsa_user_sgpr_dispatch_ptr 0
		.amdhsa_user_sgpr_queue_ptr 0
		.amdhsa_user_sgpr_kernarg_segment_ptr 1
		.amdhsa_user_sgpr_dispatch_id 0
		.amdhsa_user_sgpr_private_segment_size 0
		.amdhsa_wavefront_size32 1
		.amdhsa_uses_dynamic_stack 0
		.amdhsa_enable_private_segment 0
		.amdhsa_system_sgpr_workgroup_id_x 1
		.amdhsa_system_sgpr_workgroup_id_y 0
		.amdhsa_system_sgpr_workgroup_id_z 0
		.amdhsa_system_sgpr_workgroup_info 0
		.amdhsa_system_vgpr_workitem_id 0
		.amdhsa_next_free_vgpr 1
		.amdhsa_next_free_sgpr 1
		.amdhsa_reserve_vcc 0
		.amdhsa_float_round_mode_32 0
		.amdhsa_float_round_mode_16_64 0
		.amdhsa_float_denorm_mode_32 3
		.amdhsa_float_denorm_mode_16_64 3
		.amdhsa_dx10_clamp 1
		.amdhsa_ieee_mode 1
		.amdhsa_fp16_overflow 0
		.amdhsa_workgroup_processor_mode 1
		.amdhsa_memory_ordered 1
		.amdhsa_forward_progress 0
		.amdhsa_shared_vgpr_count 0
		.amdhsa_exception_fp_ieee_invalid_op 0
		.amdhsa_exception_fp_denorm_src 0
		.amdhsa_exception_fp_ieee_div_zero 0
		.amdhsa_exception_fp_ieee_overflow 0
		.amdhsa_exception_fp_ieee_underflow 0
		.amdhsa_exception_fp_ieee_inexact 0
		.amdhsa_exception_int_div_zero 0
	.end_amdhsa_kernel
	.section	.text._ZL38rocblas_dot_kernel_gfx942_float_doubleIlLi1024EDF16_PKDF16_DF16_EviT2_lT_lS2_lS3_lPT3_PT1_,"axG",@progbits,_ZL38rocblas_dot_kernel_gfx942_float_doubleIlLi1024EDF16_PKDF16_DF16_EviT2_lT_lS2_lS3_lPT3_PT1_,comdat
.Lfunc_end14:
	.size	_ZL38rocblas_dot_kernel_gfx942_float_doubleIlLi1024EDF16_PKDF16_DF16_EviT2_lT_lS2_lS3_lPT3_PT1_, .Lfunc_end14-_ZL38rocblas_dot_kernel_gfx942_float_doubleIlLi1024EDF16_PKDF16_DF16_EviT2_lT_lS2_lS3_lPT3_PT1_
                                        ; -- End function
	.section	.AMDGPU.csdata,"",@progbits
; Kernel info:
; codeLenInByte = 4
; NumSgprs: 0
; NumVgprs: 0
; ScratchSize: 0
; MemoryBound: 0
; FloatMode: 240
; IeeeMode: 1
; LDSByteSize: 0 bytes/workgroup (compile time only)
; SGPRBlocks: 0
; VGPRBlocks: 0
; NumSGPRsForWavesPerEU: 1
; NumVGPRsForWavesPerEU: 1
; Occupancy: 16
; WaveLimiterHint : 0
; COMPUTE_PGM_RSRC2:SCRATCH_EN: 0
; COMPUTE_PGM_RSRC2:USER_SGPR: 15
; COMPUTE_PGM_RSRC2:TRAP_HANDLER: 0
; COMPUTE_PGM_RSRC2:TGID_X_EN: 1
; COMPUTE_PGM_RSRC2:TGID_Y_EN: 0
; COMPUTE_PGM_RSRC2:TGID_Z_EN: 0
; COMPUTE_PGM_RSRC2:TIDIG_COMP_CNT: 0
	.section	.text._ZL18rocblas_dot_kernelIlLb0ELi512ELi8ELb0EDF16_PKDF16_DF16_EviT5_lT_lS2_lS3_liPT6_PT4_,"axG",@progbits,_ZL18rocblas_dot_kernelIlLb0ELi512ELi8ELb0EDF16_PKDF16_DF16_EviT5_lT_lS2_lS3_liPT6_PT4_,comdat
	.globl	_ZL18rocblas_dot_kernelIlLb0ELi512ELi8ELb0EDF16_PKDF16_DF16_EviT5_lT_lS2_lS3_liPT6_PT4_ ; -- Begin function _ZL18rocblas_dot_kernelIlLb0ELi512ELi8ELb0EDF16_PKDF16_DF16_EviT5_lT_lS2_lS3_liPT6_PT4_
	.p2align	8
	.type	_ZL18rocblas_dot_kernelIlLb0ELi512ELi8ELb0EDF16_PKDF16_DF16_EviT5_lT_lS2_lS3_liPT6_PT4_,@function
_ZL18rocblas_dot_kernelIlLb0ELi512ELi8ELb0EDF16_PKDF16_DF16_EviT5_lT_lS2_lS3_liPT6_PT4_: ; @_ZL18rocblas_dot_kernelIlLb0ELi512ELi8ELb0EDF16_PKDF16_DF16_EviT5_lT_lS2_lS3_liPT6_PT4_
; %bb.0:
	s_clause 0x2
	s_load_b32 s12, s[0:1], 0x60
	s_load_b32 s13, s[0:1], 0x0
	s_load_b128 s[16:19], s[0:1], 0x50
	v_lshl_or_b32 v1, s14, 9, v0
	v_mov_b32_e32 v6, 0
	s_mov_b32 s2, s15
	s_mov_b32 s3, 0
	s_mov_b32 s15, exec_lo
	s_waitcnt lgkmcnt(0)
	v_cmpx_gt_i32_e64 s13, v1
	s_cbranch_execz .LBB15_4
; %bb.1:
	s_clause 0x2
	s_load_b128 s[20:23], s[0:1], 0x10
	s_load_b256 s[4:11], s[0:1], 0x20
	s_load_b64 s[26:27], s[0:1], 0x8
	v_ashrrev_i32_e32 v4, 31, v1
	s_load_b64 s[0:1], s[0:1], 0x40
	s_lshl_b32 s24, s12, 9
	s_delay_alu instid0(SALU_CYCLE_1)
	v_add_nc_u32_e32 v5, s24, v1
	s_waitcnt lgkmcnt(0)
	v_mul_lo_u32 v8, s23, v1
	v_mul_lo_u32 v9, s22, v4
	v_mad_u64_u32 v[2:3], null, s22, v1, 0
	s_mul_i32 s5, s5, s2
	s_mul_hi_u32 s25, s4, s2
	s_mul_i32 s4, s4, s2
	v_mul_lo_u32 v10, s11, v1
	v_mul_lo_u32 v4, s10, v4
	s_add_i32 s5, s25, s5
	s_delay_alu instid0(VALU_DEP_3)
	v_add3_u32 v3, v3, v9, v8
	v_mad_u64_u32 v[6:7], null, s10, v1, 0
	s_lshl_b64 s[20:21], s[20:21], 1
	s_lshl_b64 s[4:5], s[4:5], 1
	s_add_u32 s20, s26, s20
	s_addc_u32 s21, s27, s21
	v_lshlrev_b64 v[1:2], 1, v[2:3]
	s_add_u32 s20, s20, s4
	s_addc_u32 s21, s21, s5
	s_ashr_i32 s25, s24, 31
	s_mul_hi_u32 s4, s22, s24
	s_mul_i32 s5, s22, s25
	v_add3_u32 v7, v7, v4, v10
	s_mul_i32 s23, s23, s24
	s_add_i32 s5, s4, s5
	v_add_co_u32 v1, vcc_lo, s20, v1
	s_mul_i32 s1, s1, s2
	s_mul_hi_u32 s20, s0, s2
	s_mul_i32 s4, s22, s24
	s_add_i32 s5, s5, s23
	s_add_i32 s1, s20, s1
	s_mul_i32 s0, s0, s2
	v_lshlrev_b64 v[3:4], 1, v[6:7]
	v_mov_b32_e32 v6, 0
	s_lshl_b64 s[8:9], s[8:9], 1
	s_lshl_b64 s[4:5], s[4:5], 1
	;; [unrolled: 1-line block ×3, first 2 shown]
	s_add_u32 s6, s6, s8
	s_addc_u32 s7, s7, s9
	s_add_u32 s0, s6, s0
	v_add_co_ci_u32_e32 v2, vcc_lo, s21, v2, vcc_lo
	s_mul_i32 s6, s10, s25
	s_mul_hi_u32 s8, s10, s24
	s_addc_u32 s1, s7, s1
	v_add_co_u32 v3, vcc_lo, s0, v3
	s_add_i32 s6, s8, s6
	s_mul_i32 s7, s11, s24
	v_add_co_ci_u32_e32 v4, vcc_lo, s1, v4, vcc_lo
	s_add_i32 s1, s6, s7
	s_mul_i32 s0, s10, s24
	s_mov_b32 s8, s3
	s_lshl_b64 s[6:7], s[0:1], 1
	s_mov_b32 s1, s3
	.p2align	6
.LBB15_2:                               ; =>This Inner Loop Header: Depth=1
	global_load_u16 v7, v[3:4], off
	global_load_u16 v8, v[1:2], off
	v_add_co_u32 v1, s0, v1, s4
	s_delay_alu instid0(VALU_DEP_1)
	v_add_co_ci_u32_e64 v2, s0, s5, v2, s0
	s_add_i32 s9, s8, 1
	v_cmp_le_i32_e32 vcc_lo, s13, v5
	v_add_co_u32 v3, s0, v3, s6
	s_cmp_gt_u32 s8, 6
	v_add_co_ci_u32_e64 v4, s0, s7, v4, s0
	s_cselect_b32 s0, -1, 0
	v_add_nc_u32_e32 v5, s24, v5
	s_or_b32 s0, s0, vcc_lo
	s_mov_b32 s8, s9
	s_and_b32 s0, exec_lo, s0
	s_delay_alu instid0(SALU_CYCLE_1)
	s_or_b32 s1, s0, s1
	s_waitcnt vmcnt(0)
	v_fmac_f16_e32 v6, v7, v8
	s_and_not1_b32 exec_lo, exec_lo, s1
	s_cbranch_execnz .LBB15_2
; %bb.3:
	s_or_b32 exec_lo, exec_lo, s1
.LBB15_4:
	s_delay_alu instid0(SALU_CYCLE_1) | instskip(SKIP_2) | instid1(VALU_DEP_2)
	s_or_b32 exec_lo, exec_lo, s15
	v_and_b32_e32 v2, 31, v0
	v_cmp_gt_u32_e32 vcc_lo, 32, v0
	v_lshlrev_b32_e32 v1, 1, v2
	s_and_saveexec_b32 s0, vcc_lo
	s_cbranch_execz .LBB15_6
; %bb.5:
	v_mov_b32_e32 v3, 0
	ds_store_b16 v1, v3
.LBB15_6:
	s_or_b32 exec_lo, exec_lo, s0
	v_mbcnt_lo_u32_b32 v8, -1, 0
	v_and_b32_e32 v4, 0xffff, v6
	s_mov_b32 s1, exec_lo
	s_waitcnt lgkmcnt(0)
	s_barrier
	v_cmp_gt_u32_e64 s0, 16, v8
	buffer_gl0_inv
	v_cndmask_b32_e64 v3, 0, 1, s0
	v_cmp_gt_u32_e64 s0, 24, v8
	s_delay_alu instid0(VALU_DEP_2) | instskip(NEXT) | instid1(VALU_DEP_1)
	v_lshlrev_b32_e32 v3, 4, v3
	v_add_lshl_u32 v3, v3, v8, 2
	ds_bpermute_b32 v4, v3, v4
	v_cndmask_b32_e64 v3, 0, 1, s0
	v_cmp_gt_u32_e64 s0, 28, v8
	s_delay_alu instid0(VALU_DEP_2) | instskip(NEXT) | instid1(VALU_DEP_1)
	v_lshlrev_b32_e32 v3, 3, v3
	v_add_lshl_u32 v3, v3, v8, 2
	s_waitcnt lgkmcnt(0)
	v_add_f16_e32 v5, v6, v4
	s_delay_alu instid0(VALU_DEP_1) | instskip(NEXT) | instid1(VALU_DEP_1)
	v_and_b32_e32 v6, 0xffff, v5
	v_and_or_b32 v4, 0xffff0000, v4, v6
	ds_bpermute_b32 v6, v3, v4
	v_cndmask_b32_e64 v4, 0, 1, s0
	v_cmp_gt_u32_e64 s0, 30, v8
	s_delay_alu instid0(VALU_DEP_2) | instskip(NEXT) | instid1(VALU_DEP_1)
	v_lshlrev_b32_e32 v4, 2, v4
	v_add_lshl_u32 v4, v4, v8, 2
	s_waitcnt lgkmcnt(0)
	v_add_f16_e32 v5, v5, v6
	s_delay_alu instid0(VALU_DEP_1) | instskip(NEXT) | instid1(VALU_DEP_1)
	v_and_b32_e32 v7, 0xffff, v5
	v_and_or_b32 v6, 0xffff0000, v6, v7
	v_cndmask_b32_e64 v7, 0, 1, s0
	v_cmp_ne_u32_e64 s0, 31, v8
	ds_bpermute_b32 v6, v4, v6
	s_waitcnt lgkmcnt(0)
	v_add_f16_e32 v9, v5, v6
	v_lshlrev_b32_e32 v5, 1, v7
	s_delay_alu instid0(VALU_DEP_2) | instskip(NEXT) | instid1(VALU_DEP_2)
	v_and_b32_e32 v7, 0xffff, v9
	v_add_lshl_u32 v5, v5, v8, 2
	v_add_co_ci_u32_e64 v8, s0, 0, v8, s0
	s_delay_alu instid0(VALU_DEP_3) | instskip(SKIP_3) | instid1(VALU_DEP_1)
	v_and_or_b32 v6, 0xffff0000, v6, v7
	ds_bpermute_b32 v6, v5, v6
	s_waitcnt lgkmcnt(0)
	v_add_f16_e32 v7, v9, v6
	v_and_b32_e32 v9, 0xffff, v7
	s_delay_alu instid0(VALU_DEP_1)
	v_and_or_b32 v9, 0xffff0000, v6, v9
	v_lshlrev_b32_e32 v6, 2, v8
	ds_bpermute_b32 v8, v6, v9
	v_cmpx_eq_u32_e32 0, v2
	s_cbranch_execz .LBB15_8
; %bb.7:
	v_lshrrev_b32_e32 v2, 4, v0
	s_waitcnt lgkmcnt(0)
	v_add_f16_e32 v7, v7, v8
	s_delay_alu instid0(VALU_DEP_2)
	v_and_b32_e32 v2, 30, v2
	ds_store_b16 v2, v7
.LBB15_8:
	s_or_b32 exec_lo, exec_lo, s1
	v_mov_b32_e32 v2, 0
	s_mov_b32 s1, exec_lo
	s_waitcnt lgkmcnt(0)
	s_barrier
	buffer_gl0_inv
	v_cmpx_gt_u32_e32 16, v0
	s_cbranch_execz .LBB15_10
; %bb.9:
	ds_load_u16 v2, v1
.LBB15_10:
	s_or_b32 exec_lo, exec_lo, s1
	s_and_saveexec_b32 s0, vcc_lo
	s_cbranch_execz .LBB15_12
; %bb.11:
	s_waitcnt lgkmcnt(0)
	v_and_b32_e32 v1, 0xffff, v2
	ds_bpermute_b32 v1, v3, v1
	s_waitcnt lgkmcnt(0)
	v_add_f16_e32 v2, v2, v1
	s_delay_alu instid0(VALU_DEP_1) | instskip(NEXT) | instid1(VALU_DEP_1)
	v_and_b32_e32 v3, 0xffff, v2
	v_and_or_b32 v1, 0xffff0000, v1, v3
	ds_bpermute_b32 v1, v4, v1
	s_waitcnt lgkmcnt(0)
	v_add_f16_e32 v2, v2, v1
	s_delay_alu instid0(VALU_DEP_1) | instskip(NEXT) | instid1(VALU_DEP_1)
	v_and_b32_e32 v3, 0xffff, v2
	v_and_or_b32 v1, 0xffff0000, v1, v3
	;; [unrolled: 6-line block ×3, first 2 shown]
	ds_bpermute_b32 v1, v6, v1
	s_waitcnt lgkmcnt(0)
	v_add_f16_e32 v2, v2, v1
.LBB15_12:
	s_or_b32 exec_lo, exec_lo, s0
	s_delay_alu instid0(SALU_CYCLE_1)
	s_mov_b32 s0, exec_lo
	v_cmpx_eq_u32_e32 0, v0
	s_cbranch_execz .LBB15_18
; %bb.13:
	s_cmp_lg_u32 s12, 1
	s_cbranch_scc0 .LBB15_15
; %bb.14:
	s_mul_hi_u32 s1, s12, s2
	s_mul_i32 s0, s12, s2
	s_mov_b32 s15, 0
	s_lshl_b64 s[0:1], s[0:1], 1
	s_delay_alu instid0(SALU_CYCLE_1) | instskip(SKIP_2) | instid1(SALU_CYCLE_1)
	s_add_u32 s4, s16, s0
	s_addc_u32 s5, s17, s1
	s_lshl_b64 s[0:1], s[14:15], 1
	s_add_u32 s0, s4, s0
	s_addc_u32 s1, s5, s1
	s_cbranch_execz .LBB15_16
	s_branch .LBB15_17
.LBB15_15:
                                        ; implicit-def: $sgpr0_sgpr1
.LBB15_16:
	s_lshl_b64 s[0:1], s[2:3], 1
	s_delay_alu instid0(SALU_CYCLE_1)
	s_add_u32 s0, s18, s0
	s_addc_u32 s1, s19, s1
.LBB15_17:
	v_mov_b32_e32 v0, 0
	s_waitcnt lgkmcnt(0)
	global_store_b16 v0, v2, s[0:1]
.LBB15_18:
	s_nop 0
	s_sendmsg sendmsg(MSG_DEALLOC_VGPRS)
	s_endpgm
	.section	.rodata,"a",@progbits
	.p2align	6, 0x0
	.amdhsa_kernel _ZL18rocblas_dot_kernelIlLb0ELi512ELi8ELb0EDF16_PKDF16_DF16_EviT5_lT_lS2_lS3_liPT6_PT4_
		.amdhsa_group_segment_fixed_size 64
		.amdhsa_private_segment_fixed_size 0
		.amdhsa_kernarg_size 352
		.amdhsa_user_sgpr_count 14
		.amdhsa_user_sgpr_dispatch_ptr 0
		.amdhsa_user_sgpr_queue_ptr 0
		.amdhsa_user_sgpr_kernarg_segment_ptr 1
		.amdhsa_user_sgpr_dispatch_id 0
		.amdhsa_user_sgpr_private_segment_size 0
		.amdhsa_wavefront_size32 1
		.amdhsa_uses_dynamic_stack 0
		.amdhsa_enable_private_segment 0
		.amdhsa_system_sgpr_workgroup_id_x 1
		.amdhsa_system_sgpr_workgroup_id_y 0
		.amdhsa_system_sgpr_workgroup_id_z 1
		.amdhsa_system_sgpr_workgroup_info 0
		.amdhsa_system_vgpr_workitem_id 0
		.amdhsa_next_free_vgpr 11
		.amdhsa_next_free_sgpr 28
		.amdhsa_reserve_vcc 1
		.amdhsa_float_round_mode_32 0
		.amdhsa_float_round_mode_16_64 0
		.amdhsa_float_denorm_mode_32 3
		.amdhsa_float_denorm_mode_16_64 3
		.amdhsa_dx10_clamp 1
		.amdhsa_ieee_mode 1
		.amdhsa_fp16_overflow 0
		.amdhsa_workgroup_processor_mode 1
		.amdhsa_memory_ordered 1
		.amdhsa_forward_progress 0
		.amdhsa_shared_vgpr_count 0
		.amdhsa_exception_fp_ieee_invalid_op 0
		.amdhsa_exception_fp_denorm_src 0
		.amdhsa_exception_fp_ieee_div_zero 0
		.amdhsa_exception_fp_ieee_overflow 0
		.amdhsa_exception_fp_ieee_underflow 0
		.amdhsa_exception_fp_ieee_inexact 0
		.amdhsa_exception_int_div_zero 0
	.end_amdhsa_kernel
	.section	.text._ZL18rocblas_dot_kernelIlLb0ELi512ELi8ELb0EDF16_PKDF16_DF16_EviT5_lT_lS2_lS3_liPT6_PT4_,"axG",@progbits,_ZL18rocblas_dot_kernelIlLb0ELi512ELi8ELb0EDF16_PKDF16_DF16_EviT5_lT_lS2_lS3_liPT6_PT4_,comdat
.Lfunc_end15:
	.size	_ZL18rocblas_dot_kernelIlLb0ELi512ELi8ELb0EDF16_PKDF16_DF16_EviT5_lT_lS2_lS3_liPT6_PT4_, .Lfunc_end15-_ZL18rocblas_dot_kernelIlLb0ELi512ELi8ELb0EDF16_PKDF16_DF16_EviT5_lT_lS2_lS3_liPT6_PT4_
                                        ; -- End function
	.section	.AMDGPU.csdata,"",@progbits
; Kernel info:
; codeLenInByte = 1252
; NumSgprs: 30
; NumVgprs: 11
; ScratchSize: 0
; MemoryBound: 0
; FloatMode: 240
; IeeeMode: 1
; LDSByteSize: 64 bytes/workgroup (compile time only)
; SGPRBlocks: 3
; VGPRBlocks: 1
; NumSGPRsForWavesPerEU: 30
; NumVGPRsForWavesPerEU: 11
; Occupancy: 16
; WaveLimiterHint : 0
; COMPUTE_PGM_RSRC2:SCRATCH_EN: 0
; COMPUTE_PGM_RSRC2:USER_SGPR: 14
; COMPUTE_PGM_RSRC2:TRAP_HANDLER: 0
; COMPUTE_PGM_RSRC2:TGID_X_EN: 1
; COMPUTE_PGM_RSRC2:TGID_Y_EN: 0
; COMPUTE_PGM_RSRC2:TGID_Z_EN: 1
; COMPUTE_PGM_RSRC2:TIDIG_COMP_CNT: 0
	.section	.text._ZL24rocblas_dot_kernel_magsqIlLb0ELi512ELi8ELb0EDF16_PKDF16_DF16_EviT5_lT_liPT6_PT4_,"axG",@progbits,_ZL24rocblas_dot_kernel_magsqIlLb0ELi512ELi8ELb0EDF16_PKDF16_DF16_EviT5_lT_liPT6_PT4_,comdat
	.globl	_ZL24rocblas_dot_kernel_magsqIlLb0ELi512ELi8ELb0EDF16_PKDF16_DF16_EviT5_lT_liPT6_PT4_ ; -- Begin function _ZL24rocblas_dot_kernel_magsqIlLb0ELi512ELi8ELb0EDF16_PKDF16_DF16_EviT5_lT_liPT6_PT4_
	.p2align	8
	.type	_ZL24rocblas_dot_kernel_magsqIlLb0ELi512ELi8ELb0EDF16_PKDF16_DF16_EviT5_lT_liPT6_PT4_,@function
_ZL24rocblas_dot_kernel_magsqIlLb0ELi512ELi8ELb0EDF16_PKDF16_DF16_EviT5_lT_liPT6_PT4_: ; @_ZL24rocblas_dot_kernel_magsqIlLb0ELi512ELi8ELb0EDF16_PKDF16_DF16_EviT5_lT_liPT6_PT4_
; %bb.0:
	s_clause 0x2
	s_load_b32 s11, s[0:1], 0x0
	s_load_b128 s[4:7], s[0:1], 0x30
	s_load_b32 s10, s[0:1], 0x40
	v_lshl_or_b32 v1, s14, 9, v0
	v_mov_b32_e32 v3, 0
	s_mov_b32 s2, s15
	s_mov_b32 s3, 0
	s_mov_b32 s12, exec_lo
	s_waitcnt lgkmcnt(0)
	v_cmpx_gt_i32_e64 s11, v1
	s_cbranch_execz .LBB16_4
; %bb.1:
	s_clause 0x2
	s_load_b128 s[16:19], s[0:1], 0x10
	s_load_b64 s[8:9], s[0:1], 0x20
	s_load_b64 s[20:21], s[0:1], 0x8
	v_ashrrev_i32_e32 v2, 31, v1
	s_lshl_b32 s1, s10, 9
	s_delay_alu instid0(SALU_CYCLE_1)
	v_add_nc_u32_e32 v4, s1, v1
	s_waitcnt lgkmcnt(0)
	v_mul_lo_u32 v5, s19, v1
	v_mul_lo_u32 v6, s18, v2
	v_mad_u64_u32 v[2:3], null, s18, v1, 0
	s_mul_i32 s0, s9, s2
	s_mul_hi_u32 s9, s8, s2
	s_mul_i32 s8, s8, s2
	s_add_i32 s9, s9, s0
	s_lshl_b64 s[16:17], s[16:17], 1
	s_lshl_b64 s[8:9], s[8:9], 1
	s_delay_alu instid0(VALU_DEP_1)
	v_add3_u32 v3, v3, v6, v5
	s_add_u32 s0, s20, s16
	s_addc_u32 s13, s21, s17
	s_add_u32 s0, s0, s8
	s_addc_u32 s13, s13, s9
	v_lshlrev_b64 v[1:2], 1, v[2:3]
	v_mov_b32_e32 v3, 0
	s_ashr_i32 s8, s1, 31
	s_mul_hi_u32 s9, s18, s1
	s_mul_i32 s8, s18, s8
	s_mul_i32 s15, s19, s1
	v_add_co_u32 v1, vcc_lo, s0, v1
	s_add_i32 s9, s9, s8
	v_add_co_ci_u32_e32 v2, vcc_lo, s13, v2, vcc_lo
	s_mul_i32 s8, s18, s1
	s_add_i32 s9, s9, s15
	s_mov_b32 s13, s3
	s_lshl_b64 s[8:9], s[8:9], 1
	s_mov_b32 s15, s3
	.p2align	6
.LBB16_2:                               ; =>This Inner Loop Header: Depth=1
	global_load_u16 v5, v[1:2], off
	s_add_i32 s16, s15, 1
	v_cmp_le_i32_e32 vcc_lo, s11, v4
	v_add_co_u32 v1, s0, v1, s8
	s_cmp_gt_u32 s15, 6
	v_add_co_ci_u32_e64 v2, s0, s9, v2, s0
	s_cselect_b32 s0, -1, 0
	v_add_nc_u32_e32 v4, s1, v4
	s_or_b32 s0, s0, vcc_lo
	s_mov_b32 s15, s16
	s_and_b32 s0, exec_lo, s0
	s_delay_alu instid0(SALU_CYCLE_1)
	s_or_b32 s13, s0, s13
	s_waitcnt vmcnt(0)
	v_fmac_f16_e32 v3, v5, v5
	s_and_not1_b32 exec_lo, exec_lo, s13
	s_cbranch_execnz .LBB16_2
; %bb.3:
	s_or_b32 exec_lo, exec_lo, s13
.LBB16_4:
	s_delay_alu instid0(SALU_CYCLE_1) | instskip(SKIP_2) | instid1(VALU_DEP_2)
	s_or_b32 exec_lo, exec_lo, s12
	v_and_b32_e32 v2, 31, v0
	v_cmp_gt_u32_e32 vcc_lo, 32, v0
	v_lshlrev_b32_e32 v1, 1, v2
	s_and_saveexec_b32 s0, vcc_lo
	s_cbranch_execz .LBB16_6
; %bb.5:
	v_mov_b32_e32 v4, 0
	ds_store_b16 v1, v4
.LBB16_6:
	s_or_b32 exec_lo, exec_lo, s0
	v_mbcnt_lo_u32_b32 v6, -1, 0
	v_and_b32_e32 v5, 0xffff, v3
	s_mov_b32 s1, exec_lo
	s_waitcnt lgkmcnt(0)
	s_barrier
	v_cmp_gt_u32_e64 s0, 16, v6
	buffer_gl0_inv
	v_cndmask_b32_e64 v4, 0, 1, s0
	v_cmp_gt_u32_e64 s0, 24, v6
	s_delay_alu instid0(VALU_DEP_2) | instskip(NEXT) | instid1(VALU_DEP_1)
	v_lshlrev_b32_e32 v4, 4, v4
	v_add_lshl_u32 v4, v4, v6, 2
	ds_bpermute_b32 v4, v4, v5
	v_cndmask_b32_e64 v5, 0, 1, s0
	v_cmp_gt_u32_e64 s0, 28, v6
	s_waitcnt lgkmcnt(0)
	v_add_f16_e32 v7, v3, v4
	s_delay_alu instid0(VALU_DEP_3) | instskip(NEXT) | instid1(VALU_DEP_2)
	v_lshlrev_b32_e32 v3, 3, v5
	v_and_b32_e32 v5, 0xffff, v7
	s_delay_alu instid0(VALU_DEP_2) | instskip(NEXT) | instid1(VALU_DEP_2)
	v_add_lshl_u32 v3, v3, v6, 2
	v_and_or_b32 v4, 0xffff0000, v4, v5
	ds_bpermute_b32 v5, v3, v4
	v_cndmask_b32_e64 v4, 0, 1, s0
	v_cmp_gt_u32_e64 s0, 30, v6
	s_delay_alu instid0(VALU_DEP_2) | instskip(NEXT) | instid1(VALU_DEP_1)
	v_lshlrev_b32_e32 v4, 2, v4
	v_add_lshl_u32 v4, v4, v6, 2
	s_waitcnt lgkmcnt(0)
	v_add_f16_e32 v7, v7, v5
	s_delay_alu instid0(VALU_DEP_1) | instskip(NEXT) | instid1(VALU_DEP_1)
	v_and_b32_e32 v8, 0xffff, v7
	v_and_or_b32 v5, 0xffff0000, v5, v8
	ds_bpermute_b32 v8, v4, v5
	v_cndmask_b32_e64 v5, 0, 1, s0
	v_cmp_ne_u32_e64 s0, 31, v6
	s_delay_alu instid0(VALU_DEP_2) | instskip(NEXT) | instid1(VALU_DEP_1)
	v_lshlrev_b32_e32 v5, 1, v5
	v_add_lshl_u32 v5, v5, v6, 2
	s_delay_alu instid0(VALU_DEP_3) | instskip(NEXT) | instid1(VALU_DEP_1)
	v_add_co_ci_u32_e64 v6, s0, 0, v6, s0
	v_lshlrev_b32_e32 v6, 2, v6
	s_waitcnt lgkmcnt(0)
	v_add_f16_e32 v7, v7, v8
	s_delay_alu instid0(VALU_DEP_1) | instskip(NEXT) | instid1(VALU_DEP_1)
	v_and_b32_e32 v9, 0xffff, v7
	v_and_or_b32 v8, 0xffff0000, v8, v9
	ds_bpermute_b32 v8, v5, v8
	s_waitcnt lgkmcnt(0)
	v_add_f16_e32 v7, v7, v8
	s_delay_alu instid0(VALU_DEP_1) | instskip(NEXT) | instid1(VALU_DEP_1)
	v_and_b32_e32 v9, 0xffff, v7
	v_and_or_b32 v8, 0xffff0000, v8, v9
	ds_bpermute_b32 v8, v6, v8
	v_cmpx_eq_u32_e32 0, v2
	s_cbranch_execz .LBB16_8
; %bb.7:
	v_lshrrev_b32_e32 v2, 4, v0
	s_waitcnt lgkmcnt(0)
	v_add_f16_e32 v7, v7, v8
	s_delay_alu instid0(VALU_DEP_2)
	v_and_b32_e32 v2, 30, v2
	ds_store_b16 v2, v7
.LBB16_8:
	s_or_b32 exec_lo, exec_lo, s1
	v_mov_b32_e32 v2, 0
	s_mov_b32 s1, exec_lo
	s_waitcnt lgkmcnt(0)
	s_barrier
	buffer_gl0_inv
	v_cmpx_gt_u32_e32 16, v0
	s_cbranch_execz .LBB16_10
; %bb.9:
	ds_load_u16 v2, v1
.LBB16_10:
	s_or_b32 exec_lo, exec_lo, s1
	s_and_saveexec_b32 s0, vcc_lo
	s_cbranch_execz .LBB16_12
; %bb.11:
	s_waitcnt lgkmcnt(0)
	v_and_b32_e32 v1, 0xffff, v2
	ds_bpermute_b32 v1, v3, v1
	s_waitcnt lgkmcnt(0)
	v_add_f16_e32 v2, v2, v1
	s_delay_alu instid0(VALU_DEP_1) | instskip(NEXT) | instid1(VALU_DEP_1)
	v_and_b32_e32 v3, 0xffff, v2
	v_and_or_b32 v1, 0xffff0000, v1, v3
	ds_bpermute_b32 v1, v4, v1
	s_waitcnt lgkmcnt(0)
	v_add_f16_e32 v2, v2, v1
	s_delay_alu instid0(VALU_DEP_1) | instskip(NEXT) | instid1(VALU_DEP_1)
	v_and_b32_e32 v3, 0xffff, v2
	v_and_or_b32 v1, 0xffff0000, v1, v3
	;; [unrolled: 6-line block ×3, first 2 shown]
	ds_bpermute_b32 v1, v6, v1
	s_waitcnt lgkmcnt(0)
	v_add_f16_e32 v2, v2, v1
.LBB16_12:
	s_or_b32 exec_lo, exec_lo, s0
	s_delay_alu instid0(SALU_CYCLE_1)
	s_mov_b32 s0, exec_lo
	v_cmpx_eq_u32_e32 0, v0
	s_cbranch_execz .LBB16_18
; %bb.13:
	s_cmp_lg_u32 s10, 1
	s_cbranch_scc0 .LBB16_15
; %bb.14:
	s_mul_hi_u32 s1, s10, s2
	s_mul_i32 s0, s10, s2
	s_mov_b32 s15, 0
	s_lshl_b64 s[0:1], s[0:1], 1
	s_delay_alu instid0(SALU_CYCLE_1) | instskip(SKIP_2) | instid1(SALU_CYCLE_1)
	s_add_u32 s4, s4, s0
	s_addc_u32 s5, s5, s1
	s_lshl_b64 s[0:1], s[14:15], 1
	s_add_u32 s0, s4, s0
	s_addc_u32 s1, s5, s1
	s_cbranch_execz .LBB16_16
	s_branch .LBB16_17
.LBB16_15:
                                        ; implicit-def: $sgpr0_sgpr1
.LBB16_16:
	s_lshl_b64 s[0:1], s[2:3], 1
	s_delay_alu instid0(SALU_CYCLE_1)
	s_add_u32 s0, s6, s0
	s_addc_u32 s1, s7, s1
.LBB16_17:
	v_mov_b32_e32 v0, 0
	s_waitcnt lgkmcnt(0)
	global_store_b16 v0, v2, s[0:1]
.LBB16_18:
	s_nop 0
	s_sendmsg sendmsg(MSG_DEALLOC_VGPRS)
	s_endpgm
	.section	.rodata,"a",@progbits
	.p2align	6, 0x0
	.amdhsa_kernel _ZL24rocblas_dot_kernel_magsqIlLb0ELi512ELi8ELb0EDF16_PKDF16_DF16_EviT5_lT_liPT6_PT4_
		.amdhsa_group_segment_fixed_size 64
		.amdhsa_private_segment_fixed_size 0
		.amdhsa_kernarg_size 320
		.amdhsa_user_sgpr_count 14
		.amdhsa_user_sgpr_dispatch_ptr 0
		.amdhsa_user_sgpr_queue_ptr 0
		.amdhsa_user_sgpr_kernarg_segment_ptr 1
		.amdhsa_user_sgpr_dispatch_id 0
		.amdhsa_user_sgpr_private_segment_size 0
		.amdhsa_wavefront_size32 1
		.amdhsa_uses_dynamic_stack 0
		.amdhsa_enable_private_segment 0
		.amdhsa_system_sgpr_workgroup_id_x 1
		.amdhsa_system_sgpr_workgroup_id_y 0
		.amdhsa_system_sgpr_workgroup_id_z 1
		.amdhsa_system_sgpr_workgroup_info 0
		.amdhsa_system_vgpr_workitem_id 0
		.amdhsa_next_free_vgpr 10
		.amdhsa_next_free_sgpr 22
		.amdhsa_reserve_vcc 1
		.amdhsa_float_round_mode_32 0
		.amdhsa_float_round_mode_16_64 0
		.amdhsa_float_denorm_mode_32 3
		.amdhsa_float_denorm_mode_16_64 3
		.amdhsa_dx10_clamp 1
		.amdhsa_ieee_mode 1
		.amdhsa_fp16_overflow 0
		.amdhsa_workgroup_processor_mode 1
		.amdhsa_memory_ordered 1
		.amdhsa_forward_progress 0
		.amdhsa_shared_vgpr_count 0
		.amdhsa_exception_fp_ieee_invalid_op 0
		.amdhsa_exception_fp_denorm_src 0
		.amdhsa_exception_fp_ieee_div_zero 0
		.amdhsa_exception_fp_ieee_overflow 0
		.amdhsa_exception_fp_ieee_underflow 0
		.amdhsa_exception_fp_ieee_inexact 0
		.amdhsa_exception_int_div_zero 0
	.end_amdhsa_kernel
	.section	.text._ZL24rocblas_dot_kernel_magsqIlLb0ELi512ELi8ELb0EDF16_PKDF16_DF16_EviT5_lT_liPT6_PT4_,"axG",@progbits,_ZL24rocblas_dot_kernel_magsqIlLb0ELi512ELi8ELb0EDF16_PKDF16_DF16_EviT5_lT_liPT6_PT4_,comdat
.Lfunc_end16:
	.size	_ZL24rocblas_dot_kernel_magsqIlLb0ELi512ELi8ELb0EDF16_PKDF16_DF16_EviT5_lT_liPT6_PT4_, .Lfunc_end16-_ZL24rocblas_dot_kernel_magsqIlLb0ELi512ELi8ELb0EDF16_PKDF16_DF16_EviT5_lT_liPT6_PT4_
                                        ; -- End function
	.section	.AMDGPU.csdata,"",@progbits
; Kernel info:
; codeLenInByte = 1100
; NumSgprs: 24
; NumVgprs: 10
; ScratchSize: 0
; MemoryBound: 0
; FloatMode: 240
; IeeeMode: 1
; LDSByteSize: 64 bytes/workgroup (compile time only)
; SGPRBlocks: 2
; VGPRBlocks: 1
; NumSGPRsForWavesPerEU: 24
; NumVGPRsForWavesPerEU: 10
; Occupancy: 16
; WaveLimiterHint : 0
; COMPUTE_PGM_RSRC2:SCRATCH_EN: 0
; COMPUTE_PGM_RSRC2:USER_SGPR: 14
; COMPUTE_PGM_RSRC2:TRAP_HANDLER: 0
; COMPUTE_PGM_RSRC2:TGID_X_EN: 1
; COMPUTE_PGM_RSRC2:TGID_Y_EN: 0
; COMPUTE_PGM_RSRC2:TGID_Z_EN: 1
; COMPUTE_PGM_RSRC2:TIDIG_COMP_CNT: 0
	.section	.text._ZL28rocblas_dot_batched_4_kernelIiLi32ELi4ELb0Ef16rocblas_bfloat16PKS0_EviT5_lT_lS3_lS4_liPT4_,"axG",@progbits,_ZL28rocblas_dot_batched_4_kernelIiLi32ELi4ELb0Ef16rocblas_bfloat16PKS0_EviT5_lT_lS3_lS4_liPT4_,comdat
	.globl	_ZL28rocblas_dot_batched_4_kernelIiLi32ELi4ELb0Ef16rocblas_bfloat16PKS0_EviT5_lT_lS3_lS4_liPT4_ ; -- Begin function _ZL28rocblas_dot_batched_4_kernelIiLi32ELi4ELb0Ef16rocblas_bfloat16PKS0_EviT5_lT_lS3_lS4_liPT4_
	.p2align	8
	.type	_ZL28rocblas_dot_batched_4_kernelIiLi32ELi4ELb0Ef16rocblas_bfloat16PKS0_EviT5_lT_lS3_lS4_liPT4_,@function
_ZL28rocblas_dot_batched_4_kernelIiLi32ELi4ELb0Ef16rocblas_bfloat16PKS0_EviT5_lT_lS3_lS4_liPT4_: ; @_ZL28rocblas_dot_batched_4_kernelIiLi32ELi4ELb0Ef16rocblas_bfloat16PKS0_EviT5_lT_lS3_lS4_liPT4_
; %bb.0:
	s_load_b32 s2, s[0:1], 0x48
	v_bfe_u32 v1, v0, 10, 10
	s_delay_alu instid0(VALU_DEP_1) | instskip(SKIP_1) | instid1(VALU_DEP_1)
	v_lshl_add_u32 v1, s15, 2, v1
	s_waitcnt lgkmcnt(0)
	v_cmp_gt_u32_e32 vcc_lo, s2, v1
	s_and_saveexec_b32 s2, vcc_lo
	s_cbranch_execz .LBB17_11
; %bb.1:
	s_clause 0x1
	s_load_b32 s12, s[0:1], 0x0
	s_load_b64 s[2:3], s[0:1], 0x50
	v_mov_b32_e32 v2, 0
	v_and_b32_e32 v0, 0x3ff, v0
	s_mov_b32 s13, exec_lo
	s_delay_alu instid0(VALU_DEP_2) | instskip(SKIP_1) | instid1(VALU_DEP_2)
	v_mov_b32_e32 v7, v2
	s_waitcnt lgkmcnt(0)
	v_cmpx_gt_i32_e64 s12, v0
	s_cbranch_execz .LBB17_5
; %bb.2:
	s_clause 0x5
	s_load_b128 s[4:7], s[0:1], 0x20
	s_load_b64 s[14:15], s[0:1], 0x40
	s_load_b32 s16, s[0:1], 0x18
	s_load_b32 s18, s[0:1], 0x38
	s_load_b128 s[8:11], s[0:1], 0x8
	s_load_b64 s[0:1], s[0:1], 0x30
	s_waitcnt lgkmcnt(0)
	v_mad_u64_u32 v[3:4], null, s4, v1, 0
	v_mad_u64_u32 v[5:6], null, s14, v1, 0
	v_mad_i64_i32 v[8:9], null, s16, v0, 0
	s_ashr_i32 s17, s16, 31
	s_ashr_i32 s19, s18, 31
	s_delay_alu instid0(VALU_DEP_2) | instskip(SKIP_1) | instid1(VALU_DEP_3)
	v_mad_u64_u32 v[10:11], null, s5, v1, v[4:5]
	v_mov_b32_e32 v7, 0
	v_lshlrev_b64 v[8:9], 1, v[8:9]
	s_lshl_b64 s[4:5], s[10:11], 1
	s_delay_alu instid0(SALU_CYCLE_1) | instskip(SKIP_1) | instid1(VALU_DEP_3)
	s_add_u32 s8, s8, s4
	s_addc_u32 s9, s9, s5
	v_mov_b32_e32 v4, v10
	v_mad_u64_u32 v[11:12], null, s15, v1, v[6:7]
	v_mad_i64_i32 v[12:13], null, s18, v0, 0
	s_delay_alu instid0(VALU_DEP_3) | instskip(SKIP_3) | instid1(VALU_DEP_3)
	v_lshlrev_b64 v[3:4], 1, v[3:4]
	s_lshl_b64 s[0:1], s[0:1], 1
	s_lshl_b64 s[4:5], s[16:17], 6
	s_add_u32 s0, s6, s0
	v_mov_b32_e32 v6, v11
	s_addc_u32 s1, s7, s1
	s_delay_alu instid0(VALU_DEP_3) | instskip(SKIP_1) | instid1(VALU_DEP_3)
	v_lshlrev_b64 v[10:11], 1, v[12:13]
	v_add_co_u32 v3, vcc_lo, v8, v3
	v_lshlrev_b64 v[5:6], 1, v[5:6]
	v_add_co_ci_u32_e32 v4, vcc_lo, v9, v4, vcc_lo
	v_mov_b32_e32 v8, v0
	s_lshl_b64 s[6:7], s[18:19], 6
	s_delay_alu instid0(VALU_DEP_3) | instskip(NEXT) | instid1(VALU_DEP_4)
	v_add_co_u32 v5, vcc_lo, v10, v5
	v_add_co_ci_u32_e32 v6, vcc_lo, v11, v6, vcc_lo
	v_add_co_u32 v3, vcc_lo, s8, v3
	v_add_co_ci_u32_e32 v4, vcc_lo, s9, v4, vcc_lo
	s_delay_alu instid0(VALU_DEP_4) | instskip(NEXT) | instid1(VALU_DEP_4)
	v_add_co_u32 v5, vcc_lo, s0, v5
	v_add_co_ci_u32_e32 v6, vcc_lo, s1, v6, vcc_lo
	s_mov_b32 s1, 0
	.p2align	6
.LBB17_3:                               ; =>This Inner Loop Header: Depth=1
	global_load_u16 v9, v[5:6], off
	global_load_u16 v10, v[3:4], off
	v_add_co_u32 v3, vcc_lo, v3, s4
	v_add_co_ci_u32_e32 v4, vcc_lo, s5, v4, vcc_lo
	v_add_co_u32 v5, vcc_lo, v5, s6
	v_add_co_ci_u32_e32 v6, vcc_lo, s7, v6, vcc_lo
	s_waitcnt vmcnt(1)
	v_lshlrev_b32_e32 v9, 16, v9
	s_waitcnt vmcnt(0)
	v_lshlrev_b32_e32 v10, 16, v10
	s_delay_alu instid0(VALU_DEP_1) | instskip(NEXT) | instid1(VALU_DEP_1)
	v_dual_fmac_f32 v7, v10, v9 :: v_dual_add_nc_u32 v8, 32, v8
	v_cmp_le_i32_e64 s0, s12, v8
	s_delay_alu instid0(VALU_DEP_1) | instskip(NEXT) | instid1(SALU_CYCLE_1)
	s_or_b32 s1, s0, s1
	s_and_not1_b32 exec_lo, exec_lo, s1
	s_cbranch_execnz .LBB17_3
; %bb.4:
	s_or_b32 exec_lo, exec_lo, s1
.LBB17_5:
	s_delay_alu instid0(SALU_CYCLE_1)
	s_or_b32 exec_lo, exec_lo, s13
	v_mbcnt_lo_u32_b32 v3, -1, 0
	s_barrier
	buffer_gl0_inv
	v_cmp_gt_u32_e32 vcc_lo, 16, v3
	v_cndmask_b32_e64 v4, 0, 1, vcc_lo
	v_cmp_gt_u32_e32 vcc_lo, 24, v3
	s_delay_alu instid0(VALU_DEP_2) | instskip(SKIP_2) | instid1(VALU_DEP_3)
	v_lshlrev_b32_e32 v4, 4, v4
	v_cndmask_b32_e64 v5, 0, 1, vcc_lo
	v_cmp_gt_u32_e32 vcc_lo, 28, v3
	v_add_lshl_u32 v4, v4, v3, 2
	v_cndmask_b32_e64 v6, 0, 1, vcc_lo
	v_cmp_gt_u32_e32 vcc_lo, 30, v3
	ds_bpermute_b32 v4, v4, v7
	v_lshlrev_b32_e32 v5, 3, v5
	v_lshlrev_b32_e32 v6, 2, v6
	s_delay_alu instid0(VALU_DEP_1)
	v_add_lshl_u32 v6, v6, v3, 2
	s_waitcnt lgkmcnt(0)
	v_add_f32_e32 v4, v7, v4
	v_add_lshl_u32 v5, v5, v3, 2
	ds_bpermute_b32 v5, v5, v4
	s_waitcnt lgkmcnt(0)
	v_add_f32_e32 v4, v4, v5
	ds_bpermute_b32 v5, v6, v4
	v_cndmask_b32_e64 v6, 0, 1, vcc_lo
	v_cmp_ne_u32_e32 vcc_lo, 31, v3
	s_delay_alu instid0(VALU_DEP_2) | instskip(NEXT) | instid1(VALU_DEP_1)
	v_lshlrev_b32_e32 v6, 1, v6
	v_add_lshl_u32 v6, v6, v3, 2
	s_waitcnt lgkmcnt(0)
	v_add_f32_e32 v4, v4, v5
	ds_bpermute_b32 v5, v6, v4
	v_add_co_ci_u32_e32 v6, vcc_lo, 0, v3, vcc_lo
	v_cmp_eq_u32_e32 vcc_lo, 0, v0
	s_waitcnt lgkmcnt(0)
	s_delay_alu instid0(VALU_DEP_2)
	v_dual_add_f32 v3, v4, v5 :: v_dual_lshlrev_b32 v4, 2, v6
	ds_bpermute_b32 v4, v4, v3
	s_and_b32 exec_lo, exec_lo, vcc_lo
	s_cbranch_execz .LBB17_11
; %bb.6:
	s_waitcnt lgkmcnt(0)
	v_add_f32_e32 v3, v3, v4
	s_delay_alu instid0(VALU_DEP_1) | instskip(NEXT) | instid1(VALU_DEP_1)
	v_and_b32_e32 v0, 0x7f800000, v3
	v_cmp_ne_u32_e32 vcc_lo, 0x7f800000, v0
                                        ; implicit-def: $vgpr0
	s_and_saveexec_b32 s0, vcc_lo
	s_delay_alu instid0(SALU_CYCLE_1)
	s_xor_b32 s0, exec_lo, s0
; %bb.7:
	v_bfe_u32 v0, v3, 16, 1
	s_delay_alu instid0(VALU_DEP_1)
	v_add3_u32 v0, v3, v0, 0x7fff
                                        ; implicit-def: $vgpr3
; %bb.8:
	s_and_not1_saveexec_b32 s0, s0
; %bb.9:
	v_and_b32_e32 v0, 0xffff, v3
	v_or_b32_e32 v4, 0x10000, v3
	s_delay_alu instid0(VALU_DEP_2) | instskip(NEXT) | instid1(VALU_DEP_2)
	v_cmp_eq_u32_e32 vcc_lo, 0, v0
	v_cndmask_b32_e32 v0, v4, v3, vcc_lo
; %bb.10:
	s_or_b32 exec_lo, exec_lo, s0
	v_lshlrev_b64 v[1:2], 1, v[1:2]
	s_delay_alu instid0(VALU_DEP_1) | instskip(NEXT) | instid1(VALU_DEP_2)
	v_add_co_u32 v1, vcc_lo, s2, v1
	v_add_co_ci_u32_e32 v2, vcc_lo, s3, v2, vcc_lo
	global_store_d16_hi_b16 v[1:2], v0, off
.LBB17_11:
	s_nop 0
	s_sendmsg sendmsg(MSG_DEALLOC_VGPRS)
	s_endpgm
	.section	.rodata,"a",@progbits
	.p2align	6, 0x0
	.amdhsa_kernel _ZL28rocblas_dot_batched_4_kernelIiLi32ELi4ELb0Ef16rocblas_bfloat16PKS0_EviT5_lT_lS3_lS4_liPT4_
		.amdhsa_group_segment_fixed_size 0
		.amdhsa_private_segment_fixed_size 0
		.amdhsa_kernarg_size 88
		.amdhsa_user_sgpr_count 15
		.amdhsa_user_sgpr_dispatch_ptr 0
		.amdhsa_user_sgpr_queue_ptr 0
		.amdhsa_user_sgpr_kernarg_segment_ptr 1
		.amdhsa_user_sgpr_dispatch_id 0
		.amdhsa_user_sgpr_private_segment_size 0
		.amdhsa_wavefront_size32 1
		.amdhsa_uses_dynamic_stack 0
		.amdhsa_enable_private_segment 0
		.amdhsa_system_sgpr_workgroup_id_x 1
		.amdhsa_system_sgpr_workgroup_id_y 0
		.amdhsa_system_sgpr_workgroup_id_z 0
		.amdhsa_system_sgpr_workgroup_info 0
		.amdhsa_system_vgpr_workitem_id 1
		.amdhsa_next_free_vgpr 14
		.amdhsa_next_free_sgpr 20
		.amdhsa_reserve_vcc 1
		.amdhsa_float_round_mode_32 0
		.amdhsa_float_round_mode_16_64 0
		.amdhsa_float_denorm_mode_32 3
		.amdhsa_float_denorm_mode_16_64 3
		.amdhsa_dx10_clamp 1
		.amdhsa_ieee_mode 1
		.amdhsa_fp16_overflow 0
		.amdhsa_workgroup_processor_mode 1
		.amdhsa_memory_ordered 1
		.amdhsa_forward_progress 0
		.amdhsa_shared_vgpr_count 0
		.amdhsa_exception_fp_ieee_invalid_op 0
		.amdhsa_exception_fp_denorm_src 0
		.amdhsa_exception_fp_ieee_div_zero 0
		.amdhsa_exception_fp_ieee_overflow 0
		.amdhsa_exception_fp_ieee_underflow 0
		.amdhsa_exception_fp_ieee_inexact 0
		.amdhsa_exception_int_div_zero 0
	.end_amdhsa_kernel
	.section	.text._ZL28rocblas_dot_batched_4_kernelIiLi32ELi4ELb0Ef16rocblas_bfloat16PKS0_EviT5_lT_lS3_lS4_liPT4_,"axG",@progbits,_ZL28rocblas_dot_batched_4_kernelIiLi32ELi4ELb0Ef16rocblas_bfloat16PKS0_EviT5_lT_lS3_lS4_liPT4_,comdat
.Lfunc_end17:
	.size	_ZL28rocblas_dot_batched_4_kernelIiLi32ELi4ELb0Ef16rocblas_bfloat16PKS0_EviT5_lT_lS3_lS4_liPT4_, .Lfunc_end17-_ZL28rocblas_dot_batched_4_kernelIiLi32ELi4ELb0Ef16rocblas_bfloat16PKS0_EviT5_lT_lS3_lS4_liPT4_
                                        ; -- End function
	.section	.AMDGPU.csdata,"",@progbits
; Kernel info:
; codeLenInByte = 848
; NumSgprs: 22
; NumVgprs: 14
; ScratchSize: 0
; MemoryBound: 0
; FloatMode: 240
; IeeeMode: 1
; LDSByteSize: 0 bytes/workgroup (compile time only)
; SGPRBlocks: 2
; VGPRBlocks: 1
; NumSGPRsForWavesPerEU: 22
; NumVGPRsForWavesPerEU: 14
; Occupancy: 16
; WaveLimiterHint : 0
; COMPUTE_PGM_RSRC2:SCRATCH_EN: 0
; COMPUTE_PGM_RSRC2:USER_SGPR: 15
; COMPUTE_PGM_RSRC2:TRAP_HANDLER: 0
; COMPUTE_PGM_RSRC2:TGID_X_EN: 1
; COMPUTE_PGM_RSRC2:TGID_Y_EN: 0
; COMPUTE_PGM_RSRC2:TGID_Z_EN: 0
; COMPUTE_PGM_RSRC2:TIDIG_COMP_CNT: 1
	.section	.text._ZL28rocblas_dot_batched_4_kernelIiLi64ELi4ELb0Ef16rocblas_bfloat16PKS0_EviT5_lT_lS3_lS4_liPT4_,"axG",@progbits,_ZL28rocblas_dot_batched_4_kernelIiLi64ELi4ELb0Ef16rocblas_bfloat16PKS0_EviT5_lT_lS3_lS4_liPT4_,comdat
	.globl	_ZL28rocblas_dot_batched_4_kernelIiLi64ELi4ELb0Ef16rocblas_bfloat16PKS0_EviT5_lT_lS3_lS4_liPT4_ ; -- Begin function _ZL28rocblas_dot_batched_4_kernelIiLi64ELi4ELb0Ef16rocblas_bfloat16PKS0_EviT5_lT_lS3_lS4_liPT4_
	.p2align	8
	.type	_ZL28rocblas_dot_batched_4_kernelIiLi64ELi4ELb0Ef16rocblas_bfloat16PKS0_EviT5_lT_lS3_lS4_liPT4_,@function
_ZL28rocblas_dot_batched_4_kernelIiLi64ELi4ELb0Ef16rocblas_bfloat16PKS0_EviT5_lT_lS3_lS4_liPT4_: ; @_ZL28rocblas_dot_batched_4_kernelIiLi64ELi4ELb0Ef16rocblas_bfloat16PKS0_EviT5_lT_lS3_lS4_liPT4_
; %bb.0:
	s_load_b32 s2, s[0:1], 0x48
	v_bfe_u32 v1, v0, 10, 10
	s_delay_alu instid0(VALU_DEP_1) | instskip(SKIP_1) | instid1(VALU_DEP_1)
	v_lshl_add_u32 v1, s15, 2, v1
	s_waitcnt lgkmcnt(0)
	v_cmp_gt_u32_e32 vcc_lo, s2, v1
	s_and_saveexec_b32 s2, vcc_lo
	s_cbranch_execz .LBB18_11
; %bb.1:
	s_clause 0x1
	s_load_b32 s12, s[0:1], 0x0
	s_load_b64 s[2:3], s[0:1], 0x50
	v_mov_b32_e32 v2, 0
	v_and_b32_e32 v0, 0x3ff, v0
	s_mov_b32 s13, exec_lo
	s_delay_alu instid0(VALU_DEP_2) | instskip(SKIP_1) | instid1(VALU_DEP_2)
	v_mov_b32_e32 v7, v2
	s_waitcnt lgkmcnt(0)
	v_cmpx_gt_i32_e64 s12, v0
	s_cbranch_execz .LBB18_5
; %bb.2:
	s_clause 0x5
	s_load_b128 s[4:7], s[0:1], 0x20
	s_load_b64 s[14:15], s[0:1], 0x40
	s_load_b32 s16, s[0:1], 0x18
	s_load_b32 s18, s[0:1], 0x38
	s_load_b128 s[8:11], s[0:1], 0x8
	s_load_b64 s[0:1], s[0:1], 0x30
	s_waitcnt lgkmcnt(0)
	v_mad_u64_u32 v[3:4], null, s4, v1, 0
	v_mad_u64_u32 v[5:6], null, s14, v1, 0
	v_mad_i64_i32 v[8:9], null, s16, v0, 0
	s_ashr_i32 s17, s16, 31
	s_ashr_i32 s19, s18, 31
	s_delay_alu instid0(VALU_DEP_2) | instskip(SKIP_1) | instid1(VALU_DEP_3)
	v_mad_u64_u32 v[10:11], null, s5, v1, v[4:5]
	v_mov_b32_e32 v7, 0
	v_lshlrev_b64 v[8:9], 1, v[8:9]
	s_lshl_b64 s[4:5], s[10:11], 1
	s_delay_alu instid0(SALU_CYCLE_1) | instskip(SKIP_1) | instid1(VALU_DEP_3)
	s_add_u32 s8, s8, s4
	s_addc_u32 s9, s9, s5
	v_mov_b32_e32 v4, v10
	v_mad_u64_u32 v[11:12], null, s15, v1, v[6:7]
	v_mad_i64_i32 v[12:13], null, s18, v0, 0
	s_delay_alu instid0(VALU_DEP_3) | instskip(SKIP_3) | instid1(VALU_DEP_3)
	v_lshlrev_b64 v[3:4], 1, v[3:4]
	s_lshl_b64 s[0:1], s[0:1], 1
	s_lshl_b64 s[4:5], s[16:17], 7
	s_add_u32 s0, s6, s0
	v_mov_b32_e32 v6, v11
	s_addc_u32 s1, s7, s1
	s_delay_alu instid0(VALU_DEP_3) | instskip(SKIP_1) | instid1(VALU_DEP_3)
	v_lshlrev_b64 v[10:11], 1, v[12:13]
	v_add_co_u32 v3, vcc_lo, v8, v3
	v_lshlrev_b64 v[5:6], 1, v[5:6]
	v_add_co_ci_u32_e32 v4, vcc_lo, v9, v4, vcc_lo
	v_mov_b32_e32 v8, v0
	s_lshl_b64 s[6:7], s[18:19], 7
	s_delay_alu instid0(VALU_DEP_3) | instskip(NEXT) | instid1(VALU_DEP_4)
	v_add_co_u32 v5, vcc_lo, v10, v5
	v_add_co_ci_u32_e32 v6, vcc_lo, v11, v6, vcc_lo
	v_add_co_u32 v3, vcc_lo, s8, v3
	v_add_co_ci_u32_e32 v4, vcc_lo, s9, v4, vcc_lo
	s_delay_alu instid0(VALU_DEP_4) | instskip(NEXT) | instid1(VALU_DEP_4)
	v_add_co_u32 v5, vcc_lo, s0, v5
	v_add_co_ci_u32_e32 v6, vcc_lo, s1, v6, vcc_lo
	s_mov_b32 s1, 0
	.p2align	6
.LBB18_3:                               ; =>This Inner Loop Header: Depth=1
	global_load_u16 v9, v[5:6], off
	global_load_u16 v10, v[3:4], off
	v_add_co_u32 v3, vcc_lo, v3, s4
	v_add_co_ci_u32_e32 v4, vcc_lo, s5, v4, vcc_lo
	v_add_co_u32 v5, vcc_lo, v5, s6
	v_add_co_ci_u32_e32 v6, vcc_lo, s7, v6, vcc_lo
	s_waitcnt vmcnt(1)
	v_lshlrev_b32_e32 v9, 16, v9
	s_waitcnt vmcnt(0)
	v_lshlrev_b32_e32 v10, 16, v10
	s_delay_alu instid0(VALU_DEP_1) | instskip(NEXT) | instid1(VALU_DEP_1)
	v_dual_fmac_f32 v7, v10, v9 :: v_dual_add_nc_u32 v8, 64, v8
	v_cmp_le_i32_e64 s0, s12, v8
	s_delay_alu instid0(VALU_DEP_1) | instskip(NEXT) | instid1(SALU_CYCLE_1)
	s_or_b32 s1, s0, s1
	s_and_not1_b32 exec_lo, exec_lo, s1
	s_cbranch_execnz .LBB18_3
; %bb.4:
	s_or_b32 exec_lo, exec_lo, s1
.LBB18_5:
	s_delay_alu instid0(SALU_CYCLE_1)
	s_or_b32 exec_lo, exec_lo, s13
	v_mbcnt_lo_u32_b32 v3, -1, 0
	s_barrier
	buffer_gl0_inv
	v_lshlrev_b32_e32 v4, 2, v3
	v_cmp_gt_u32_e32 vcc_lo, 16, v3
	ds_bpermute_b32 v4, v4, v7
	v_cndmask_b32_e64 v5, 0, 1, vcc_lo
	v_cmp_gt_u32_e32 vcc_lo, 24, v3
	s_delay_alu instid0(VALU_DEP_2) | instskip(SKIP_2) | instid1(VALU_DEP_2)
	v_lshlrev_b32_e32 v5, 4, v5
	v_cndmask_b32_e64 v6, 0, 1, vcc_lo
	v_cmp_gt_u32_e32 vcc_lo, 28, v3
	v_lshlrev_b32_e32 v6, 3, v6
	s_delay_alu instid0(VALU_DEP_1)
	v_add_lshl_u32 v6, v6, v3, 2
	s_waitcnt lgkmcnt(0)
	v_add_f32_e32 v4, v7, v4
	v_add_lshl_u32 v5, v5, v3, 2
	ds_bpermute_b32 v5, v5, v4
	s_waitcnt lgkmcnt(0)
	v_add_f32_e32 v4, v4, v5
	ds_bpermute_b32 v5, v6, v4
	v_cndmask_b32_e64 v6, 0, 1, vcc_lo
	v_cmp_gt_u32_e32 vcc_lo, 30, v3
	s_delay_alu instid0(VALU_DEP_2) | instskip(NEXT) | instid1(VALU_DEP_1)
	v_lshlrev_b32_e32 v6, 2, v6
	v_add_lshl_u32 v6, v6, v3, 2
	s_waitcnt lgkmcnt(0)
	v_add_f32_e32 v4, v4, v5
	ds_bpermute_b32 v5, v6, v4
	v_cndmask_b32_e64 v6, 0, 1, vcc_lo
	v_cmp_ne_u32_e32 vcc_lo, 31, v3
	s_delay_alu instid0(VALU_DEP_2) | instskip(NEXT) | instid1(VALU_DEP_1)
	v_lshlrev_b32_e32 v6, 1, v6
	v_add_lshl_u32 v6, v6, v3, 2
	s_waitcnt lgkmcnt(0)
	v_add_f32_e32 v4, v4, v5
	ds_bpermute_b32 v5, v6, v4
	v_add_co_ci_u32_e32 v6, vcc_lo, 0, v3, vcc_lo
	v_cmp_eq_u32_e32 vcc_lo, 0, v0
	s_waitcnt lgkmcnt(0)
	s_delay_alu instid0(VALU_DEP_2)
	v_dual_add_f32 v3, v4, v5 :: v_dual_lshlrev_b32 v4, 2, v6
	ds_bpermute_b32 v4, v4, v3
	s_and_b32 exec_lo, exec_lo, vcc_lo
	s_cbranch_execz .LBB18_11
; %bb.6:
	s_waitcnt lgkmcnt(0)
	v_add_f32_e32 v3, v3, v4
	s_delay_alu instid0(VALU_DEP_1) | instskip(NEXT) | instid1(VALU_DEP_1)
	v_and_b32_e32 v0, 0x7f800000, v3
	v_cmp_ne_u32_e32 vcc_lo, 0x7f800000, v0
                                        ; implicit-def: $vgpr0
	s_and_saveexec_b32 s0, vcc_lo
	s_delay_alu instid0(SALU_CYCLE_1)
	s_xor_b32 s0, exec_lo, s0
; %bb.7:
	v_bfe_u32 v0, v3, 16, 1
	s_delay_alu instid0(VALU_DEP_1)
	v_add3_u32 v0, v3, v0, 0x7fff
                                        ; implicit-def: $vgpr3
; %bb.8:
	s_and_not1_saveexec_b32 s0, s0
; %bb.9:
	v_and_b32_e32 v0, 0xffff, v3
	v_or_b32_e32 v4, 0x10000, v3
	s_delay_alu instid0(VALU_DEP_2) | instskip(NEXT) | instid1(VALU_DEP_2)
	v_cmp_eq_u32_e32 vcc_lo, 0, v0
	v_cndmask_b32_e32 v0, v4, v3, vcc_lo
; %bb.10:
	s_or_b32 exec_lo, exec_lo, s0
	v_lshlrev_b64 v[1:2], 1, v[1:2]
	s_delay_alu instid0(VALU_DEP_1) | instskip(NEXT) | instid1(VALU_DEP_2)
	v_add_co_u32 v1, vcc_lo, s2, v1
	v_add_co_ci_u32_e32 v2, vcc_lo, s3, v2, vcc_lo
	global_store_d16_hi_b16 v[1:2], v0, off
.LBB18_11:
	s_nop 0
	s_sendmsg sendmsg(MSG_DEALLOC_VGPRS)
	s_endpgm
	.section	.rodata,"a",@progbits
	.p2align	6, 0x0
	.amdhsa_kernel _ZL28rocblas_dot_batched_4_kernelIiLi64ELi4ELb0Ef16rocblas_bfloat16PKS0_EviT5_lT_lS3_lS4_liPT4_
		.amdhsa_group_segment_fixed_size 0
		.amdhsa_private_segment_fixed_size 0
		.amdhsa_kernarg_size 88
		.amdhsa_user_sgpr_count 15
		.amdhsa_user_sgpr_dispatch_ptr 0
		.amdhsa_user_sgpr_queue_ptr 0
		.amdhsa_user_sgpr_kernarg_segment_ptr 1
		.amdhsa_user_sgpr_dispatch_id 0
		.amdhsa_user_sgpr_private_segment_size 0
		.amdhsa_wavefront_size32 1
		.amdhsa_uses_dynamic_stack 0
		.amdhsa_enable_private_segment 0
		.amdhsa_system_sgpr_workgroup_id_x 1
		.amdhsa_system_sgpr_workgroup_id_y 0
		.amdhsa_system_sgpr_workgroup_id_z 0
		.amdhsa_system_sgpr_workgroup_info 0
		.amdhsa_system_vgpr_workitem_id 1
		.amdhsa_next_free_vgpr 14
		.amdhsa_next_free_sgpr 20
		.amdhsa_reserve_vcc 1
		.amdhsa_float_round_mode_32 0
		.amdhsa_float_round_mode_16_64 0
		.amdhsa_float_denorm_mode_32 3
		.amdhsa_float_denorm_mode_16_64 3
		.amdhsa_dx10_clamp 1
		.amdhsa_ieee_mode 1
		.amdhsa_fp16_overflow 0
		.amdhsa_workgroup_processor_mode 1
		.amdhsa_memory_ordered 1
		.amdhsa_forward_progress 0
		.amdhsa_shared_vgpr_count 0
		.amdhsa_exception_fp_ieee_invalid_op 0
		.amdhsa_exception_fp_denorm_src 0
		.amdhsa_exception_fp_ieee_div_zero 0
		.amdhsa_exception_fp_ieee_overflow 0
		.amdhsa_exception_fp_ieee_underflow 0
		.amdhsa_exception_fp_ieee_inexact 0
		.amdhsa_exception_int_div_zero 0
	.end_amdhsa_kernel
	.section	.text._ZL28rocblas_dot_batched_4_kernelIiLi64ELi4ELb0Ef16rocblas_bfloat16PKS0_EviT5_lT_lS3_lS4_liPT4_,"axG",@progbits,_ZL28rocblas_dot_batched_4_kernelIiLi64ELi4ELb0Ef16rocblas_bfloat16PKS0_EviT5_lT_lS3_lS4_liPT4_,comdat
.Lfunc_end18:
	.size	_ZL28rocblas_dot_batched_4_kernelIiLi64ELi4ELb0Ef16rocblas_bfloat16PKS0_EviT5_lT_lS3_lS4_liPT4_, .Lfunc_end18-_ZL28rocblas_dot_batched_4_kernelIiLi64ELi4ELb0Ef16rocblas_bfloat16PKS0_EviT5_lT_lS3_lS4_liPT4_
                                        ; -- End function
	.section	.AMDGPU.csdata,"",@progbits
; Kernel info:
; codeLenInByte = 872
; NumSgprs: 22
; NumVgprs: 14
; ScratchSize: 0
; MemoryBound: 0
; FloatMode: 240
; IeeeMode: 1
; LDSByteSize: 0 bytes/workgroup (compile time only)
; SGPRBlocks: 2
; VGPRBlocks: 1
; NumSGPRsForWavesPerEU: 22
; NumVGPRsForWavesPerEU: 14
; Occupancy: 16
; WaveLimiterHint : 0
; COMPUTE_PGM_RSRC2:SCRATCH_EN: 0
; COMPUTE_PGM_RSRC2:USER_SGPR: 15
; COMPUTE_PGM_RSRC2:TRAP_HANDLER: 0
; COMPUTE_PGM_RSRC2:TGID_X_EN: 1
; COMPUTE_PGM_RSRC2:TGID_Y_EN: 0
; COMPUTE_PGM_RSRC2:TGID_Z_EN: 0
; COMPUTE_PGM_RSRC2:TIDIG_COMP_CNT: 1
	.section	.text._ZL26rocblas_dot_kernel_inc1by2ILb1ELi1024ELi32ELb0E16rocblas_bfloat16PKS0_fEviT4_llS3_lliPT5_PT3_,"axG",@progbits,_ZL26rocblas_dot_kernel_inc1by2ILb1ELi1024ELi32ELb0E16rocblas_bfloat16PKS0_fEviT4_llS3_lliPT5_PT3_,comdat
	.globl	_ZL26rocblas_dot_kernel_inc1by2ILb1ELi1024ELi32ELb0E16rocblas_bfloat16PKS0_fEviT4_llS3_lliPT5_PT3_ ; -- Begin function _ZL26rocblas_dot_kernel_inc1by2ILb1ELi1024ELi32ELb0E16rocblas_bfloat16PKS0_fEviT4_llS3_lliPT5_PT3_
	.p2align	8
	.type	_ZL26rocblas_dot_kernel_inc1by2ILb1ELi1024ELi32ELb0E16rocblas_bfloat16PKS0_fEviT4_llS3_lliPT5_PT3_,@function
_ZL26rocblas_dot_kernel_inc1by2ILb1ELi1024ELi32ELb0E16rocblas_bfloat16PKS0_fEviT4_llS3_lliPT5_PT3_: ; @_ZL26rocblas_dot_kernel_inc1by2ILb1ELi1024ELi32ELb0E16rocblas_bfloat16PKS0_fEviT4_llS3_lliPT5_PT3_
; %bb.0:
	s_mov_b32 s2, s15
	s_clause 0x5
	s_load_b128 s[8:11], s[0:1], 0x10
	s_load_b128 s[4:7], s[0:1], 0x28
	s_load_b32 s17, s[0:1], 0x0
	s_load_b64 s[12:13], s[0:1], 0x48
	s_load_b64 s[14:15], s[0:1], 0x8
	;; [unrolled: 1-line block ×3, first 2 shown]
	v_dual_mov_b32 v5, 0 :: v_dual_lshlrev_b32 v6, 1, v0
	s_mov_b32 s3, 0
	s_waitcnt lgkmcnt(0)
	s_mul_i32 s11, s2, s11
	s_mul_hi_u32 s18, s2, s10
	s_mul_i32 s7, s2, s7
	s_mul_hi_u32 s19, s2, s6
	s_add_i32 s16, s17, -1
	s_add_i32 s11, s18, s11
	s_mul_i32 s10, s2, s10
	s_add_i32 s7, s19, s7
	s_mul_i32 s6, s2, s6
	s_mov_b32 s18, exec_lo
	v_cmpx_gt_i32_e64 s16, v6
	s_cbranch_execz .LBB19_4
; %bb.1:
	s_lshl_b64 s[22:23], s[4:5], 1
	s_lshl_b64 s[20:21], s[6:7], 1
	v_lshlrev_b32_e32 v3, 2, v0
	s_add_u32 s19, s0, s22
	s_addc_u32 s22, s1, s23
	s_add_u32 s19, s19, s20
	s_addc_u32 s20, s22, s21
	v_add_co_u32 v1, s19, s19, v3
	s_delay_alu instid0(VALU_DEP_1)
	v_add_co_ci_u32_e64 v2, null, s20, 0, s19
	s_lshl_b64 s[20:21], s[8:9], 1
	s_lshl_b64 s[22:23], s[10:11], 1
	s_add_u32 s19, s14, s20
	s_addc_u32 s20, s15, s21
	s_add_u32 s19, s19, s22
	s_addc_u32 s20, s20, s23
	v_add_co_u32 v3, s19, s19, v3
	v_mov_b32_e32 v5, 0
	v_add_co_ci_u32_e64 v4, null, s20, 0, s19
	s_mov_b32 s19, s3
	s_mov_b32 s20, s3
	.p2align	6
.LBB19_2:                               ; =>This Inner Loop Header: Depth=1
	global_load_b32 v7, v[1:2], off
	global_load_b32 v8, v[3:4], off
	v_add_co_u32 v1, vcc_lo, 0x1000, v1
	v_add_co_ci_u32_e32 v2, vcc_lo, 0, v2, vcc_lo
	v_add_co_u32 v3, vcc_lo, 0x1000, v3
	v_add_co_ci_u32_e32 v4, vcc_lo, 0, v4, vcc_lo
	s_add_i32 s21, s20, 1
	s_cmp_gt_u32 s20, 30
	s_cselect_b32 s20, -1, 0
	s_waitcnt vmcnt(1)
	v_lshlrev_b32_e32 v9, 16, v7
	s_waitcnt vmcnt(0)
	v_lshlrev_b32_e32 v10, 16, v8
	v_and_b32_e32 v7, 0xffff0000, v7
	s_delay_alu instid0(VALU_DEP_2) | instskip(NEXT) | instid1(VALU_DEP_1)
	v_dual_fmac_f32 v5, v9, v10 :: v_dual_and_b32 v8, 0xffff0000, v8
	v_dual_fmac_f32 v5, v7, v8 :: v_dual_add_nc_u32 v6, 0x800, v6
	s_delay_alu instid0(VALU_DEP_1) | instskip(SKIP_1) | instid1(SALU_CYCLE_1)
	v_cmp_le_i32_e32 vcc_lo, s16, v6
	s_or_b32 s20, s20, vcc_lo
	s_and_b32 s20, exec_lo, s20
	s_delay_alu instid0(SALU_CYCLE_1)
	s_or_b32 s19, s20, s19
	s_mov_b32 s20, s21
	s_and_not1_b32 exec_lo, exec_lo, s19
	s_cbranch_execnz .LBB19_2
; %bb.3:
	s_or_b32 exec_lo, exec_lo, s19
.LBB19_4:
	s_delay_alu instid0(SALU_CYCLE_1) | instskip(SKIP_3) | instid1(SALU_CYCLE_1)
	s_or_b32 exec_lo, exec_lo, s18
	v_cmp_eq_u32_e32 vcc_lo, s16, v6
	s_bitcmp1_b32 s17, 0
	s_cselect_b32 s17, -1, 0
	s_and_b32 s17, s17, vcc_lo
	s_delay_alu instid0(SALU_CYCLE_1)
	s_and_saveexec_b32 s18, s17
	s_cbranch_execz .LBB19_6
; %bb.5:
	s_lshl_b64 s[10:11], s[10:11], 1
	s_mov_b32 s17, 0
	s_add_u32 s10, s14, s10
	s_addc_u32 s11, s15, s11
	s_lshl_b64 s[8:9], s[8:9], 1
	v_mov_b32_e32 v1, 0
	s_add_u32 s8, s10, s8
	s_addc_u32 s9, s11, s9
	s_lshl_b64 s[6:7], s[6:7], 1
	s_delay_alu instid0(SALU_CYCLE_1) | instskip(SKIP_2) | instid1(SALU_CYCLE_1)
	s_add_u32 s6, s0, s6
	s_addc_u32 s7, s1, s7
	s_lshl_b64 s[0:1], s[4:5], 1
	s_add_u32 s4, s6, s0
	s_addc_u32 s5, s7, s1
	s_lshl_b64 s[0:1], s[16:17], 1
	s_delay_alu instid0(SALU_CYCLE_1)
	s_add_u32 s4, s4, s0
	s_addc_u32 s5, s5, s1
	s_add_u32 s0, s8, s0
	s_addc_u32 s1, s9, s1
	s_clause 0x1
	global_load_u16 v2, v1, s[0:1]
	global_load_u16 v1, v1, s[4:5]
	s_waitcnt vmcnt(1)
	v_lshlrev_b32_e32 v2, 16, v2
	s_waitcnt vmcnt(0)
	v_lshlrev_b32_e32 v1, 16, v1
	s_delay_alu instid0(VALU_DEP_1)
	v_fmac_f32_e32 v5, v1, v2
.LBB19_6:
	s_or_b32 exec_lo, exec_lo, s18
	v_and_b32_e32 v8, 31, v0
	v_cmp_gt_u32_e32 vcc_lo, 32, v0
	s_delay_alu instid0(VALU_DEP_2)
	v_lshlrev_b32_e32 v1, 2, v8
	s_and_saveexec_b32 s0, vcc_lo
	s_cbranch_execz .LBB19_8
; %bb.7:
	v_mov_b32_e32 v2, 0
	ds_store_b32 v1, v2
.LBB19_8:
	s_or_b32 exec_lo, exec_lo, s0
	v_mbcnt_lo_u32_b32 v7, -1, 0
	s_mov_b32 s1, exec_lo
	s_waitcnt lgkmcnt(0)
	s_barrier
	buffer_gl0_inv
	v_cmp_gt_u32_e64 s0, 16, v7
	s_delay_alu instid0(VALU_DEP_1) | instskip(SKIP_1) | instid1(VALU_DEP_2)
	v_cndmask_b32_e64 v2, 0, 1, s0
	v_cmp_gt_u32_e64 s0, 24, v7
	v_lshlrev_b32_e32 v2, 4, v2
	s_delay_alu instid0(VALU_DEP_2) | instskip(SKIP_1) | instid1(VALU_DEP_3)
	v_cndmask_b32_e64 v3, 0, 1, s0
	v_cmp_gt_u32_e64 s0, 28, v7
	v_add_lshl_u32 v2, v2, v7, 2
	s_delay_alu instid0(VALU_DEP_3)
	v_lshlrev_b32_e32 v3, 3, v3
	ds_bpermute_b32 v4, v2, v5
	v_add_lshl_u32 v3, v3, v7, 2
	s_waitcnt lgkmcnt(0)
	v_add_f32_e32 v5, v5, v4
	v_cndmask_b32_e64 v4, 0, 1, s0
	v_cmp_gt_u32_e64 s0, 30, v7
	ds_bpermute_b32 v6, v3, v5
	s_waitcnt lgkmcnt(0)
	v_dual_add_f32 v5, v5, v6 :: v_dual_lshlrev_b32 v4, 2, v4
	s_delay_alu instid0(VALU_DEP_1)
	v_add_lshl_u32 v4, v4, v7, 2
	v_cndmask_b32_e64 v6, 0, 1, s0
	v_cmp_ne_u32_e64 s0, 31, v7
	ds_bpermute_b32 v9, v4, v5
	s_waitcnt lgkmcnt(0)
	v_dual_add_f32 v5, v5, v9 :: v_dual_lshlrev_b32 v6, 1, v6
	s_delay_alu instid0(VALU_DEP_1)
	v_add_lshl_u32 v6, v6, v7, 2
	v_add_co_ci_u32_e64 v7, s0, 0, v7, s0
	ds_bpermute_b32 v9, v6, v5
	v_lshlrev_b32_e32 v7, 2, v7
	s_waitcnt lgkmcnt(0)
	v_add_f32_e32 v5, v5, v9
	ds_bpermute_b32 v9, v7, v5
	v_cmpx_eq_u32_e32 0, v8
	s_cbranch_execz .LBB19_10
; %bb.9:
	v_lshrrev_b32_e32 v8, 3, v0
	s_waitcnt lgkmcnt(0)
	s_delay_alu instid0(VALU_DEP_1)
	v_dual_add_f32 v5, v5, v9 :: v_dual_and_b32 v8, 0x7c, v8
	ds_store_b32 v8, v5
.LBB19_10:
	s_or_b32 exec_lo, exec_lo, s1
	v_mov_b32_e32 v5, 0
	s_waitcnt lgkmcnt(0)
	s_barrier
	buffer_gl0_inv
	s_and_saveexec_b32 s0, vcc_lo
	s_cbranch_execz .LBB19_12
; %bb.11:
	ds_load_b32 v5, v1
.LBB19_12:
	s_or_b32 exec_lo, exec_lo, s0
	s_and_saveexec_b32 s0, vcc_lo
	s_cbranch_execz .LBB19_14
; %bb.13:
	s_waitcnt lgkmcnt(0)
	ds_bpermute_b32 v1, v2, v5
	s_waitcnt lgkmcnt(0)
	v_add_f32_e32 v1, v5, v1
	ds_bpermute_b32 v2, v3, v1
	s_waitcnt lgkmcnt(0)
	v_add_f32_e32 v1, v1, v2
	;; [unrolled: 3-line block ×5, first 2 shown]
.LBB19_14:
	s_or_b32 exec_lo, exec_lo, s0
	s_delay_alu instid0(SALU_CYCLE_1)
	s_mov_b32 s0, exec_lo
	v_cmpx_eq_u32_e32 0, v0
	s_cbranch_execz .LBB19_20
; %bb.15:
	s_waitcnt lgkmcnt(0)
	v_and_b32_e32 v0, 0x7f800000, v5
	s_delay_alu instid0(VALU_DEP_1) | instskip(SKIP_1) | instid1(SALU_CYCLE_1)
	v_cmp_ne_u32_e32 vcc_lo, 0x7f800000, v0
                                        ; implicit-def: $vgpr0
	s_and_saveexec_b32 s0, vcc_lo
	s_xor_b32 s0, exec_lo, s0
; %bb.16:
	v_bfe_u32 v0, v5, 16, 1
	s_delay_alu instid0(VALU_DEP_1)
	v_add3_u32 v0, v5, v0, 0x7fff
                                        ; implicit-def: $vgpr5
; %bb.17:
	s_and_not1_saveexec_b32 s0, s0
; %bb.18:
	v_and_b32_e32 v0, 0xffff, v5
	v_or_b32_e32 v1, 0x10000, v5
	s_delay_alu instid0(VALU_DEP_2) | instskip(NEXT) | instid1(VALU_DEP_2)
	v_cmp_eq_u32_e32 vcc_lo, 0, v0
	v_cndmask_b32_e32 v0, v1, v5, vcc_lo
; %bb.19:
	s_or_b32 exec_lo, exec_lo, s0
	s_lshl_b64 s[0:1], s[2:3], 1
	v_mov_b32_e32 v1, 0
	s_add_u32 s0, s12, s0
	s_addc_u32 s1, s13, s1
	global_store_d16_hi_b16 v1, v0, s[0:1]
.LBB19_20:
	s_nop 0
	s_sendmsg sendmsg(MSG_DEALLOC_VGPRS)
	s_endpgm
	.section	.rodata,"a",@progbits
	.p2align	6, 0x0
	.amdhsa_kernel _ZL26rocblas_dot_kernel_inc1by2ILb1ELi1024ELi32ELb0E16rocblas_bfloat16PKS0_fEviT4_llS3_lliPT5_PT3_
		.amdhsa_group_segment_fixed_size 128
		.amdhsa_private_segment_fixed_size 0
		.amdhsa_kernarg_size 80
		.amdhsa_user_sgpr_count 14
		.amdhsa_user_sgpr_dispatch_ptr 0
		.amdhsa_user_sgpr_queue_ptr 0
		.amdhsa_user_sgpr_kernarg_segment_ptr 1
		.amdhsa_user_sgpr_dispatch_id 0
		.amdhsa_user_sgpr_private_segment_size 0
		.amdhsa_wavefront_size32 1
		.amdhsa_uses_dynamic_stack 0
		.amdhsa_enable_private_segment 0
		.amdhsa_system_sgpr_workgroup_id_x 1
		.amdhsa_system_sgpr_workgroup_id_y 0
		.amdhsa_system_sgpr_workgroup_id_z 1
		.amdhsa_system_sgpr_workgroup_info 0
		.amdhsa_system_vgpr_workitem_id 0
		.amdhsa_next_free_vgpr 11
		.amdhsa_next_free_sgpr 24
		.amdhsa_reserve_vcc 1
		.amdhsa_float_round_mode_32 0
		.amdhsa_float_round_mode_16_64 0
		.amdhsa_float_denorm_mode_32 3
		.amdhsa_float_denorm_mode_16_64 3
		.amdhsa_dx10_clamp 1
		.amdhsa_ieee_mode 1
		.amdhsa_fp16_overflow 0
		.amdhsa_workgroup_processor_mode 1
		.amdhsa_memory_ordered 1
		.amdhsa_forward_progress 0
		.amdhsa_shared_vgpr_count 0
		.amdhsa_exception_fp_ieee_invalid_op 0
		.amdhsa_exception_fp_denorm_src 0
		.amdhsa_exception_fp_ieee_div_zero 0
		.amdhsa_exception_fp_ieee_overflow 0
		.amdhsa_exception_fp_ieee_underflow 0
		.amdhsa_exception_fp_ieee_inexact 0
		.amdhsa_exception_int_div_zero 0
	.end_amdhsa_kernel
	.section	.text._ZL26rocblas_dot_kernel_inc1by2ILb1ELi1024ELi32ELb0E16rocblas_bfloat16PKS0_fEviT4_llS3_lliPT5_PT3_,"axG",@progbits,_ZL26rocblas_dot_kernel_inc1by2ILb1ELi1024ELi32ELb0E16rocblas_bfloat16PKS0_fEviT4_llS3_lliPT5_PT3_,comdat
.Lfunc_end19:
	.size	_ZL26rocblas_dot_kernel_inc1by2ILb1ELi1024ELi32ELb0E16rocblas_bfloat16PKS0_fEviT4_llS3_lliPT5_PT3_, .Lfunc_end19-_ZL26rocblas_dot_kernel_inc1by2ILb1ELi1024ELi32ELb0E16rocblas_bfloat16PKS0_fEviT4_llS3_lliPT5_PT3_
                                        ; -- End function
	.section	.AMDGPU.csdata,"",@progbits
; Kernel info:
; codeLenInByte = 1160
; NumSgprs: 26
; NumVgprs: 11
; ScratchSize: 0
; MemoryBound: 0
; FloatMode: 240
; IeeeMode: 1
; LDSByteSize: 128 bytes/workgroup (compile time only)
; SGPRBlocks: 3
; VGPRBlocks: 1
; NumSGPRsForWavesPerEU: 26
; NumVGPRsForWavesPerEU: 11
; Occupancy: 16
; WaveLimiterHint : 0
; COMPUTE_PGM_RSRC2:SCRATCH_EN: 0
; COMPUTE_PGM_RSRC2:USER_SGPR: 14
; COMPUTE_PGM_RSRC2:TRAP_HANDLER: 0
; COMPUTE_PGM_RSRC2:TGID_X_EN: 1
; COMPUTE_PGM_RSRC2:TGID_Y_EN: 0
; COMPUTE_PGM_RSRC2:TGID_Z_EN: 1
; COMPUTE_PGM_RSRC2:TIDIG_COMP_CNT: 0
	.section	.text._ZL18rocblas_dot_kernelIiLb1ELi1024ELi32ELb0E16rocblas_bfloat16PKS0_fEviT5_lT_lS3_lS4_liPT6_PT4_,"axG",@progbits,_ZL18rocblas_dot_kernelIiLb1ELi1024ELi32ELb0E16rocblas_bfloat16PKS0_fEviT5_lT_lS3_lS4_liPT6_PT4_,comdat
	.globl	_ZL18rocblas_dot_kernelIiLb1ELi1024ELi32ELb0E16rocblas_bfloat16PKS0_fEviT5_lT_lS3_lS4_liPT6_PT4_ ; -- Begin function _ZL18rocblas_dot_kernelIiLb1ELi1024ELi32ELb0E16rocblas_bfloat16PKS0_fEviT5_lT_lS3_lS4_liPT6_PT4_
	.p2align	8
	.type	_ZL18rocblas_dot_kernelIiLb1ELi1024ELi32ELb0E16rocblas_bfloat16PKS0_fEviT5_lT_lS3_lS4_liPT6_PT4_,@function
_ZL18rocblas_dot_kernelIiLb1ELi1024ELi32ELb0E16rocblas_bfloat16PKS0_fEviT5_lT_lS3_lS4_liPT6_PT4_: ; @_ZL18rocblas_dot_kernelIiLb1ELi1024ELi32ELb0E16rocblas_bfloat16PKS0_fEviT5_lT_lS3_lS4_liPT6_PT4_
; %bb.0:
	s_clause 0x1
	s_load_b32 s10, s[0:1], 0x0
	s_load_b64 s[2:3], s[0:1], 0x58
	v_mov_b32_e32 v5, 0
	s_mov_b32 s8, s15
	s_mov_b32 s9, 0
	s_mov_b32 s11, exec_lo
	s_waitcnt lgkmcnt(0)
	v_cmpx_gt_i32_e64 s10, v0
	s_cbranch_execz .LBB20_4
; %bb.1:
	s_clause 0x6
	s_load_b32 s20, s[0:1], 0x60
	s_load_b128 s[4:7], s[0:1], 0x20
	s_load_b32 s22, s[0:1], 0x18
	s_load_b128 s[12:15], s[0:1], 0x8
	s_load_b64 s[16:17], s[0:1], 0x40
	s_load_b32 s23, s[0:1], 0x38
	s_load_b64 s[18:19], s[0:1], 0x30
	v_mov_b32_e32 v5, 0
	s_waitcnt lgkmcnt(0)
	s_lshl_b32 s1, s20, 10
	s_mul_i32 s0, s5, s8
	v_mad_i64_i32 v[1:2], null, s22, v0, 0
	s_mul_hi_u32 s5, s4, s8
	s_mul_i32 s4, s4, s8
	v_mad_i64_i32 v[3:4], null, s23, v0, 0
	s_add_i32 s5, s5, s0
	s_lshl_b64 s[14:15], s[14:15], 1
	s_delay_alu instid0(VALU_DEP_2)
	v_lshlrev_b64 v[1:2], 1, v[1:2]
	s_lshl_b64 s[4:5], s[4:5], 1
	s_add_u32 s0, s12, s14
	s_addc_u32 s12, s13, s15
	s_mul_i32 s17, s17, s8
	s_mul_hi_u32 s24, s16, s8
	s_add_u32 s0, s0, s4
	s_mul_i32 s16, s16, s8
	s_mul_hi_i32 s21, s22, s1
	s_mul_i32 s20, s22, s1
	s_addc_u32 s12, s12, s5
	s_add_i32 s17, s24, s17
	v_add_co_u32 v1, vcc_lo, s0, v1
	s_lshl_b64 s[14:15], s[18:19], 1
	v_lshlrev_b64 v[3:4], 1, v[3:4]
	s_lshl_b64 s[4:5], s[20:21], 1
	v_add_co_ci_u32_e32 v2, vcc_lo, s12, v2, vcc_lo
	s_lshl_b64 s[12:13], s[16:17], 1
	s_add_u32 s0, s6, s14
	s_addc_u32 s6, s7, s15
	s_add_u32 s0, s0, s12
	s_addc_u32 s6, s6, s13
	v_add_co_u32 v3, vcc_lo, s0, v3
	v_or_b32_e32 v6, s1, v0
	v_add_co_ci_u32_e32 v4, vcc_lo, s6, v4, vcc_lo
	s_mul_hi_i32 s7, s23, s1
	s_mul_i32 s6, s23, s1
	s_mov_b32 s12, s9
	s_lshl_b64 s[6:7], s[6:7], 1
	s_mov_b32 s13, s9
	.p2align	6
.LBB20_2:                               ; =>This Inner Loop Header: Depth=1
	global_load_u16 v7, v[1:2], off
	global_load_u16 v8, v[3:4], off
	v_add_co_u32 v1, s0, v1, s4
	s_delay_alu instid0(VALU_DEP_1)
	v_add_co_ci_u32_e64 v2, s0, s5, v2, s0
	s_add_i32 s14, s13, 1
	v_cmp_le_i32_e32 vcc_lo, s10, v6
	v_add_co_u32 v3, s0, v3, s6
	s_cmp_gt_u32 s13, 30
	v_add_co_ci_u32_e64 v4, s0, s7, v4, s0
	s_cselect_b32 s0, -1, 0
	s_mov_b32 s13, s14
	s_or_b32 s0, s0, vcc_lo
	s_delay_alu instid0(SALU_CYCLE_1) | instskip(NEXT) | instid1(SALU_CYCLE_1)
	s_and_b32 s0, exec_lo, s0
	s_or_b32 s12, s0, s12
	s_waitcnt vmcnt(1)
	v_lshlrev_b32_e32 v7, 16, v7
	s_waitcnt vmcnt(0)
	v_lshlrev_b32_e32 v8, 16, v8
	s_delay_alu instid0(VALU_DEP_1)
	v_dual_fmac_f32 v5, v8, v7 :: v_dual_add_nc_u32 v6, s1, v6
	s_and_not1_b32 exec_lo, exec_lo, s12
	s_cbranch_execnz .LBB20_2
; %bb.3:
	s_or_b32 exec_lo, exec_lo, s12
.LBB20_4:
	s_delay_alu instid0(SALU_CYCLE_1) | instskip(SKIP_2) | instid1(VALU_DEP_2)
	s_or_b32 exec_lo, exec_lo, s11
	v_and_b32_e32 v8, 31, v0
	v_cmp_gt_u32_e32 vcc_lo, 32, v0
	v_lshlrev_b32_e32 v1, 2, v8
	s_and_saveexec_b32 s0, vcc_lo
	s_cbranch_execz .LBB20_6
; %bb.5:
	v_mov_b32_e32 v2, 0
	ds_store_b32 v1, v2
.LBB20_6:
	s_or_b32 exec_lo, exec_lo, s0
	v_mbcnt_lo_u32_b32 v7, -1, 0
	s_mov_b32 s1, exec_lo
	s_waitcnt lgkmcnt(0)
	s_barrier
	buffer_gl0_inv
	v_cmp_gt_u32_e64 s0, 16, v7
	s_delay_alu instid0(VALU_DEP_1) | instskip(SKIP_1) | instid1(VALU_DEP_2)
	v_cndmask_b32_e64 v2, 0, 1, s0
	v_cmp_gt_u32_e64 s0, 24, v7
	v_lshlrev_b32_e32 v2, 4, v2
	s_delay_alu instid0(VALU_DEP_2) | instskip(SKIP_1) | instid1(VALU_DEP_3)
	v_cndmask_b32_e64 v3, 0, 1, s0
	v_cmp_gt_u32_e64 s0, 28, v7
	v_add_lshl_u32 v2, v2, v7, 2
	s_delay_alu instid0(VALU_DEP_3)
	v_lshlrev_b32_e32 v3, 3, v3
	ds_bpermute_b32 v4, v2, v5
	v_add_lshl_u32 v3, v3, v7, 2
	s_waitcnt lgkmcnt(0)
	v_add_f32_e32 v5, v5, v4
	v_cndmask_b32_e64 v4, 0, 1, s0
	v_cmp_gt_u32_e64 s0, 30, v7
	ds_bpermute_b32 v6, v3, v5
	s_waitcnt lgkmcnt(0)
	v_dual_add_f32 v5, v5, v6 :: v_dual_lshlrev_b32 v4, 2, v4
	s_delay_alu instid0(VALU_DEP_1)
	v_add_lshl_u32 v4, v4, v7, 2
	v_cndmask_b32_e64 v6, 0, 1, s0
	v_cmp_ne_u32_e64 s0, 31, v7
	ds_bpermute_b32 v9, v4, v5
	s_waitcnt lgkmcnt(0)
	v_dual_add_f32 v5, v5, v9 :: v_dual_lshlrev_b32 v6, 1, v6
	s_delay_alu instid0(VALU_DEP_1)
	v_add_lshl_u32 v6, v6, v7, 2
	v_add_co_ci_u32_e64 v7, s0, 0, v7, s0
	ds_bpermute_b32 v9, v6, v5
	v_lshlrev_b32_e32 v7, 2, v7
	s_waitcnt lgkmcnt(0)
	v_add_f32_e32 v5, v5, v9
	ds_bpermute_b32 v9, v7, v5
	v_cmpx_eq_u32_e32 0, v8
	s_cbranch_execz .LBB20_8
; %bb.7:
	v_lshrrev_b32_e32 v8, 3, v0
	s_waitcnt lgkmcnt(0)
	s_delay_alu instid0(VALU_DEP_1)
	v_dual_add_f32 v5, v5, v9 :: v_dual_and_b32 v8, 0x7c, v8
	ds_store_b32 v8, v5
.LBB20_8:
	s_or_b32 exec_lo, exec_lo, s1
	v_mov_b32_e32 v5, 0
	s_waitcnt lgkmcnt(0)
	s_barrier
	buffer_gl0_inv
	s_and_saveexec_b32 s0, vcc_lo
	s_cbranch_execz .LBB20_10
; %bb.9:
	ds_load_b32 v5, v1
.LBB20_10:
	s_or_b32 exec_lo, exec_lo, s0
	s_and_saveexec_b32 s0, vcc_lo
	s_cbranch_execz .LBB20_12
; %bb.11:
	s_waitcnt lgkmcnt(0)
	ds_bpermute_b32 v1, v2, v5
	s_waitcnt lgkmcnt(0)
	v_add_f32_e32 v1, v5, v1
	ds_bpermute_b32 v2, v3, v1
	s_waitcnt lgkmcnt(0)
	v_add_f32_e32 v1, v1, v2
	ds_bpermute_b32 v2, v4, v1
	s_waitcnt lgkmcnt(0)
	v_add_f32_e32 v1, v1, v2
	ds_bpermute_b32 v2, v6, v1
	s_waitcnt lgkmcnt(0)
	v_add_f32_e32 v1, v1, v2
	ds_bpermute_b32 v2, v7, v1
	s_waitcnt lgkmcnt(0)
	v_add_f32_e32 v5, v1, v2
.LBB20_12:
	s_or_b32 exec_lo, exec_lo, s0
	s_delay_alu instid0(SALU_CYCLE_1)
	s_mov_b32 s0, exec_lo
	v_cmpx_eq_u32_e32 0, v0
	s_cbranch_execz .LBB20_18
; %bb.13:
	s_waitcnt lgkmcnt(0)
	v_and_b32_e32 v0, 0x7f800000, v5
	s_delay_alu instid0(VALU_DEP_1) | instskip(SKIP_1) | instid1(SALU_CYCLE_1)
	v_cmp_ne_u32_e32 vcc_lo, 0x7f800000, v0
                                        ; implicit-def: $vgpr0
	s_and_saveexec_b32 s0, vcc_lo
	s_xor_b32 s0, exec_lo, s0
; %bb.14:
	v_bfe_u32 v0, v5, 16, 1
	s_delay_alu instid0(VALU_DEP_1)
	v_add3_u32 v0, v5, v0, 0x7fff
                                        ; implicit-def: $vgpr5
; %bb.15:
	s_and_not1_saveexec_b32 s0, s0
; %bb.16:
	v_and_b32_e32 v0, 0xffff, v5
	v_or_b32_e32 v1, 0x10000, v5
	s_delay_alu instid0(VALU_DEP_2) | instskip(NEXT) | instid1(VALU_DEP_2)
	v_cmp_eq_u32_e32 vcc_lo, 0, v0
	v_cndmask_b32_e32 v0, v1, v5, vcc_lo
; %bb.17:
	s_or_b32 exec_lo, exec_lo, s0
	s_lshl_b64 s[0:1], s[8:9], 1
	v_mov_b32_e32 v1, 0
	s_add_u32 s0, s2, s0
	s_addc_u32 s1, s3, s1
	global_store_d16_hi_b16 v1, v0, s[0:1]
.LBB20_18:
	s_nop 0
	s_sendmsg sendmsg(MSG_DEALLOC_VGPRS)
	s_endpgm
	.section	.rodata,"a",@progbits
	.p2align	6, 0x0
	.amdhsa_kernel _ZL18rocblas_dot_kernelIiLb1ELi1024ELi32ELb0E16rocblas_bfloat16PKS0_fEviT5_lT_lS3_lS4_liPT6_PT4_
		.amdhsa_group_segment_fixed_size 128
		.amdhsa_private_segment_fixed_size 0
		.amdhsa_kernarg_size 352
		.amdhsa_user_sgpr_count 14
		.amdhsa_user_sgpr_dispatch_ptr 0
		.amdhsa_user_sgpr_queue_ptr 0
		.amdhsa_user_sgpr_kernarg_segment_ptr 1
		.amdhsa_user_sgpr_dispatch_id 0
		.amdhsa_user_sgpr_private_segment_size 0
		.amdhsa_wavefront_size32 1
		.amdhsa_uses_dynamic_stack 0
		.amdhsa_enable_private_segment 0
		.amdhsa_system_sgpr_workgroup_id_x 1
		.amdhsa_system_sgpr_workgroup_id_y 0
		.amdhsa_system_sgpr_workgroup_id_z 1
		.amdhsa_system_sgpr_workgroup_info 0
		.amdhsa_system_vgpr_workitem_id 0
		.amdhsa_next_free_vgpr 10
		.amdhsa_next_free_sgpr 25
		.amdhsa_reserve_vcc 1
		.amdhsa_float_round_mode_32 0
		.amdhsa_float_round_mode_16_64 0
		.amdhsa_float_denorm_mode_32 3
		.amdhsa_float_denorm_mode_16_64 3
		.amdhsa_dx10_clamp 1
		.amdhsa_ieee_mode 1
		.amdhsa_fp16_overflow 0
		.amdhsa_workgroup_processor_mode 1
		.amdhsa_memory_ordered 1
		.amdhsa_forward_progress 0
		.amdhsa_shared_vgpr_count 0
		.amdhsa_exception_fp_ieee_invalid_op 0
		.amdhsa_exception_fp_denorm_src 0
		.amdhsa_exception_fp_ieee_div_zero 0
		.amdhsa_exception_fp_ieee_overflow 0
		.amdhsa_exception_fp_ieee_underflow 0
		.amdhsa_exception_fp_ieee_inexact 0
		.amdhsa_exception_int_div_zero 0
	.end_amdhsa_kernel
	.section	.text._ZL18rocblas_dot_kernelIiLb1ELi1024ELi32ELb0E16rocblas_bfloat16PKS0_fEviT5_lT_lS3_lS4_liPT6_PT4_,"axG",@progbits,_ZL18rocblas_dot_kernelIiLb1ELi1024ELi32ELb0E16rocblas_bfloat16PKS0_fEviT5_lT_lS3_lS4_liPT6_PT4_,comdat
.Lfunc_end20:
	.size	_ZL18rocblas_dot_kernelIiLb1ELi1024ELi32ELb0E16rocblas_bfloat16PKS0_fEviT5_lT_lS3_lS4_liPT6_PT4_, .Lfunc_end20-_ZL18rocblas_dot_kernelIiLb1ELi1024ELi32ELb0E16rocblas_bfloat16PKS0_fEviT5_lT_lS3_lS4_liPT6_PT4_
                                        ; -- End function
	.section	.AMDGPU.csdata,"",@progbits
; Kernel info:
; codeLenInByte = 1048
; NumSgprs: 27
; NumVgprs: 10
; ScratchSize: 0
; MemoryBound: 0
; FloatMode: 240
; IeeeMode: 1
; LDSByteSize: 128 bytes/workgroup (compile time only)
; SGPRBlocks: 3
; VGPRBlocks: 1
; NumSGPRsForWavesPerEU: 27
; NumVGPRsForWavesPerEU: 10
; Occupancy: 16
; WaveLimiterHint : 0
; COMPUTE_PGM_RSRC2:SCRATCH_EN: 0
; COMPUTE_PGM_RSRC2:USER_SGPR: 14
; COMPUTE_PGM_RSRC2:TRAP_HANDLER: 0
; COMPUTE_PGM_RSRC2:TGID_X_EN: 1
; COMPUTE_PGM_RSRC2:TGID_Y_EN: 0
; COMPUTE_PGM_RSRC2:TGID_Z_EN: 1
; COMPUTE_PGM_RSRC2:TIDIG_COMP_CNT: 0
	.section	.text._ZL24rocblas_dot_kernel_magsqIiLb1ELi1024ELi32ELb0E16rocblas_bfloat16PKS0_fEviT5_lT_liPT6_PT4_,"axG",@progbits,_ZL24rocblas_dot_kernel_magsqIiLb1ELi1024ELi32ELb0E16rocblas_bfloat16PKS0_fEviT5_lT_liPT6_PT4_,comdat
	.globl	_ZL24rocblas_dot_kernel_magsqIiLb1ELi1024ELi32ELb0E16rocblas_bfloat16PKS0_fEviT5_lT_liPT6_PT4_ ; -- Begin function _ZL24rocblas_dot_kernel_magsqIiLb1ELi1024ELi32ELb0E16rocblas_bfloat16PKS0_fEviT5_lT_liPT6_PT4_
	.p2align	8
	.type	_ZL24rocblas_dot_kernel_magsqIiLb1ELi1024ELi32ELb0E16rocblas_bfloat16PKS0_fEviT5_lT_liPT6_PT4_,@function
_ZL24rocblas_dot_kernel_magsqIiLb1ELi1024ELi32ELb0E16rocblas_bfloat16PKS0_fEviT5_lT_liPT6_PT4_: ; @_ZL24rocblas_dot_kernel_magsqIiLb1ELi1024ELi32ELb0E16rocblas_bfloat16PKS0_fEviT5_lT_liPT6_PT4_
; %bb.0:
	s_clause 0x1
	s_load_b32 s8, s[0:1], 0x0
	s_load_b64 s[2:3], s[0:1], 0x38
	v_mov_b32_e32 v3, 0
	s_mov_b32 s4, s15
	s_mov_b32 s5, 0
	s_mov_b32 s9, exec_lo
	s_waitcnt lgkmcnt(0)
	v_cmpx_gt_i32_e64 s8, v0
	s_cbranch_execz .LBB21_4
; %bb.1:
	s_clause 0x3
	s_load_b32 s10, s[0:1], 0x40
	s_load_b64 s[6:7], s[0:1], 0x20
	s_load_b32 s16, s[0:1], 0x18
	s_load_b128 s[12:15], s[0:1], 0x8
	v_mov_b32_e32 v3, 0
	s_waitcnt lgkmcnt(0)
	s_lshl_b32 s1, s10, 10
	s_mul_i32 s0, s7, s4
	v_mad_i64_i32 v[1:2], null, s16, v0, 0
	s_mul_hi_u32 s7, s6, s4
	s_mul_i32 s6, s6, s4
	s_add_i32 s7, s7, s0
	s_lshl_b64 s[10:11], s[14:15], 1
	s_lshl_b64 s[6:7], s[6:7], 1
	s_add_u32 s0, s12, s10
	s_delay_alu instid0(VALU_DEP_1)
	v_lshlrev_b64 v[1:2], 1, v[1:2]
	s_addc_u32 s10, s13, s11
	s_add_u32 s0, s0, s6
	s_addc_u32 s6, s10, s7
	v_or_b32_e32 v4, s1, v0
	s_mul_hi_i32 s15, s16, s1
	v_add_co_u32 v1, vcc_lo, s0, v1
	v_add_co_ci_u32_e32 v2, vcc_lo, s6, v2, vcc_lo
	s_mul_i32 s14, s16, s1
	s_mov_b32 s10, s5
	s_lshl_b64 s[6:7], s[14:15], 1
	s_mov_b32 s11, s5
	.p2align	6
.LBB21_2:                               ; =>This Inner Loop Header: Depth=1
	global_load_u16 v5, v[1:2], off
	s_add_i32 s12, s11, 1
	v_cmp_le_i32_e32 vcc_lo, s8, v4
	v_add_co_u32 v1, s0, v1, s6
	s_cmp_gt_u32 s11, 30
	v_add_co_ci_u32_e64 v2, s0, s7, v2, s0
	s_cselect_b32 s0, -1, 0
	s_mov_b32 s11, s12
	s_or_b32 s0, s0, vcc_lo
	s_delay_alu instid0(SALU_CYCLE_1) | instskip(NEXT) | instid1(SALU_CYCLE_1)
	s_and_b32 s0, exec_lo, s0
	s_or_b32 s10, s0, s10
	s_waitcnt vmcnt(0)
	v_lshlrev_b32_e32 v5, 16, v5
	s_delay_alu instid0(VALU_DEP_1)
	v_dual_fmac_f32 v3, v5, v5 :: v_dual_add_nc_u32 v4, s1, v4
	s_and_not1_b32 exec_lo, exec_lo, s10
	s_cbranch_execnz .LBB21_2
; %bb.3:
	s_or_b32 exec_lo, exec_lo, s10
.LBB21_4:
	s_delay_alu instid0(SALU_CYCLE_1) | instskip(SKIP_2) | instid1(VALU_DEP_2)
	s_or_b32 exec_lo, exec_lo, s9
	v_and_b32_e32 v5, 31, v0
	v_cmp_gt_u32_e32 vcc_lo, 32, v0
	v_lshlrev_b32_e32 v1, 2, v5
	s_and_saveexec_b32 s0, vcc_lo
	s_cbranch_execz .LBB21_6
; %bb.5:
	v_mov_b32_e32 v2, 0
	ds_store_b32 v1, v2
.LBB21_6:
	s_or_b32 exec_lo, exec_lo, s0
	v_mbcnt_lo_u32_b32 v7, -1, 0
	s_mov_b32 s1, exec_lo
	s_waitcnt lgkmcnt(0)
	s_barrier
	buffer_gl0_inv
	v_cmp_gt_u32_e64 s0, 16, v7
	s_delay_alu instid0(VALU_DEP_1) | instskip(SKIP_1) | instid1(VALU_DEP_2)
	v_cndmask_b32_e64 v2, 0, 1, s0
	v_cmp_gt_u32_e64 s0, 24, v7
	v_lshlrev_b32_e32 v2, 4, v2
	s_delay_alu instid0(VALU_DEP_2) | instskip(SKIP_1) | instid1(VALU_DEP_3)
	v_cndmask_b32_e64 v4, 0, 1, s0
	v_cmp_gt_u32_e64 s0, 28, v7
	v_add_lshl_u32 v2, v2, v7, 2
	s_delay_alu instid0(VALU_DEP_3)
	v_lshlrev_b32_e32 v4, 3, v4
	ds_bpermute_b32 v6, v2, v3
	v_add_lshl_u32 v4, v4, v7, 2
	s_waitcnt lgkmcnt(0)
	v_add_f32_e32 v6, v3, v6
	v_cndmask_b32_e64 v3, 0, 1, s0
	v_cmp_gt_u32_e64 s0, 30, v7
	s_delay_alu instid0(VALU_DEP_2)
	v_lshlrev_b32_e32 v3, 2, v3
	ds_bpermute_b32 v8, v4, v6
	v_add_lshl_u32 v3, v3, v7, 2
	s_waitcnt lgkmcnt(0)
	v_add_f32_e32 v8, v6, v8
	v_cndmask_b32_e64 v6, 0, 1, s0
	v_cmp_ne_u32_e64 s0, 31, v7
	s_delay_alu instid0(VALU_DEP_2) | instskip(NEXT) | instid1(VALU_DEP_1)
	v_lshlrev_b32_e32 v6, 1, v6
	v_add_lshl_u32 v6, v6, v7, 2
	s_delay_alu instid0(VALU_DEP_3) | instskip(NEXT) | instid1(VALU_DEP_1)
	v_add_co_ci_u32_e64 v7, s0, 0, v7, s0
	v_lshlrev_b32_e32 v7, 2, v7
	ds_bpermute_b32 v9, v3, v8
	s_waitcnt lgkmcnt(0)
	v_add_f32_e32 v8, v8, v9
	ds_bpermute_b32 v9, v6, v8
	s_waitcnt lgkmcnt(0)
	v_add_f32_e32 v8, v8, v9
	ds_bpermute_b32 v9, v7, v8
	v_cmpx_eq_u32_e32 0, v5
	s_cbranch_execz .LBB21_8
; %bb.7:
	v_lshrrev_b32_e32 v5, 3, v0
	s_waitcnt lgkmcnt(0)
	v_add_f32_e32 v8, v8, v9
	s_delay_alu instid0(VALU_DEP_2)
	v_and_b32_e32 v5, 0x7c, v5
	ds_store_b32 v5, v8
.LBB21_8:
	s_or_b32 exec_lo, exec_lo, s1
	v_mov_b32_e32 v5, 0
	s_waitcnt lgkmcnt(0)
	s_barrier
	buffer_gl0_inv
	s_and_saveexec_b32 s0, vcc_lo
	s_cbranch_execz .LBB21_10
; %bb.9:
	ds_load_b32 v5, v1
.LBB21_10:
	s_or_b32 exec_lo, exec_lo, s0
	s_and_saveexec_b32 s0, vcc_lo
	s_cbranch_execz .LBB21_12
; %bb.11:
	s_waitcnt lgkmcnt(0)
	ds_bpermute_b32 v1, v2, v5
	s_waitcnt lgkmcnt(0)
	v_add_f32_e32 v1, v5, v1
	ds_bpermute_b32 v2, v4, v1
	s_waitcnt lgkmcnt(0)
	v_add_f32_e32 v1, v1, v2
	;; [unrolled: 3-line block ×5, first 2 shown]
.LBB21_12:
	s_or_b32 exec_lo, exec_lo, s0
	s_delay_alu instid0(SALU_CYCLE_1)
	s_mov_b32 s0, exec_lo
	v_cmpx_eq_u32_e32 0, v0
	s_cbranch_execz .LBB21_18
; %bb.13:
	s_waitcnt lgkmcnt(0)
	v_and_b32_e32 v0, 0x7f800000, v5
	s_delay_alu instid0(VALU_DEP_1) | instskip(SKIP_1) | instid1(SALU_CYCLE_1)
	v_cmp_ne_u32_e32 vcc_lo, 0x7f800000, v0
                                        ; implicit-def: $vgpr0
	s_and_saveexec_b32 s0, vcc_lo
	s_xor_b32 s0, exec_lo, s0
; %bb.14:
	v_bfe_u32 v0, v5, 16, 1
	s_delay_alu instid0(VALU_DEP_1)
	v_add3_u32 v0, v5, v0, 0x7fff
                                        ; implicit-def: $vgpr5
; %bb.15:
	s_and_not1_saveexec_b32 s0, s0
; %bb.16:
	v_and_b32_e32 v0, 0xffff, v5
	v_or_b32_e32 v1, 0x10000, v5
	s_delay_alu instid0(VALU_DEP_2) | instskip(NEXT) | instid1(VALU_DEP_2)
	v_cmp_eq_u32_e32 vcc_lo, 0, v0
	v_cndmask_b32_e32 v0, v1, v5, vcc_lo
; %bb.17:
	s_or_b32 exec_lo, exec_lo, s0
	s_lshl_b64 s[0:1], s[4:5], 1
	v_mov_b32_e32 v1, 0
	s_add_u32 s0, s2, s0
	s_addc_u32 s1, s3, s1
	global_store_d16_hi_b16 v1, v0, s[0:1]
.LBB21_18:
	s_nop 0
	s_sendmsg sendmsg(MSG_DEALLOC_VGPRS)
	s_endpgm
	.section	.rodata,"a",@progbits
	.p2align	6, 0x0
	.amdhsa_kernel _ZL24rocblas_dot_kernel_magsqIiLb1ELi1024ELi32ELb0E16rocblas_bfloat16PKS0_fEviT5_lT_liPT6_PT4_
		.amdhsa_group_segment_fixed_size 128
		.amdhsa_private_segment_fixed_size 0
		.amdhsa_kernarg_size 320
		.amdhsa_user_sgpr_count 14
		.amdhsa_user_sgpr_dispatch_ptr 0
		.amdhsa_user_sgpr_queue_ptr 0
		.amdhsa_user_sgpr_kernarg_segment_ptr 1
		.amdhsa_user_sgpr_dispatch_id 0
		.amdhsa_user_sgpr_private_segment_size 0
		.amdhsa_wavefront_size32 1
		.amdhsa_uses_dynamic_stack 0
		.amdhsa_enable_private_segment 0
		.amdhsa_system_sgpr_workgroup_id_x 1
		.amdhsa_system_sgpr_workgroup_id_y 0
		.amdhsa_system_sgpr_workgroup_id_z 1
		.amdhsa_system_sgpr_workgroup_info 0
		.amdhsa_system_vgpr_workitem_id 0
		.amdhsa_next_free_vgpr 10
		.amdhsa_next_free_sgpr 17
		.amdhsa_reserve_vcc 1
		.amdhsa_float_round_mode_32 0
		.amdhsa_float_round_mode_16_64 0
		.amdhsa_float_denorm_mode_32 3
		.amdhsa_float_denorm_mode_16_64 3
		.amdhsa_dx10_clamp 1
		.amdhsa_ieee_mode 1
		.amdhsa_fp16_overflow 0
		.amdhsa_workgroup_processor_mode 1
		.amdhsa_memory_ordered 1
		.amdhsa_forward_progress 0
		.amdhsa_shared_vgpr_count 0
		.amdhsa_exception_fp_ieee_invalid_op 0
		.amdhsa_exception_fp_denorm_src 0
		.amdhsa_exception_fp_ieee_div_zero 0
		.amdhsa_exception_fp_ieee_overflow 0
		.amdhsa_exception_fp_ieee_underflow 0
		.amdhsa_exception_fp_ieee_inexact 0
		.amdhsa_exception_int_div_zero 0
	.end_amdhsa_kernel
	.section	.text._ZL24rocblas_dot_kernel_magsqIiLb1ELi1024ELi32ELb0E16rocblas_bfloat16PKS0_fEviT5_lT_liPT6_PT4_,"axG",@progbits,_ZL24rocblas_dot_kernel_magsqIiLb1ELi1024ELi32ELb0E16rocblas_bfloat16PKS0_fEviT5_lT_liPT6_PT4_,comdat
.Lfunc_end21:
	.size	_ZL24rocblas_dot_kernel_magsqIiLb1ELi1024ELi32ELb0E16rocblas_bfloat16PKS0_fEviT5_lT_liPT6_PT4_, .Lfunc_end21-_ZL24rocblas_dot_kernel_magsqIiLb1ELi1024ELi32ELb0E16rocblas_bfloat16PKS0_fEviT5_lT_liPT6_PT4_
                                        ; -- End function
	.section	.AMDGPU.csdata,"",@progbits
; Kernel info:
; codeLenInByte = 912
; NumSgprs: 19
; NumVgprs: 10
; ScratchSize: 0
; MemoryBound: 0
; FloatMode: 240
; IeeeMode: 1
; LDSByteSize: 128 bytes/workgroup (compile time only)
; SGPRBlocks: 2
; VGPRBlocks: 1
; NumSGPRsForWavesPerEU: 19
; NumVGPRsForWavesPerEU: 10
; Occupancy: 16
; WaveLimiterHint : 0
; COMPUTE_PGM_RSRC2:SCRATCH_EN: 0
; COMPUTE_PGM_RSRC2:USER_SGPR: 14
; COMPUTE_PGM_RSRC2:TRAP_HANDLER: 0
; COMPUTE_PGM_RSRC2:TGID_X_EN: 1
; COMPUTE_PGM_RSRC2:TGID_Y_EN: 0
; COMPUTE_PGM_RSRC2:TGID_Z_EN: 1
; COMPUTE_PGM_RSRC2:TIDIG_COMP_CNT: 0
	.section	.text._ZL38rocblas_dot_kernel_gfx942_float_doubleIiLi1024E16rocblas_bfloat16PKS0_fEviT2_lT_lS3_lS4_lPT3_PT1_,"axG",@progbits,_ZL38rocblas_dot_kernel_gfx942_float_doubleIiLi1024E16rocblas_bfloat16PKS0_fEviT2_lT_lS3_lS4_lPT3_PT1_,comdat
	.globl	_ZL38rocblas_dot_kernel_gfx942_float_doubleIiLi1024E16rocblas_bfloat16PKS0_fEviT2_lT_lS3_lS4_lPT3_PT1_ ; -- Begin function _ZL38rocblas_dot_kernel_gfx942_float_doubleIiLi1024E16rocblas_bfloat16PKS0_fEviT2_lT_lS3_lS4_lPT3_PT1_
	.p2align	8
	.type	_ZL38rocblas_dot_kernel_gfx942_float_doubleIiLi1024E16rocblas_bfloat16PKS0_fEviT2_lT_lS3_lS4_lPT3_PT1_,@function
_ZL38rocblas_dot_kernel_gfx942_float_doubleIiLi1024E16rocblas_bfloat16PKS0_fEviT2_lT_lS3_lS4_lPT3_PT1_: ; @_ZL38rocblas_dot_kernel_gfx942_float_doubleIiLi1024E16rocblas_bfloat16PKS0_fEviT2_lT_lS3_lS4_lPT3_PT1_
; %bb.0:
	s_endpgm
	.section	.rodata,"a",@progbits
	.p2align	6, 0x0
	.amdhsa_kernel _ZL38rocblas_dot_kernel_gfx942_float_doubleIiLi1024E16rocblas_bfloat16PKS0_fEviT2_lT_lS3_lS4_lPT3_PT1_
		.amdhsa_group_segment_fixed_size 0
		.amdhsa_private_segment_fixed_size 0
		.amdhsa_kernarg_size 88
		.amdhsa_user_sgpr_count 15
		.amdhsa_user_sgpr_dispatch_ptr 0
		.amdhsa_user_sgpr_queue_ptr 0
		.amdhsa_user_sgpr_kernarg_segment_ptr 1
		.amdhsa_user_sgpr_dispatch_id 0
		.amdhsa_user_sgpr_private_segment_size 0
		.amdhsa_wavefront_size32 1
		.amdhsa_uses_dynamic_stack 0
		.amdhsa_enable_private_segment 0
		.amdhsa_system_sgpr_workgroup_id_x 1
		.amdhsa_system_sgpr_workgroup_id_y 0
		.amdhsa_system_sgpr_workgroup_id_z 0
		.amdhsa_system_sgpr_workgroup_info 0
		.amdhsa_system_vgpr_workitem_id 0
		.amdhsa_next_free_vgpr 1
		.amdhsa_next_free_sgpr 1
		.amdhsa_reserve_vcc 0
		.amdhsa_float_round_mode_32 0
		.amdhsa_float_round_mode_16_64 0
		.amdhsa_float_denorm_mode_32 3
		.amdhsa_float_denorm_mode_16_64 3
		.amdhsa_dx10_clamp 1
		.amdhsa_ieee_mode 1
		.amdhsa_fp16_overflow 0
		.amdhsa_workgroup_processor_mode 1
		.amdhsa_memory_ordered 1
		.amdhsa_forward_progress 0
		.amdhsa_shared_vgpr_count 0
		.amdhsa_exception_fp_ieee_invalid_op 0
		.amdhsa_exception_fp_denorm_src 0
		.amdhsa_exception_fp_ieee_div_zero 0
		.amdhsa_exception_fp_ieee_overflow 0
		.amdhsa_exception_fp_ieee_underflow 0
		.amdhsa_exception_fp_ieee_inexact 0
		.amdhsa_exception_int_div_zero 0
	.end_amdhsa_kernel
	.section	.text._ZL38rocblas_dot_kernel_gfx942_float_doubleIiLi1024E16rocblas_bfloat16PKS0_fEviT2_lT_lS3_lS4_lPT3_PT1_,"axG",@progbits,_ZL38rocblas_dot_kernel_gfx942_float_doubleIiLi1024E16rocblas_bfloat16PKS0_fEviT2_lT_lS3_lS4_lPT3_PT1_,comdat
.Lfunc_end22:
	.size	_ZL38rocblas_dot_kernel_gfx942_float_doubleIiLi1024E16rocblas_bfloat16PKS0_fEviT2_lT_lS3_lS4_lPT3_PT1_, .Lfunc_end22-_ZL38rocblas_dot_kernel_gfx942_float_doubleIiLi1024E16rocblas_bfloat16PKS0_fEviT2_lT_lS3_lS4_lPT3_PT1_
                                        ; -- End function
	.section	.AMDGPU.csdata,"",@progbits
; Kernel info:
; codeLenInByte = 4
; NumSgprs: 0
; NumVgprs: 0
; ScratchSize: 0
; MemoryBound: 0
; FloatMode: 240
; IeeeMode: 1
; LDSByteSize: 0 bytes/workgroup (compile time only)
; SGPRBlocks: 0
; VGPRBlocks: 0
; NumSGPRsForWavesPerEU: 1
; NumVGPRsForWavesPerEU: 1
; Occupancy: 16
; WaveLimiterHint : 0
; COMPUTE_PGM_RSRC2:SCRATCH_EN: 0
; COMPUTE_PGM_RSRC2:USER_SGPR: 15
; COMPUTE_PGM_RSRC2:TRAP_HANDLER: 0
; COMPUTE_PGM_RSRC2:TGID_X_EN: 1
; COMPUTE_PGM_RSRC2:TGID_Y_EN: 0
; COMPUTE_PGM_RSRC2:TGID_Z_EN: 0
; COMPUTE_PGM_RSRC2:TIDIG_COMP_CNT: 0
	.section	.text._ZL30rocblas_reduction_kernel_part2ILi1024ELi4E25rocblas_finalize_identityf16rocblas_bfloat16EviPT2_PT3_,"axG",@progbits,_ZL30rocblas_reduction_kernel_part2ILi1024ELi4E25rocblas_finalize_identityf16rocblas_bfloat16EviPT2_PT3_,comdat
	.globl	_ZL30rocblas_reduction_kernel_part2ILi1024ELi4E25rocblas_finalize_identityf16rocblas_bfloat16EviPT2_PT3_ ; -- Begin function _ZL30rocblas_reduction_kernel_part2ILi1024ELi4E25rocblas_finalize_identityf16rocblas_bfloat16EviPT2_PT3_
	.p2align	8
	.type	_ZL30rocblas_reduction_kernel_part2ILi1024ELi4E25rocblas_finalize_identityf16rocblas_bfloat16EviPT2_PT3_,@function
_ZL30rocblas_reduction_kernel_part2ILi1024ELi4E25rocblas_finalize_identityf16rocblas_bfloat16EviPT2_PT3_: ; @_ZL30rocblas_reduction_kernel_part2ILi1024ELi4E25rocblas_finalize_identityf16rocblas_bfloat16EviPT2_PT3_
; %bb.0:
	s_clause 0x1
	s_load_b32 s10, s[0:1], 0x0
	s_load_b128 s[4:7], s[0:1], 0x8
	v_dual_mov_b32 v3, 0 :: v_dual_lshlrev_b32 v4, 2, v0
	s_mov_b32 s2, s15
	s_mov_b32 s3, 0
	s_mov_b32 s11, exec_lo
	s_waitcnt lgkmcnt(0)
	s_ashr_i32 s0, s10, 31
	s_mul_hi_u32 s8, s10, s15
	s_lshr_b32 s1, s0, 30
	s_mul_i32 s0, s0, s15
	s_add_i32 s1, s10, s1
	s_add_i32 s9, s8, s0
	s_and_b32 s1, s1, -4
	s_mul_i32 s8, s10, s15
	v_cmpx_gt_i32_e64 s1, v4
	s_cbranch_execz .LBB23_4
; %bb.1:
	v_lshlrev_b32_e32 v1, 4, v0
	s_lshl_b64 s[12:13], s[8:9], 2
	v_mov_b32_e32 v3, 0
	s_add_u32 s0, s4, s12
	s_addc_u32 s12, s5, s13
	v_add_co_u32 v1, s0, s0, v1
	s_delay_alu instid0(VALU_DEP_1) | instskip(SKIP_1) | instid1(VALU_DEP_2)
	v_add_co_ci_u32_e64 v2, null, s12, 0, s0
	s_mov_b32 s12, s3
	v_add_co_u32 v1, vcc_lo, v1, 8
	s_delay_alu instid0(VALU_DEP_2)
	v_add_co_ci_u32_e32 v2, vcc_lo, 0, v2, vcc_lo
	.p2align	6
.LBB23_2:                               ; =>This Inner Loop Header: Depth=1
	global_load_b128 v[5:8], v[1:2], off offset:-8
	v_add_co_u32 v1, vcc_lo, 0x4000, v1
	v_add_co_ci_u32_e32 v2, vcc_lo, 0, v2, vcc_lo
	v_add_nc_u32_e32 v4, 0x1000, v4
	s_delay_alu instid0(VALU_DEP_1) | instskip(NEXT) | instid1(VALU_DEP_1)
	v_cmp_le_i32_e64 s0, s1, v4
	s_or_b32 s12, s0, s12
	s_waitcnt vmcnt(0)
	v_add_f32_e32 v3, v3, v5
	s_delay_alu instid0(VALU_DEP_1) | instskip(NEXT) | instid1(VALU_DEP_1)
	v_add_f32_e32 v3, v3, v6
	v_add_f32_e32 v3, v3, v7
	s_delay_alu instid0(VALU_DEP_1)
	v_add_f32_e32 v3, v3, v8
	s_and_not1_b32 exec_lo, exec_lo, s12
	s_cbranch_execnz .LBB23_2
; %bb.3:
	s_or_b32 exec_lo, exec_lo, s12
.LBB23_4:
	s_delay_alu instid0(SALU_CYCLE_1) | instskip(SKIP_1) | instid1(SALU_CYCLE_1)
	s_or_b32 exec_lo, exec_lo, s11
	s_sub_i32 s0, s10, s1
	v_cmp_gt_u32_e32 vcc_lo, s0, v0
	s_and_saveexec_b32 s0, vcc_lo
	s_cbranch_execz .LBB23_6
; %bb.5:
	v_xad_u32 v1, v0, -1, s10
	v_mov_b32_e32 v2, 0
	s_lshl_b64 s[8:9], s[8:9], 2
	s_delay_alu instid0(SALU_CYCLE_1) | instskip(SKIP_1) | instid1(VALU_DEP_1)
	s_add_u32 s1, s4, s8
	s_addc_u32 s4, s5, s9
	v_lshlrev_b64 v[1:2], 2, v[1:2]
	s_delay_alu instid0(VALU_DEP_1) | instskip(NEXT) | instid1(VALU_DEP_2)
	v_add_co_u32 v1, vcc_lo, s1, v1
	v_add_co_ci_u32_e32 v2, vcc_lo, s4, v2, vcc_lo
	global_load_b32 v1, v[1:2], off
	s_waitcnt vmcnt(0)
	v_add_f32_e32 v3, v3, v1
.LBB23_6:
	s_or_b32 exec_lo, exec_lo, s0
	v_and_b32_e32 v5, 31, v0
	v_cmp_gt_u32_e32 vcc_lo, 32, v0
	s_delay_alu instid0(VALU_DEP_2)
	v_lshlrev_b32_e32 v1, 2, v5
	s_and_saveexec_b32 s0, vcc_lo
	s_cbranch_execz .LBB23_8
; %bb.7:
	v_mov_b32_e32 v2, 0
	ds_store_b32 v1, v2
.LBB23_8:
	s_or_b32 exec_lo, exec_lo, s0
	v_mbcnt_lo_u32_b32 v7, -1, 0
	s_mov_b32 s1, exec_lo
	s_waitcnt lgkmcnt(0)
	s_barrier
	buffer_gl0_inv
	v_cmp_gt_u32_e64 s0, 16, v7
	s_delay_alu instid0(VALU_DEP_1) | instskip(SKIP_1) | instid1(VALU_DEP_2)
	v_cndmask_b32_e64 v2, 0, 1, s0
	v_cmp_gt_u32_e64 s0, 24, v7
	v_lshlrev_b32_e32 v2, 4, v2
	s_delay_alu instid0(VALU_DEP_2) | instskip(SKIP_1) | instid1(VALU_DEP_3)
	v_cndmask_b32_e64 v4, 0, 1, s0
	v_cmp_gt_u32_e64 s0, 28, v7
	v_add_lshl_u32 v2, v2, v7, 2
	s_delay_alu instid0(VALU_DEP_3)
	v_lshlrev_b32_e32 v4, 3, v4
	ds_bpermute_b32 v6, v2, v3
	v_add_lshl_u32 v4, v4, v7, 2
	s_waitcnt lgkmcnt(0)
	v_add_f32_e32 v6, v3, v6
	v_cndmask_b32_e64 v3, 0, 1, s0
	v_cmp_gt_u32_e64 s0, 30, v7
	s_delay_alu instid0(VALU_DEP_2)
	v_lshlrev_b32_e32 v3, 2, v3
	ds_bpermute_b32 v8, v4, v6
	v_add_lshl_u32 v3, v3, v7, 2
	s_waitcnt lgkmcnt(0)
	v_add_f32_e32 v8, v6, v8
	v_cndmask_b32_e64 v6, 0, 1, s0
	v_cmp_ne_u32_e64 s0, 31, v7
	s_delay_alu instid0(VALU_DEP_2) | instskip(NEXT) | instid1(VALU_DEP_1)
	v_lshlrev_b32_e32 v6, 1, v6
	v_add_lshl_u32 v6, v6, v7, 2
	s_delay_alu instid0(VALU_DEP_3) | instskip(NEXT) | instid1(VALU_DEP_1)
	v_add_co_ci_u32_e64 v7, s0, 0, v7, s0
	v_lshlrev_b32_e32 v7, 2, v7
	ds_bpermute_b32 v9, v3, v8
	s_waitcnt lgkmcnt(0)
	v_add_f32_e32 v8, v8, v9
	ds_bpermute_b32 v9, v6, v8
	s_waitcnt lgkmcnt(0)
	v_add_f32_e32 v8, v8, v9
	ds_bpermute_b32 v9, v7, v8
	v_cmpx_eq_u32_e32 0, v5
	s_cbranch_execz .LBB23_10
; %bb.9:
	v_lshrrev_b32_e32 v5, 3, v0
	s_waitcnt lgkmcnt(0)
	v_add_f32_e32 v8, v8, v9
	s_delay_alu instid0(VALU_DEP_2)
	v_and_b32_e32 v5, 0x7c, v5
	ds_store_b32 v5, v8
.LBB23_10:
	s_or_b32 exec_lo, exec_lo, s1
	v_mov_b32_e32 v5, 0
	s_waitcnt lgkmcnt(0)
	s_barrier
	buffer_gl0_inv
	s_and_saveexec_b32 s0, vcc_lo
	s_cbranch_execz .LBB23_12
; %bb.11:
	ds_load_b32 v5, v1
.LBB23_12:
	s_or_b32 exec_lo, exec_lo, s0
	s_and_saveexec_b32 s0, vcc_lo
	s_cbranch_execz .LBB23_14
; %bb.13:
	s_waitcnt lgkmcnt(0)
	ds_bpermute_b32 v1, v2, v5
	s_waitcnt lgkmcnt(0)
	v_add_f32_e32 v1, v5, v1
	ds_bpermute_b32 v2, v4, v1
	s_waitcnt lgkmcnt(0)
	v_add_f32_e32 v1, v1, v2
	;; [unrolled: 3-line block ×5, first 2 shown]
.LBB23_14:
	s_or_b32 exec_lo, exec_lo, s0
	s_delay_alu instid0(SALU_CYCLE_1)
	s_mov_b32 s0, exec_lo
	v_cmpx_eq_u32_e32 0, v0
	s_cbranch_execz .LBB23_20
; %bb.15:
	s_waitcnt lgkmcnt(0)
	v_and_b32_e32 v0, 0x7f800000, v5
	s_delay_alu instid0(VALU_DEP_1) | instskip(SKIP_1) | instid1(SALU_CYCLE_1)
	v_cmp_ne_u32_e32 vcc_lo, 0x7f800000, v0
                                        ; implicit-def: $vgpr0
	s_and_saveexec_b32 s0, vcc_lo
	s_xor_b32 s0, exec_lo, s0
; %bb.16:
	v_bfe_u32 v0, v5, 16, 1
	s_delay_alu instid0(VALU_DEP_1)
	v_add3_u32 v0, v5, v0, 0x7fff
                                        ; implicit-def: $vgpr5
; %bb.17:
	s_and_not1_saveexec_b32 s0, s0
; %bb.18:
	v_and_b32_e32 v0, 0xffff, v5
	v_or_b32_e32 v1, 0x10000, v5
	s_delay_alu instid0(VALU_DEP_2) | instskip(NEXT) | instid1(VALU_DEP_2)
	v_cmp_eq_u32_e32 vcc_lo, 0, v0
	v_cndmask_b32_e32 v0, v1, v5, vcc_lo
; %bb.19:
	s_or_b32 exec_lo, exec_lo, s0
	s_lshl_b64 s[0:1], s[2:3], 1
	v_mov_b32_e32 v1, 0
	s_add_u32 s0, s6, s0
	s_addc_u32 s1, s7, s1
	global_store_d16_hi_b16 v1, v0, s[0:1]
.LBB23_20:
	s_nop 0
	s_sendmsg sendmsg(MSG_DEALLOC_VGPRS)
	s_endpgm
	.section	.rodata,"a",@progbits
	.p2align	6, 0x0
	.amdhsa_kernel _ZL30rocblas_reduction_kernel_part2ILi1024ELi4E25rocblas_finalize_identityf16rocblas_bfloat16EviPT2_PT3_
		.amdhsa_group_segment_fixed_size 128
		.amdhsa_private_segment_fixed_size 0
		.amdhsa_kernarg_size 24
		.amdhsa_user_sgpr_count 15
		.amdhsa_user_sgpr_dispatch_ptr 0
		.amdhsa_user_sgpr_queue_ptr 0
		.amdhsa_user_sgpr_kernarg_segment_ptr 1
		.amdhsa_user_sgpr_dispatch_id 0
		.amdhsa_user_sgpr_private_segment_size 0
		.amdhsa_wavefront_size32 1
		.amdhsa_uses_dynamic_stack 0
		.amdhsa_enable_private_segment 0
		.amdhsa_system_sgpr_workgroup_id_x 1
		.amdhsa_system_sgpr_workgroup_id_y 0
		.amdhsa_system_sgpr_workgroup_id_z 0
		.amdhsa_system_sgpr_workgroup_info 0
		.amdhsa_system_vgpr_workitem_id 0
		.amdhsa_next_free_vgpr 10
		.amdhsa_next_free_sgpr 16
		.amdhsa_reserve_vcc 1
		.amdhsa_float_round_mode_32 0
		.amdhsa_float_round_mode_16_64 0
		.amdhsa_float_denorm_mode_32 3
		.amdhsa_float_denorm_mode_16_64 3
		.amdhsa_dx10_clamp 1
		.amdhsa_ieee_mode 1
		.amdhsa_fp16_overflow 0
		.amdhsa_workgroup_processor_mode 1
		.amdhsa_memory_ordered 1
		.amdhsa_forward_progress 0
		.amdhsa_shared_vgpr_count 0
		.amdhsa_exception_fp_ieee_invalid_op 0
		.amdhsa_exception_fp_denorm_src 0
		.amdhsa_exception_fp_ieee_div_zero 0
		.amdhsa_exception_fp_ieee_overflow 0
		.amdhsa_exception_fp_ieee_underflow 0
		.amdhsa_exception_fp_ieee_inexact 0
		.amdhsa_exception_int_div_zero 0
	.end_amdhsa_kernel
	.section	.text._ZL30rocblas_reduction_kernel_part2ILi1024ELi4E25rocblas_finalize_identityf16rocblas_bfloat16EviPT2_PT3_,"axG",@progbits,_ZL30rocblas_reduction_kernel_part2ILi1024ELi4E25rocblas_finalize_identityf16rocblas_bfloat16EviPT2_PT3_,comdat
.Lfunc_end23:
	.size	_ZL30rocblas_reduction_kernel_part2ILi1024ELi4E25rocblas_finalize_identityf16rocblas_bfloat16EviPT2_PT3_, .Lfunc_end23-_ZL30rocblas_reduction_kernel_part2ILi1024ELi4E25rocblas_finalize_identityf16rocblas_bfloat16EviPT2_PT3_
                                        ; -- End function
	.section	.AMDGPU.csdata,"",@progbits
; Kernel info:
; codeLenInByte = 952
; NumSgprs: 18
; NumVgprs: 10
; ScratchSize: 0
; MemoryBound: 0
; FloatMode: 240
; IeeeMode: 1
; LDSByteSize: 128 bytes/workgroup (compile time only)
; SGPRBlocks: 2
; VGPRBlocks: 1
; NumSGPRsForWavesPerEU: 18
; NumVGPRsForWavesPerEU: 10
; Occupancy: 16
; WaveLimiterHint : 0
; COMPUTE_PGM_RSRC2:SCRATCH_EN: 0
; COMPUTE_PGM_RSRC2:USER_SGPR: 15
; COMPUTE_PGM_RSRC2:TRAP_HANDLER: 0
; COMPUTE_PGM_RSRC2:TGID_X_EN: 1
; COMPUTE_PGM_RSRC2:TGID_Y_EN: 0
; COMPUTE_PGM_RSRC2:TGID_Z_EN: 0
; COMPUTE_PGM_RSRC2:TIDIG_COMP_CNT: 0
	.section	.text._ZL23rocblas_dot_kernel_inc1ILb0ELi512ELi8ELb0E16rocblas_bfloat16PKS0_fEviT4_llS3_lliPT5_PT3_,"axG",@progbits,_ZL23rocblas_dot_kernel_inc1ILb0ELi512ELi8ELb0E16rocblas_bfloat16PKS0_fEviT4_llS3_lliPT5_PT3_,comdat
	.globl	_ZL23rocblas_dot_kernel_inc1ILb0ELi512ELi8ELb0E16rocblas_bfloat16PKS0_fEviT4_llS3_lliPT5_PT3_ ; -- Begin function _ZL23rocblas_dot_kernel_inc1ILb0ELi512ELi8ELb0E16rocblas_bfloat16PKS0_fEviT4_llS3_lliPT5_PT3_
	.p2align	8
	.type	_ZL23rocblas_dot_kernel_inc1ILb0ELi512ELi8ELb0E16rocblas_bfloat16PKS0_fEviT4_llS3_lliPT5_PT3_,@function
_ZL23rocblas_dot_kernel_inc1ILb0ELi512ELi8ELb0E16rocblas_bfloat16PKS0_fEviT4_llS3_lliPT5_PT3_: ; @_ZL23rocblas_dot_kernel_inc1ILb0ELi512ELi8ELb0E16rocblas_bfloat16PKS0_fEviT4_llS3_lliPT5_PT3_
; %bb.0:
	s_clause 0x2
	s_load_b32 s12, s[0:1], 0x50
	s_load_b32 s13, s[0:1], 0x0
	s_load_b128 s[4:7], s[0:1], 0x40
	v_lshl_or_b32 v1, s14, 9, v0
	v_mov_b32_e32 v4, 0
	s_mov_b32 s2, s15
	s_mov_b32 s3, 0
	s_mov_b32 s15, exec_lo
	s_waitcnt lgkmcnt(0)
	v_cmpx_gt_i32_e64 s13, v1
	s_cbranch_execz .LBB24_4
; %bb.1:
	s_clause 0x3
	s_load_b128 s[8:11], s[0:1], 0x10
	s_load_b128 s[20:23], s[0:1], 0x28
	s_load_b64 s[16:17], s[0:1], 0x8
	s_load_b64 s[18:19], s[0:1], 0x20
	v_ashrrev_i32_e32 v2, 31, v1
	s_delay_alu instid0(VALU_DEP_1)
	v_lshlrev_b64 v[2:3], 1, v[1:2]
	s_waitcnt lgkmcnt(0)
	s_mul_i32 s1, s2, s11
	s_mul_hi_u32 s11, s2, s10
	s_mul_i32 s0, s2, s10
	s_add_i32 s1, s11, s1
	s_mul_i32 s11, s2, s23
	s_lshl_b64 s[0:1], s[0:1], 1
	s_mul_hi_u32 s23, s2, s22
	s_add_u32 s0, s16, s0
	s_addc_u32 s16, s17, s1
	s_lshl_b64 s[8:9], s[8:9], 1
	s_mul_i32 s10, s2, s22
	s_add_u32 s1, s0, s8
	s_addc_u32 s16, s16, s9
	s_add_i32 s11, s23, s11
	s_delay_alu instid0(SALU_CYCLE_1) | instskip(NEXT) | instid1(SALU_CYCLE_1)
	s_lshl_b64 s[8:9], s[10:11], 1
	s_add_u32 s0, s18, s8
	s_addc_u32 s10, s19, s9
	s_lshl_b64 s[8:9], s[20:21], 1
	s_mov_b32 s19, s3
	s_add_u32 s17, s0, s8
	s_addc_u32 s18, s10, s9
	s_lshl_b32 s8, s12, 9
	s_delay_alu instid0(SALU_CYCLE_1) | instskip(SKIP_1) | instid1(SALU_CYCLE_1)
	v_dual_mov_b32 v4, 0 :: v_dual_add_nc_u32 v1, s8, v1
	s_ashr_i32 s9, s8, 31
	s_lshl_b64 s[10:11], s[8:9], 1
	s_mov_b32 s9, s3
	.p2align	6
.LBB24_2:                               ; =>This Inner Loop Header: Depth=1
	v_add_co_u32 v5, vcc_lo, s1, v2
	v_add_co_ci_u32_e32 v6, vcc_lo, s16, v3, vcc_lo
	v_add_co_u32 v7, vcc_lo, s17, v2
	v_add_co_ci_u32_e32 v8, vcc_lo, s18, v3, vcc_lo
	s_add_i32 s20, s19, 1
	global_load_u16 v5, v[5:6], off
	global_load_u16 v6, v[7:8], off
	v_cmp_le_i32_e32 vcc_lo, s13, v1
	v_add_co_u32 v2, s0, v2, s10
	s_cmp_gt_u32 s19, 6
	v_add_co_ci_u32_e64 v3, s0, s11, v3, s0
	s_cselect_b32 s0, -1, 0
	v_add_nc_u32_e32 v1, s8, v1
	s_or_b32 s0, s0, vcc_lo
	s_mov_b32 s19, s20
	s_and_b32 s0, exec_lo, s0
	s_delay_alu instid0(SALU_CYCLE_1) | instskip(SKIP_4) | instid1(VALU_DEP_1)
	s_or_b32 s9, s0, s9
	s_waitcnt vmcnt(1)
	v_lshlrev_b32_e32 v5, 16, v5
	s_waitcnt vmcnt(0)
	v_lshlrev_b32_e32 v6, 16, v6
	v_fmac_f32_e32 v4, v6, v5
	s_and_not1_b32 exec_lo, exec_lo, s9
	s_cbranch_execnz .LBB24_2
; %bb.3:
	s_or_b32 exec_lo, exec_lo, s9
.LBB24_4:
	s_delay_alu instid0(SALU_CYCLE_1) | instskip(SKIP_2) | instid1(VALU_DEP_2)
	s_or_b32 exec_lo, exec_lo, s15
	v_and_b32_e32 v1, 31, v0
	v_cmp_gt_u32_e32 vcc_lo, 32, v0
	v_lshlrev_b32_e32 v2, 2, v1
	s_and_saveexec_b32 s0, vcc_lo
	s_cbranch_execz .LBB24_6
; %bb.5:
	v_mov_b32_e32 v3, 0
	ds_store_b32 v2, v3
.LBB24_6:
	s_or_b32 exec_lo, exec_lo, s0
	v_mbcnt_lo_u32_b32 v6, -1, 0
	s_mov_b32 s1, exec_lo
	s_waitcnt lgkmcnt(0)
	s_barrier
	buffer_gl0_inv
	v_cmp_gt_u32_e64 s0, 16, v6
	s_delay_alu instid0(VALU_DEP_1) | instskip(SKIP_1) | instid1(VALU_DEP_2)
	v_cndmask_b32_e64 v3, 0, 1, s0
	v_cmp_gt_u32_e64 s0, 24, v6
	v_lshlrev_b32_e32 v3, 4, v3
	s_delay_alu instid0(VALU_DEP_1) | instskip(SKIP_3) | instid1(VALU_DEP_2)
	v_add_lshl_u32 v3, v3, v6, 2
	ds_bpermute_b32 v5, v3, v4
	v_cndmask_b32_e64 v3, 0, 1, s0
	v_cmp_gt_u32_e64 s0, 28, v6
	v_lshlrev_b32_e32 v3, 3, v3
	s_delay_alu instid0(VALU_DEP_1) | instskip(SKIP_4) | instid1(VALU_DEP_2)
	v_add_lshl_u32 v3, v3, v6, 2
	s_waitcnt lgkmcnt(0)
	v_add_f32_e32 v5, v4, v5
	v_cndmask_b32_e64 v4, 0, 1, s0
	v_cmp_gt_u32_e64 s0, 30, v6
	v_lshlrev_b32_e32 v4, 2, v4
	ds_bpermute_b32 v7, v3, v5
	v_add_lshl_u32 v4, v4, v6, 2
	s_waitcnt lgkmcnt(0)
	v_add_f32_e32 v7, v5, v7
	v_cndmask_b32_e64 v5, 0, 1, s0
	v_cmp_ne_u32_e64 s0, 31, v6
	s_delay_alu instid0(VALU_DEP_2) | instskip(NEXT) | instid1(VALU_DEP_1)
	v_lshlrev_b32_e32 v5, 1, v5
	v_add_lshl_u32 v5, v5, v6, 2
	s_delay_alu instid0(VALU_DEP_3) | instskip(NEXT) | instid1(VALU_DEP_1)
	v_add_co_ci_u32_e64 v6, s0, 0, v6, s0
	v_lshlrev_b32_e32 v6, 2, v6
	ds_bpermute_b32 v8, v4, v7
	s_waitcnt lgkmcnt(0)
	v_add_f32_e32 v7, v7, v8
	ds_bpermute_b32 v8, v5, v7
	s_waitcnt lgkmcnt(0)
	v_add_f32_e32 v7, v7, v8
	ds_bpermute_b32 v8, v6, v7
	v_cmpx_eq_u32_e32 0, v1
	s_cbranch_execz .LBB24_8
; %bb.7:
	v_lshrrev_b32_e32 v1, 3, v0
	s_waitcnt lgkmcnt(0)
	v_add_f32_e32 v7, v7, v8
	s_delay_alu instid0(VALU_DEP_2)
	v_and_b32_e32 v1, 60, v1
	ds_store_b32 v1, v7
.LBB24_8:
	s_or_b32 exec_lo, exec_lo, s1
	v_mov_b32_e32 v1, 0
	s_mov_b32 s1, exec_lo
	s_waitcnt lgkmcnt(0)
	s_barrier
	buffer_gl0_inv
	v_cmpx_gt_u32_e32 16, v0
	s_cbranch_execz .LBB24_10
; %bb.9:
	ds_load_b32 v1, v2
.LBB24_10:
	s_or_b32 exec_lo, exec_lo, s1
	s_and_saveexec_b32 s0, vcc_lo
	s_cbranch_execz .LBB24_12
; %bb.11:
	s_waitcnt lgkmcnt(0)
	ds_bpermute_b32 v2, v3, v1
	s_waitcnt lgkmcnt(0)
	v_add_f32_e32 v1, v1, v2
	ds_bpermute_b32 v2, v4, v1
	s_waitcnt lgkmcnt(0)
	v_add_f32_e32 v1, v1, v2
	;; [unrolled: 3-line block ×4, first 2 shown]
.LBB24_12:
	s_or_b32 exec_lo, exec_lo, s0
	s_delay_alu instid0(SALU_CYCLE_1)
	s_mov_b32 s0, exec_lo
	v_cmpx_eq_u32_e32 0, v0
	s_cbranch_execz .LBB24_21
; %bb.13:
	s_cmp_lg_u32 s12, 1
	s_mov_b32 s15, -1
	s_cbranch_scc0 .LBB24_15
; %bb.14:
	s_mul_hi_u32 s1, s12, s2
	s_mul_i32 s0, s12, s2
	s_mov_b32 s15, 0
	s_lshl_b64 s[0:1], s[0:1], 2
	v_mov_b32_e32 v0, 0
	s_add_u32 s4, s4, s0
	s_addc_u32 s5, s5, s1
	s_lshl_b64 s[0:1], s[14:15], 2
	s_delay_alu instid0(SALU_CYCLE_1)
	s_add_u32 s0, s4, s0
	s_addc_u32 s1, s5, s1
	s_waitcnt lgkmcnt(0)
	global_store_b32 v0, v1, s[0:1]
.LBB24_15:
	s_and_not1_b32 vcc_lo, exec_lo, s15
	s_cbranch_vccnz .LBB24_21
; %bb.16:
	s_waitcnt lgkmcnt(0)
	v_and_b32_e32 v0, 0x7f800000, v1
	s_delay_alu instid0(VALU_DEP_1) | instskip(SKIP_1) | instid1(SALU_CYCLE_1)
	v_cmp_ne_u32_e32 vcc_lo, 0x7f800000, v0
                                        ; implicit-def: $vgpr0
	s_and_saveexec_b32 s0, vcc_lo
	s_xor_b32 s0, exec_lo, s0
; %bb.17:
	v_bfe_u32 v0, v1, 16, 1
	s_delay_alu instid0(VALU_DEP_1)
	v_add3_u32 v0, v1, v0, 0x7fff
                                        ; implicit-def: $vgpr1
; %bb.18:
	s_and_not1_saveexec_b32 s0, s0
; %bb.19:
	v_and_b32_e32 v0, 0xffff, v1
	v_or_b32_e32 v2, 0x10000, v1
	s_delay_alu instid0(VALU_DEP_2) | instskip(NEXT) | instid1(VALU_DEP_2)
	v_cmp_eq_u32_e32 vcc_lo, 0, v0
	v_cndmask_b32_e32 v0, v2, v1, vcc_lo
; %bb.20:
	s_or_b32 exec_lo, exec_lo, s0
	s_lshl_b64 s[0:1], s[2:3], 1
	v_mov_b32_e32 v1, 0
	s_add_u32 s0, s6, s0
	s_addc_u32 s1, s7, s1
	global_store_d16_hi_b16 v1, v0, s[0:1]
.LBB24_21:
	s_nop 0
	s_sendmsg sendmsg(MSG_DEALLOC_VGPRS)
	s_endpgm
	.section	.rodata,"a",@progbits
	.p2align	6, 0x0
	.amdhsa_kernel _ZL23rocblas_dot_kernel_inc1ILb0ELi512ELi8ELb0E16rocblas_bfloat16PKS0_fEviT4_llS3_lliPT5_PT3_
		.amdhsa_group_segment_fixed_size 128
		.amdhsa_private_segment_fixed_size 0
		.amdhsa_kernarg_size 336
		.amdhsa_user_sgpr_count 14
		.amdhsa_user_sgpr_dispatch_ptr 0
		.amdhsa_user_sgpr_queue_ptr 0
		.amdhsa_user_sgpr_kernarg_segment_ptr 1
		.amdhsa_user_sgpr_dispatch_id 0
		.amdhsa_user_sgpr_private_segment_size 0
		.amdhsa_wavefront_size32 1
		.amdhsa_uses_dynamic_stack 0
		.amdhsa_enable_private_segment 0
		.amdhsa_system_sgpr_workgroup_id_x 1
		.amdhsa_system_sgpr_workgroup_id_y 0
		.amdhsa_system_sgpr_workgroup_id_z 1
		.amdhsa_system_sgpr_workgroup_info 0
		.amdhsa_system_vgpr_workitem_id 0
		.amdhsa_next_free_vgpr 9
		.amdhsa_next_free_sgpr 24
		.amdhsa_reserve_vcc 1
		.amdhsa_float_round_mode_32 0
		.amdhsa_float_round_mode_16_64 0
		.amdhsa_float_denorm_mode_32 3
		.amdhsa_float_denorm_mode_16_64 3
		.amdhsa_dx10_clamp 1
		.amdhsa_ieee_mode 1
		.amdhsa_fp16_overflow 0
		.amdhsa_workgroup_processor_mode 1
		.amdhsa_memory_ordered 1
		.amdhsa_forward_progress 0
		.amdhsa_shared_vgpr_count 0
		.amdhsa_exception_fp_ieee_invalid_op 0
		.amdhsa_exception_fp_denorm_src 0
		.amdhsa_exception_fp_ieee_div_zero 0
		.amdhsa_exception_fp_ieee_overflow 0
		.amdhsa_exception_fp_ieee_underflow 0
		.amdhsa_exception_fp_ieee_inexact 0
		.amdhsa_exception_int_div_zero 0
	.end_amdhsa_kernel
	.section	.text._ZL23rocblas_dot_kernel_inc1ILb0ELi512ELi8ELb0E16rocblas_bfloat16PKS0_fEviT4_llS3_lliPT5_PT3_,"axG",@progbits,_ZL23rocblas_dot_kernel_inc1ILb0ELi512ELi8ELb0E16rocblas_bfloat16PKS0_fEviT4_llS3_lliPT5_PT3_,comdat
.Lfunc_end24:
	.size	_ZL23rocblas_dot_kernel_inc1ILb0ELi512ELi8ELb0E16rocblas_bfloat16PKS0_fEviT4_llS3_lliPT5_PT3_, .Lfunc_end24-_ZL23rocblas_dot_kernel_inc1ILb0ELi512ELi8ELb0E16rocblas_bfloat16PKS0_fEviT4_llS3_lliPT5_PT3_
                                        ; -- End function
	.section	.AMDGPU.csdata,"",@progbits
; Kernel info:
; codeLenInByte = 1048
; NumSgprs: 26
; NumVgprs: 9
; ScratchSize: 0
; MemoryBound: 0
; FloatMode: 240
; IeeeMode: 1
; LDSByteSize: 128 bytes/workgroup (compile time only)
; SGPRBlocks: 3
; VGPRBlocks: 1
; NumSGPRsForWavesPerEU: 26
; NumVGPRsForWavesPerEU: 9
; Occupancy: 16
; WaveLimiterHint : 0
; COMPUTE_PGM_RSRC2:SCRATCH_EN: 0
; COMPUTE_PGM_RSRC2:USER_SGPR: 14
; COMPUTE_PGM_RSRC2:TRAP_HANDLER: 0
; COMPUTE_PGM_RSRC2:TGID_X_EN: 1
; COMPUTE_PGM_RSRC2:TGID_Y_EN: 0
; COMPUTE_PGM_RSRC2:TGID_Z_EN: 1
; COMPUTE_PGM_RSRC2:TIDIG_COMP_CNT: 0
	.section	.text._ZL18rocblas_dot_kernelIiLb0ELi512ELi8ELb0E16rocblas_bfloat16PKS0_fEviT5_lT_lS3_lS4_liPT6_PT4_,"axG",@progbits,_ZL18rocblas_dot_kernelIiLb0ELi512ELi8ELb0E16rocblas_bfloat16PKS0_fEviT5_lT_lS3_lS4_liPT6_PT4_,comdat
	.globl	_ZL18rocblas_dot_kernelIiLb0ELi512ELi8ELb0E16rocblas_bfloat16PKS0_fEviT5_lT_lS3_lS4_liPT6_PT4_ ; -- Begin function _ZL18rocblas_dot_kernelIiLb0ELi512ELi8ELb0E16rocblas_bfloat16PKS0_fEviT5_lT_lS3_lS4_liPT6_PT4_
	.p2align	8
	.type	_ZL18rocblas_dot_kernelIiLb0ELi512ELi8ELb0E16rocblas_bfloat16PKS0_fEviT5_lT_lS3_lS4_liPT6_PT4_,@function
_ZL18rocblas_dot_kernelIiLb0ELi512ELi8ELb0E16rocblas_bfloat16PKS0_fEviT5_lT_lS3_lS4_liPT6_PT4_: ; @_ZL18rocblas_dot_kernelIiLb0ELi512ELi8ELb0E16rocblas_bfloat16PKS0_fEviT5_lT_lS3_lS4_liPT6_PT4_
; %bb.0:
	s_clause 0x2
	s_load_b32 s12, s[0:1], 0x60
	s_load_b32 s13, s[0:1], 0x0
	s_load_b128 s[4:7], s[0:1], 0x50
	v_lshl_or_b32 v1, s14, 9, v0
	v_mov_b32_e32 v6, 0
	s_mov_b32 s2, s15
	s_mov_b32 s3, 0
	s_mov_b32 s15, exec_lo
	s_waitcnt lgkmcnt(0)
	v_cmpx_gt_i32_e64 s13, v1
	s_cbranch_execz .LBB25_4
; %bb.1:
	s_clause 0x5
	s_load_b32 s17, s[0:1], 0x18
	s_load_b128 s[8:11], s[0:1], 0x20
	s_load_b128 s[20:23], s[0:1], 0x8
	s_load_b32 s26, s[0:1], 0x38
	s_load_b64 s[18:19], s[0:1], 0x40
	s_load_b64 s[0:1], s[0:1], 0x30
	s_lshl_b32 s16, s12, 9
	s_delay_alu instid0(SALU_CYCLE_1)
	v_add_nc_u32_e32 v5, s16, v1
	s_waitcnt lgkmcnt(0)
	v_mad_i64_i32 v[2:3], null, s17, v1, 0
	s_mul_i32 s9, s9, s2
	s_mul_hi_u32 s27, s8, s2
	v_mad_i64_i32 v[6:7], null, s26, v1, 0
	s_mul_i32 s8, s8, s2
	s_add_i32 s9, s27, s9
	s_lshl_b64 s[22:23], s[22:23], 1
	s_lshl_b64 s[8:9], s[8:9], 1
	s_add_u32 s20, s20, s22
	s_mul_hi_i32 s25, s17, s16
	s_mul_i32 s24, s17, s16
	s_mul_i32 s17, s19, s2
	s_mul_hi_u32 s19, s18, s2
	s_addc_u32 s21, s21, s23
	v_lshlrev_b64 v[1:2], 1, v[2:3]
	s_add_u32 s20, s20, s8
	s_mul_i32 s18, s18, s2
	s_addc_u32 s21, s21, s9
	s_add_i32 s19, s19, s17
	v_lshlrev_b64 v[3:4], 1, v[6:7]
	v_mov_b32_e32 v6, 0
	s_lshl_b64 s[0:1], s[0:1], 1
	s_lshl_b64 s[8:9], s[24:25], 1
	;; [unrolled: 1-line block ×3, first 2 shown]
	s_add_u32 s0, s10, s0
	v_add_co_u32 v1, vcc_lo, s20, v1
	s_addc_u32 s1, s11, s1
	s_add_u32 s0, s0, s18
	v_add_co_ci_u32_e32 v2, vcc_lo, s21, v2, vcc_lo
	s_addc_u32 s1, s1, s19
	v_add_co_u32 v3, vcc_lo, s0, v3
	v_add_co_ci_u32_e32 v4, vcc_lo, s1, v4, vcc_lo
	s_mul_hi_i32 s1, s26, s16
	s_mul_i32 s0, s26, s16
	s_mov_b32 s17, s3
	s_lshl_b64 s[10:11], s[0:1], 1
	s_mov_b32 s1, s3
	.p2align	6
.LBB25_2:                               ; =>This Inner Loop Header: Depth=1
	global_load_u16 v7, v[1:2], off
	global_load_u16 v8, v[3:4], off
	v_add_co_u32 v1, s0, v1, s8
	s_delay_alu instid0(VALU_DEP_1)
	v_add_co_ci_u32_e64 v2, s0, s9, v2, s0
	s_add_i32 s18, s17, 1
	v_cmp_le_i32_e32 vcc_lo, s13, v5
	v_add_co_u32 v3, s0, v3, s10
	s_cmp_gt_u32 s17, 6
	v_add_co_ci_u32_e64 v4, s0, s11, v4, s0
	s_cselect_b32 s0, -1, 0
	s_mov_b32 s17, s18
	s_or_b32 s0, s0, vcc_lo
	s_delay_alu instid0(SALU_CYCLE_1) | instskip(NEXT) | instid1(SALU_CYCLE_1)
	s_and_b32 s0, exec_lo, s0
	s_or_b32 s1, s0, s1
	s_waitcnt vmcnt(1)
	v_lshlrev_b32_e32 v7, 16, v7
	s_waitcnt vmcnt(0)
	v_lshlrev_b32_e32 v8, 16, v8
	s_delay_alu instid0(VALU_DEP_1)
	v_dual_fmac_f32 v6, v8, v7 :: v_dual_add_nc_u32 v5, s16, v5
	s_and_not1_b32 exec_lo, exec_lo, s1
	s_cbranch_execnz .LBB25_2
; %bb.3:
	s_or_b32 exec_lo, exec_lo, s1
.LBB25_4:
	s_delay_alu instid0(SALU_CYCLE_1) | instskip(SKIP_2) | instid1(VALU_DEP_2)
	s_or_b32 exec_lo, exec_lo, s15
	v_and_b32_e32 v1, 31, v0
	v_cmp_gt_u32_e32 vcc_lo, 32, v0
	v_lshlrev_b32_e32 v2, 2, v1
	s_and_saveexec_b32 s0, vcc_lo
	s_cbranch_execz .LBB25_6
; %bb.5:
	v_mov_b32_e32 v3, 0
	ds_store_b32 v2, v3
.LBB25_6:
	s_or_b32 exec_lo, exec_lo, s0
	v_mbcnt_lo_u32_b32 v7, -1, 0
	s_mov_b32 s1, exec_lo
	s_waitcnt lgkmcnt(0)
	s_barrier
	buffer_gl0_inv
	v_cmp_gt_u32_e64 s0, 16, v7
	s_delay_alu instid0(VALU_DEP_1) | instskip(SKIP_1) | instid1(VALU_DEP_2)
	v_cndmask_b32_e64 v3, 0, 1, s0
	v_cmp_gt_u32_e64 s0, 24, v7
	v_lshlrev_b32_e32 v3, 4, v3
	s_delay_alu instid0(VALU_DEP_1) | instskip(SKIP_3) | instid1(VALU_DEP_2)
	v_add_lshl_u32 v3, v3, v7, 2
	ds_bpermute_b32 v4, v3, v6
	v_cndmask_b32_e64 v3, 0, 1, s0
	v_cmp_gt_u32_e64 s0, 28, v7
	v_lshlrev_b32_e32 v3, 3, v3
	s_delay_alu instid0(VALU_DEP_1)
	v_add_lshl_u32 v3, v3, v7, 2
	s_waitcnt lgkmcnt(0)
	v_add_f32_e32 v5, v6, v4
	v_cndmask_b32_e64 v4, 0, 1, s0
	v_cmp_gt_u32_e64 s0, 30, v7
	ds_bpermute_b32 v6, v3, v5
	v_lshlrev_b32_e32 v4, 2, v4
	s_delay_alu instid0(VALU_DEP_1)
	v_add_lshl_u32 v4, v4, v7, 2
	s_waitcnt lgkmcnt(0)
	v_add_f32_e32 v6, v5, v6
	v_cndmask_b32_e64 v5, 0, 1, s0
	v_cmp_ne_u32_e64 s0, 31, v7
	ds_bpermute_b32 v8, v4, v6
	v_lshlrev_b32_e32 v5, 1, v5
	v_add_co_ci_u32_e64 v9, s0, 0, v7, s0
	s_delay_alu instid0(VALU_DEP_2)
	v_add_lshl_u32 v5, v5, v7, 2
	s_waitcnt lgkmcnt(0)
	v_add_f32_e32 v6, v6, v8
	ds_bpermute_b32 v8, v5, v6
	s_waitcnt lgkmcnt(0)
	v_dual_add_f32 v7, v6, v8 :: v_dual_lshlrev_b32 v6, 2, v9
	ds_bpermute_b32 v8, v6, v7
	v_cmpx_eq_u32_e32 0, v1
	s_cbranch_execz .LBB25_8
; %bb.7:
	v_lshrrev_b32_e32 v1, 3, v0
	s_waitcnt lgkmcnt(0)
	v_add_f32_e32 v7, v7, v8
	s_delay_alu instid0(VALU_DEP_2)
	v_and_b32_e32 v1, 60, v1
	ds_store_b32 v1, v7
.LBB25_8:
	s_or_b32 exec_lo, exec_lo, s1
	v_mov_b32_e32 v1, 0
	s_mov_b32 s1, exec_lo
	s_waitcnt lgkmcnt(0)
	s_barrier
	buffer_gl0_inv
	v_cmpx_gt_u32_e32 16, v0
	s_cbranch_execz .LBB25_10
; %bb.9:
	ds_load_b32 v1, v2
.LBB25_10:
	s_or_b32 exec_lo, exec_lo, s1
	s_and_saveexec_b32 s0, vcc_lo
	s_cbranch_execz .LBB25_12
; %bb.11:
	s_waitcnt lgkmcnt(0)
	ds_bpermute_b32 v2, v3, v1
	s_waitcnt lgkmcnt(0)
	v_add_f32_e32 v1, v1, v2
	ds_bpermute_b32 v2, v4, v1
	s_waitcnt lgkmcnt(0)
	v_add_f32_e32 v1, v1, v2
	;; [unrolled: 3-line block ×4, first 2 shown]
.LBB25_12:
	s_or_b32 exec_lo, exec_lo, s0
	s_delay_alu instid0(SALU_CYCLE_1)
	s_mov_b32 s0, exec_lo
	v_cmpx_eq_u32_e32 0, v0
	s_cbranch_execz .LBB25_21
; %bb.13:
	s_cmp_lg_u32 s12, 1
	s_mov_b32 s15, -1
	s_cbranch_scc0 .LBB25_15
; %bb.14:
	s_mul_hi_u32 s1, s12, s2
	s_mul_i32 s0, s12, s2
	s_mov_b32 s15, 0
	s_lshl_b64 s[0:1], s[0:1], 2
	v_mov_b32_e32 v0, 0
	s_add_u32 s4, s4, s0
	s_addc_u32 s5, s5, s1
	s_lshl_b64 s[0:1], s[14:15], 2
	s_delay_alu instid0(SALU_CYCLE_1)
	s_add_u32 s0, s4, s0
	s_addc_u32 s1, s5, s1
	s_waitcnt lgkmcnt(0)
	global_store_b32 v0, v1, s[0:1]
.LBB25_15:
	s_and_not1_b32 vcc_lo, exec_lo, s15
	s_cbranch_vccnz .LBB25_21
; %bb.16:
	s_waitcnt lgkmcnt(0)
	v_and_b32_e32 v0, 0x7f800000, v1
	s_delay_alu instid0(VALU_DEP_1) | instskip(SKIP_1) | instid1(SALU_CYCLE_1)
	v_cmp_ne_u32_e32 vcc_lo, 0x7f800000, v0
                                        ; implicit-def: $vgpr0
	s_and_saveexec_b32 s0, vcc_lo
	s_xor_b32 s0, exec_lo, s0
; %bb.17:
	v_bfe_u32 v0, v1, 16, 1
	s_delay_alu instid0(VALU_DEP_1)
	v_add3_u32 v0, v1, v0, 0x7fff
                                        ; implicit-def: $vgpr1
; %bb.18:
	s_and_not1_saveexec_b32 s0, s0
; %bb.19:
	v_and_b32_e32 v0, 0xffff, v1
	v_or_b32_e32 v2, 0x10000, v1
	s_delay_alu instid0(VALU_DEP_2) | instskip(NEXT) | instid1(VALU_DEP_2)
	v_cmp_eq_u32_e32 vcc_lo, 0, v0
	v_cndmask_b32_e32 v0, v2, v1, vcc_lo
; %bb.20:
	s_or_b32 exec_lo, exec_lo, s0
	s_lshl_b64 s[0:1], s[2:3], 1
	v_mov_b32_e32 v1, 0
	s_add_u32 s0, s6, s0
	s_addc_u32 s1, s7, s1
	global_store_d16_hi_b16 v1, v0, s[0:1]
.LBB25_21:
	s_nop 0
	s_sendmsg sendmsg(MSG_DEALLOC_VGPRS)
	s_endpgm
	.section	.rodata,"a",@progbits
	.p2align	6, 0x0
	.amdhsa_kernel _ZL18rocblas_dot_kernelIiLb0ELi512ELi8ELb0E16rocblas_bfloat16PKS0_fEviT5_lT_lS3_lS4_liPT6_PT4_
		.amdhsa_group_segment_fixed_size 128
		.amdhsa_private_segment_fixed_size 0
		.amdhsa_kernarg_size 352
		.amdhsa_user_sgpr_count 14
		.amdhsa_user_sgpr_dispatch_ptr 0
		.amdhsa_user_sgpr_queue_ptr 0
		.amdhsa_user_sgpr_kernarg_segment_ptr 1
		.amdhsa_user_sgpr_dispatch_id 0
		.amdhsa_user_sgpr_private_segment_size 0
		.amdhsa_wavefront_size32 1
		.amdhsa_uses_dynamic_stack 0
		.amdhsa_enable_private_segment 0
		.amdhsa_system_sgpr_workgroup_id_x 1
		.amdhsa_system_sgpr_workgroup_id_y 0
		.amdhsa_system_sgpr_workgroup_id_z 1
		.amdhsa_system_sgpr_workgroup_info 0
		.amdhsa_system_vgpr_workitem_id 0
		.amdhsa_next_free_vgpr 10
		.amdhsa_next_free_sgpr 28
		.amdhsa_reserve_vcc 1
		.amdhsa_float_round_mode_32 0
		.amdhsa_float_round_mode_16_64 0
		.amdhsa_float_denorm_mode_32 3
		.amdhsa_float_denorm_mode_16_64 3
		.amdhsa_dx10_clamp 1
		.amdhsa_ieee_mode 1
		.amdhsa_fp16_overflow 0
		.amdhsa_workgroup_processor_mode 1
		.amdhsa_memory_ordered 1
		.amdhsa_forward_progress 0
		.amdhsa_shared_vgpr_count 0
		.amdhsa_exception_fp_ieee_invalid_op 0
		.amdhsa_exception_fp_denorm_src 0
		.amdhsa_exception_fp_ieee_div_zero 0
		.amdhsa_exception_fp_ieee_overflow 0
		.amdhsa_exception_fp_ieee_underflow 0
		.amdhsa_exception_fp_ieee_inexact 0
		.amdhsa_exception_int_div_zero 0
	.end_amdhsa_kernel
	.section	.text._ZL18rocblas_dot_kernelIiLb0ELi512ELi8ELb0E16rocblas_bfloat16PKS0_fEviT5_lT_lS3_lS4_liPT6_PT4_,"axG",@progbits,_ZL18rocblas_dot_kernelIiLb0ELi512ELi8ELb0E16rocblas_bfloat16PKS0_fEviT5_lT_lS3_lS4_liPT6_PT4_,comdat
.Lfunc_end25:
	.size	_ZL18rocblas_dot_kernelIiLb0ELi512ELi8ELb0E16rocblas_bfloat16PKS0_fEviT5_lT_lS3_lS4_liPT6_PT4_, .Lfunc_end25-_ZL18rocblas_dot_kernelIiLb0ELi512ELi8ELb0E16rocblas_bfloat16PKS0_fEviT5_lT_lS3_lS4_liPT6_PT4_
                                        ; -- End function
	.section	.AMDGPU.csdata,"",@progbits
; Kernel info:
; codeLenInByte = 1116
; NumSgprs: 30
; NumVgprs: 10
; ScratchSize: 0
; MemoryBound: 0
; FloatMode: 240
; IeeeMode: 1
; LDSByteSize: 128 bytes/workgroup (compile time only)
; SGPRBlocks: 3
; VGPRBlocks: 1
; NumSGPRsForWavesPerEU: 30
; NumVGPRsForWavesPerEU: 10
; Occupancy: 16
; WaveLimiterHint : 0
; COMPUTE_PGM_RSRC2:SCRATCH_EN: 0
; COMPUTE_PGM_RSRC2:USER_SGPR: 14
; COMPUTE_PGM_RSRC2:TRAP_HANDLER: 0
; COMPUTE_PGM_RSRC2:TGID_X_EN: 1
; COMPUTE_PGM_RSRC2:TGID_Y_EN: 0
; COMPUTE_PGM_RSRC2:TGID_Z_EN: 1
; COMPUTE_PGM_RSRC2:TIDIG_COMP_CNT: 0
	.section	.text._ZL24rocblas_dot_kernel_magsqIiLb0ELi512ELi8ELb0E16rocblas_bfloat16PKS0_fEviT5_lT_liPT6_PT4_,"axG",@progbits,_ZL24rocblas_dot_kernel_magsqIiLb0ELi512ELi8ELb0E16rocblas_bfloat16PKS0_fEviT5_lT_liPT6_PT4_,comdat
	.globl	_ZL24rocblas_dot_kernel_magsqIiLb0ELi512ELi8ELb0E16rocblas_bfloat16PKS0_fEviT5_lT_liPT6_PT4_ ; -- Begin function _ZL24rocblas_dot_kernel_magsqIiLb0ELi512ELi8ELb0E16rocblas_bfloat16PKS0_fEviT5_lT_liPT6_PT4_
	.p2align	8
	.type	_ZL24rocblas_dot_kernel_magsqIiLb0ELi512ELi8ELb0E16rocblas_bfloat16PKS0_fEviT5_lT_liPT6_PT4_,@function
_ZL24rocblas_dot_kernel_magsqIiLb0ELi512ELi8ELb0E16rocblas_bfloat16PKS0_fEviT5_lT_liPT6_PT4_: ; @_ZL24rocblas_dot_kernel_magsqIiLb0ELi512ELi8ELb0E16rocblas_bfloat16PKS0_fEviT5_lT_liPT6_PT4_
; %bb.0:
	s_clause 0x2
	s_load_b32 s11, s[0:1], 0x0
	s_load_b128 s[4:7], s[0:1], 0x30
	s_load_b32 s10, s[0:1], 0x40
	v_lshl_or_b32 v1, s14, 9, v0
	v_mov_b32_e32 v3, 0
	s_mov_b32 s2, s15
	s_mov_b32 s3, 0
	s_mov_b32 s12, exec_lo
	s_waitcnt lgkmcnt(0)
	v_cmpx_gt_i32_e64 s11, v1
	s_cbranch_execz .LBB26_4
; %bb.1:
	s_clause 0x2
	s_load_b32 s13, s[0:1], 0x18
	s_load_b64 s[8:9], s[0:1], 0x20
	s_load_b128 s[16:19], s[0:1], 0x8
	s_lshl_b32 s1, s10, 9
	s_mov_b32 s15, s3
	v_add_nc_u32_e32 v4, s1, v1
	s_waitcnt lgkmcnt(0)
	v_mad_i64_i32 v[2:3], null, s13, v1, 0
	s_mul_i32 s0, s9, s2
	s_mul_hi_u32 s9, s8, s2
	s_mul_i32 s8, s8, s2
	s_add_i32 s9, s9, s0
	s_lshl_b64 s[18:19], s[18:19], 1
	s_lshl_b64 s[8:9], s[8:9], 1
	s_delay_alu instid0(VALU_DEP_1)
	v_lshlrev_b64 v[1:2], 1, v[2:3]
	v_mov_b32_e32 v3, 0
	s_add_u32 s0, s16, s18
	s_mul_hi_i32 s21, s13, s1
	s_mul_i32 s20, s13, s1
	s_addc_u32 s13, s17, s19
	s_add_u32 s0, s0, s8
	s_addc_u32 s8, s13, s9
	v_add_co_u32 v1, vcc_lo, s0, v1
	v_add_co_ci_u32_e32 v2, vcc_lo, s8, v2, vcc_lo
	s_lshl_b64 s[8:9], s[20:21], 1
	s_mov_b32 s13, s3
	.p2align	6
.LBB26_2:                               ; =>This Inner Loop Header: Depth=1
	global_load_u16 v5, v[1:2], off
	s_add_i32 s16, s15, 1
	v_cmp_le_i32_e32 vcc_lo, s11, v4
	v_add_co_u32 v1, s0, v1, s8
	s_cmp_gt_u32 s15, 6
	v_add_co_ci_u32_e64 v2, s0, s9, v2, s0
	s_cselect_b32 s0, -1, 0
	s_mov_b32 s15, s16
	s_or_b32 s0, s0, vcc_lo
	s_delay_alu instid0(SALU_CYCLE_1) | instskip(NEXT) | instid1(SALU_CYCLE_1)
	s_and_b32 s0, exec_lo, s0
	s_or_b32 s13, s0, s13
	s_waitcnt vmcnt(0)
	v_lshlrev_b32_e32 v5, 16, v5
	s_delay_alu instid0(VALU_DEP_1)
	v_dual_fmac_f32 v3, v5, v5 :: v_dual_add_nc_u32 v4, s1, v4
	s_and_not1_b32 exec_lo, exec_lo, s13
	s_cbranch_execnz .LBB26_2
; %bb.3:
	s_or_b32 exec_lo, exec_lo, s13
.LBB26_4:
	s_delay_alu instid0(SALU_CYCLE_1) | instskip(SKIP_2) | instid1(VALU_DEP_2)
	s_or_b32 exec_lo, exec_lo, s12
	v_and_b32_e32 v1, 31, v0
	v_cmp_gt_u32_e32 vcc_lo, 32, v0
	v_lshlrev_b32_e32 v2, 2, v1
	s_and_saveexec_b32 s0, vcc_lo
	s_cbranch_execz .LBB26_6
; %bb.5:
	v_mov_b32_e32 v4, 0
	ds_store_b32 v2, v4
.LBB26_6:
	s_or_b32 exec_lo, exec_lo, s0
	v_mbcnt_lo_u32_b32 v6, -1, 0
	s_mov_b32 s1, exec_lo
	s_waitcnt lgkmcnt(0)
	s_barrier
	buffer_gl0_inv
	v_cmp_gt_u32_e64 s0, 16, v6
	s_delay_alu instid0(VALU_DEP_1) | instskip(SKIP_1) | instid1(VALU_DEP_2)
	v_cndmask_b32_e64 v4, 0, 1, s0
	v_cmp_gt_u32_e64 s0, 24, v6
	v_lshlrev_b32_e32 v4, 4, v4
	s_delay_alu instid0(VALU_DEP_1) | instskip(SKIP_4) | instid1(VALU_DEP_2)
	v_add_lshl_u32 v4, v4, v6, 2
	ds_bpermute_b32 v5, v4, v3
	v_cndmask_b32_e64 v4, 0, 1, s0
	v_cmp_gt_u32_e64 s0, 28, v6
	s_waitcnt lgkmcnt(0)
	v_dual_add_f32 v5, v3, v5 :: v_dual_lshlrev_b32 v4, 3, v4
	s_delay_alu instid0(VALU_DEP_2) | instskip(SKIP_1) | instid1(VALU_DEP_3)
	v_cndmask_b32_e64 v3, 0, 1, s0
	v_cmp_gt_u32_e64 s0, 30, v6
	v_add_lshl_u32 v4, v4, v6, 2
	s_delay_alu instid0(VALU_DEP_3)
	v_lshlrev_b32_e32 v3, 2, v3
	ds_bpermute_b32 v7, v4, v5
	v_add_lshl_u32 v3, v3, v6, 2
	s_waitcnt lgkmcnt(0)
	v_add_f32_e32 v7, v5, v7
	v_cndmask_b32_e64 v5, 0, 1, s0
	v_cmp_ne_u32_e64 s0, 31, v6
	ds_bpermute_b32 v8, v3, v7
	v_lshlrev_b32_e32 v5, 1, v5
	s_delay_alu instid0(VALU_DEP_1) | instskip(SKIP_2) | instid1(VALU_DEP_1)
	v_add_lshl_u32 v5, v5, v6, 2
	v_add_co_ci_u32_e64 v6, s0, 0, v6, s0
	s_waitcnt lgkmcnt(0)
	v_dual_add_f32 v7, v7, v8 :: v_dual_lshlrev_b32 v6, 2, v6
	ds_bpermute_b32 v8, v5, v7
	s_waitcnt lgkmcnt(0)
	v_add_f32_e32 v7, v7, v8
	ds_bpermute_b32 v8, v6, v7
	v_cmpx_eq_u32_e32 0, v1
	s_cbranch_execz .LBB26_8
; %bb.7:
	v_lshrrev_b32_e32 v1, 3, v0
	s_waitcnt lgkmcnt(0)
	v_add_f32_e32 v7, v7, v8
	s_delay_alu instid0(VALU_DEP_2)
	v_and_b32_e32 v1, 60, v1
	ds_store_b32 v1, v7
.LBB26_8:
	s_or_b32 exec_lo, exec_lo, s1
	v_mov_b32_e32 v1, 0
	s_mov_b32 s1, exec_lo
	s_waitcnt lgkmcnt(0)
	s_barrier
	buffer_gl0_inv
	v_cmpx_gt_u32_e32 16, v0
	s_cbranch_execz .LBB26_10
; %bb.9:
	ds_load_b32 v1, v2
.LBB26_10:
	s_or_b32 exec_lo, exec_lo, s1
	s_and_saveexec_b32 s0, vcc_lo
	s_cbranch_execz .LBB26_12
; %bb.11:
	s_waitcnt lgkmcnt(0)
	ds_bpermute_b32 v2, v4, v1
	s_waitcnt lgkmcnt(0)
	v_add_f32_e32 v1, v1, v2
	ds_bpermute_b32 v2, v3, v1
	s_waitcnt lgkmcnt(0)
	v_add_f32_e32 v1, v1, v2
	ds_bpermute_b32 v2, v5, v1
	s_waitcnt lgkmcnt(0)
	v_add_f32_e32 v1, v1, v2
	ds_bpermute_b32 v2, v6, v1
	s_waitcnt lgkmcnt(0)
	v_add_f32_e32 v1, v1, v2
.LBB26_12:
	s_or_b32 exec_lo, exec_lo, s0
	s_delay_alu instid0(SALU_CYCLE_1)
	s_mov_b32 s0, exec_lo
	v_cmpx_eq_u32_e32 0, v0
	s_cbranch_execz .LBB26_21
; %bb.13:
	s_cmp_lg_u32 s10, 1
	s_mov_b32 s15, -1
	s_cbranch_scc0 .LBB26_15
; %bb.14:
	s_mul_hi_u32 s1, s10, s2
	s_mul_i32 s0, s10, s2
	s_mov_b32 s15, 0
	s_lshl_b64 s[0:1], s[0:1], 2
	v_mov_b32_e32 v0, 0
	s_add_u32 s4, s4, s0
	s_addc_u32 s5, s5, s1
	s_lshl_b64 s[0:1], s[14:15], 2
	s_delay_alu instid0(SALU_CYCLE_1)
	s_add_u32 s0, s4, s0
	s_addc_u32 s1, s5, s1
	s_waitcnt lgkmcnt(0)
	global_store_b32 v0, v1, s[0:1]
.LBB26_15:
	s_and_not1_b32 vcc_lo, exec_lo, s15
	s_cbranch_vccnz .LBB26_21
; %bb.16:
	s_waitcnt lgkmcnt(0)
	v_and_b32_e32 v0, 0x7f800000, v1
	s_delay_alu instid0(VALU_DEP_1) | instskip(SKIP_1) | instid1(SALU_CYCLE_1)
	v_cmp_ne_u32_e32 vcc_lo, 0x7f800000, v0
                                        ; implicit-def: $vgpr0
	s_and_saveexec_b32 s0, vcc_lo
	s_xor_b32 s0, exec_lo, s0
; %bb.17:
	v_bfe_u32 v0, v1, 16, 1
	s_delay_alu instid0(VALU_DEP_1)
	v_add3_u32 v0, v1, v0, 0x7fff
                                        ; implicit-def: $vgpr1
; %bb.18:
	s_and_not1_saveexec_b32 s0, s0
; %bb.19:
	v_and_b32_e32 v0, 0xffff, v1
	v_or_b32_e32 v2, 0x10000, v1
	s_delay_alu instid0(VALU_DEP_2) | instskip(NEXT) | instid1(VALU_DEP_2)
	v_cmp_eq_u32_e32 vcc_lo, 0, v0
	v_cndmask_b32_e32 v0, v2, v1, vcc_lo
; %bb.20:
	s_or_b32 exec_lo, exec_lo, s0
	s_lshl_b64 s[0:1], s[2:3], 1
	v_mov_b32_e32 v1, 0
	s_add_u32 s0, s6, s0
	s_addc_u32 s1, s7, s1
	global_store_d16_hi_b16 v1, v0, s[0:1]
.LBB26_21:
	s_nop 0
	s_sendmsg sendmsg(MSG_DEALLOC_VGPRS)
	s_endpgm
	.section	.rodata,"a",@progbits
	.p2align	6, 0x0
	.amdhsa_kernel _ZL24rocblas_dot_kernel_magsqIiLb0ELi512ELi8ELb0E16rocblas_bfloat16PKS0_fEviT5_lT_liPT6_PT4_
		.amdhsa_group_segment_fixed_size 128
		.amdhsa_private_segment_fixed_size 0
		.amdhsa_kernarg_size 320
		.amdhsa_user_sgpr_count 14
		.amdhsa_user_sgpr_dispatch_ptr 0
		.amdhsa_user_sgpr_queue_ptr 0
		.amdhsa_user_sgpr_kernarg_segment_ptr 1
		.amdhsa_user_sgpr_dispatch_id 0
		.amdhsa_user_sgpr_private_segment_size 0
		.amdhsa_wavefront_size32 1
		.amdhsa_uses_dynamic_stack 0
		.amdhsa_enable_private_segment 0
		.amdhsa_system_sgpr_workgroup_id_x 1
		.amdhsa_system_sgpr_workgroup_id_y 0
		.amdhsa_system_sgpr_workgroup_id_z 1
		.amdhsa_system_sgpr_workgroup_info 0
		.amdhsa_system_vgpr_workitem_id 0
		.amdhsa_next_free_vgpr 9
		.amdhsa_next_free_sgpr 22
		.amdhsa_reserve_vcc 1
		.amdhsa_float_round_mode_32 0
		.amdhsa_float_round_mode_16_64 0
		.amdhsa_float_denorm_mode_32 3
		.amdhsa_float_denorm_mode_16_64 3
		.amdhsa_dx10_clamp 1
		.amdhsa_ieee_mode 1
		.amdhsa_fp16_overflow 0
		.amdhsa_workgroup_processor_mode 1
		.amdhsa_memory_ordered 1
		.amdhsa_forward_progress 0
		.amdhsa_shared_vgpr_count 0
		.amdhsa_exception_fp_ieee_invalid_op 0
		.amdhsa_exception_fp_denorm_src 0
		.amdhsa_exception_fp_ieee_div_zero 0
		.amdhsa_exception_fp_ieee_overflow 0
		.amdhsa_exception_fp_ieee_underflow 0
		.amdhsa_exception_fp_ieee_inexact 0
		.amdhsa_exception_int_div_zero 0
	.end_amdhsa_kernel
	.section	.text._ZL24rocblas_dot_kernel_magsqIiLb0ELi512ELi8ELb0E16rocblas_bfloat16PKS0_fEviT5_lT_liPT6_PT4_,"axG",@progbits,_ZL24rocblas_dot_kernel_magsqIiLb0ELi512ELi8ELb0E16rocblas_bfloat16PKS0_fEviT5_lT_liPT6_PT4_,comdat
.Lfunc_end26:
	.size	_ZL24rocblas_dot_kernel_magsqIiLb0ELi512ELi8ELb0E16rocblas_bfloat16PKS0_fEviT5_lT_liPT6_PT4_, .Lfunc_end26-_ZL24rocblas_dot_kernel_magsqIiLb0ELi512ELi8ELb0E16rocblas_bfloat16PKS0_fEviT5_lT_liPT6_PT4_
                                        ; -- End function
	.section	.AMDGPU.csdata,"",@progbits
; Kernel info:
; codeLenInByte = 976
; NumSgprs: 24
; NumVgprs: 9
; ScratchSize: 0
; MemoryBound: 0
; FloatMode: 240
; IeeeMode: 1
; LDSByteSize: 128 bytes/workgroup (compile time only)
; SGPRBlocks: 2
; VGPRBlocks: 1
; NumSGPRsForWavesPerEU: 24
; NumVGPRsForWavesPerEU: 9
; Occupancy: 16
; WaveLimiterHint : 0
; COMPUTE_PGM_RSRC2:SCRATCH_EN: 0
; COMPUTE_PGM_RSRC2:USER_SGPR: 14
; COMPUTE_PGM_RSRC2:TRAP_HANDLER: 0
; COMPUTE_PGM_RSRC2:TGID_X_EN: 1
; COMPUTE_PGM_RSRC2:TGID_Y_EN: 0
; COMPUTE_PGM_RSRC2:TGID_Z_EN: 1
; COMPUTE_PGM_RSRC2:TIDIG_COMP_CNT: 0
	.section	.text._ZL28rocblas_dot_batched_4_kernelIiLi32ELi4ELb0EffPK16rocblas_bfloat16EviT5_lT_lS3_lS4_liPT4_,"axG",@progbits,_ZL28rocblas_dot_batched_4_kernelIiLi32ELi4ELb0EffPK16rocblas_bfloat16EviT5_lT_lS3_lS4_liPT4_,comdat
	.globl	_ZL28rocblas_dot_batched_4_kernelIiLi32ELi4ELb0EffPK16rocblas_bfloat16EviT5_lT_lS3_lS4_liPT4_ ; -- Begin function _ZL28rocblas_dot_batched_4_kernelIiLi32ELi4ELb0EffPK16rocblas_bfloat16EviT5_lT_lS3_lS4_liPT4_
	.p2align	8
	.type	_ZL28rocblas_dot_batched_4_kernelIiLi32ELi4ELb0EffPK16rocblas_bfloat16EviT5_lT_lS3_lS4_liPT4_,@function
_ZL28rocblas_dot_batched_4_kernelIiLi32ELi4ELb0EffPK16rocblas_bfloat16EviT5_lT_lS3_lS4_liPT4_: ; @_ZL28rocblas_dot_batched_4_kernelIiLi32ELi4ELb0EffPK16rocblas_bfloat16EviT5_lT_lS3_lS4_liPT4_
; %bb.0:
	s_load_b32 s2, s[0:1], 0x48
	v_bfe_u32 v1, v0, 10, 10
	s_delay_alu instid0(VALU_DEP_1) | instskip(SKIP_1) | instid1(VALU_DEP_1)
	v_lshl_add_u32 v1, s15, 2, v1
	s_waitcnt lgkmcnt(0)
	v_cmp_gt_u32_e32 vcc_lo, s2, v1
	s_and_saveexec_b32 s2, vcc_lo
	s_cbranch_execz .LBB27_7
; %bb.1:
	s_clause 0x1
	s_load_b32 s12, s[0:1], 0x0
	s_load_b64 s[2:3], s[0:1], 0x50
	v_mov_b32_e32 v2, 0
	v_and_b32_e32 v0, 0x3ff, v0
	s_mov_b32 s13, exec_lo
	s_delay_alu instid0(VALU_DEP_2) | instskip(SKIP_1) | instid1(VALU_DEP_2)
	v_mov_b32_e32 v7, v2
	s_waitcnt lgkmcnt(0)
	v_cmpx_gt_i32_e64 s12, v0
	s_cbranch_execz .LBB27_5
; %bb.2:
	s_clause 0x5
	s_load_b128 s[4:7], s[0:1], 0x20
	s_load_b64 s[14:15], s[0:1], 0x40
	s_load_b32 s16, s[0:1], 0x18
	s_load_b32 s18, s[0:1], 0x38
	s_load_b128 s[8:11], s[0:1], 0x8
	s_load_b64 s[0:1], s[0:1], 0x30
	s_waitcnt lgkmcnt(0)
	v_mad_u64_u32 v[3:4], null, s4, v1, 0
	v_mad_u64_u32 v[5:6], null, s14, v1, 0
	v_mad_i64_i32 v[8:9], null, s16, v0, 0
	s_ashr_i32 s17, s16, 31
	s_ashr_i32 s19, s18, 31
	s_delay_alu instid0(VALU_DEP_2) | instskip(SKIP_1) | instid1(VALU_DEP_3)
	v_mad_u64_u32 v[10:11], null, s5, v1, v[4:5]
	v_mov_b32_e32 v7, 0
	v_lshlrev_b64 v[8:9], 1, v[8:9]
	s_lshl_b64 s[4:5], s[10:11], 1
	s_delay_alu instid0(SALU_CYCLE_1) | instskip(SKIP_1) | instid1(VALU_DEP_3)
	s_add_u32 s8, s8, s4
	s_addc_u32 s9, s9, s5
	v_mov_b32_e32 v4, v10
	v_mad_u64_u32 v[11:12], null, s15, v1, v[6:7]
	v_mad_i64_i32 v[12:13], null, s18, v0, 0
	s_delay_alu instid0(VALU_DEP_3) | instskip(SKIP_3) | instid1(VALU_DEP_3)
	v_lshlrev_b64 v[3:4], 1, v[3:4]
	s_lshl_b64 s[0:1], s[0:1], 1
	s_lshl_b64 s[4:5], s[16:17], 6
	s_add_u32 s0, s6, s0
	v_mov_b32_e32 v6, v11
	s_addc_u32 s1, s7, s1
	s_delay_alu instid0(VALU_DEP_3) | instskip(SKIP_1) | instid1(VALU_DEP_3)
	v_lshlrev_b64 v[10:11], 1, v[12:13]
	v_add_co_u32 v3, vcc_lo, v8, v3
	v_lshlrev_b64 v[5:6], 1, v[5:6]
	v_add_co_ci_u32_e32 v4, vcc_lo, v9, v4, vcc_lo
	v_mov_b32_e32 v8, v0
	s_lshl_b64 s[6:7], s[18:19], 6
	s_delay_alu instid0(VALU_DEP_3) | instskip(NEXT) | instid1(VALU_DEP_4)
	v_add_co_u32 v5, vcc_lo, v10, v5
	v_add_co_ci_u32_e32 v6, vcc_lo, v11, v6, vcc_lo
	v_add_co_u32 v3, vcc_lo, s8, v3
	v_add_co_ci_u32_e32 v4, vcc_lo, s9, v4, vcc_lo
	s_delay_alu instid0(VALU_DEP_4) | instskip(NEXT) | instid1(VALU_DEP_4)
	v_add_co_u32 v5, vcc_lo, s0, v5
	v_add_co_ci_u32_e32 v6, vcc_lo, s1, v6, vcc_lo
	s_mov_b32 s1, 0
	.p2align	6
.LBB27_3:                               ; =>This Inner Loop Header: Depth=1
	global_load_u16 v9, v[5:6], off
	global_load_u16 v10, v[3:4], off
	v_add_co_u32 v3, vcc_lo, v3, s4
	v_add_co_ci_u32_e32 v4, vcc_lo, s5, v4, vcc_lo
	v_add_co_u32 v5, vcc_lo, v5, s6
	v_add_co_ci_u32_e32 v6, vcc_lo, s7, v6, vcc_lo
	s_waitcnt vmcnt(1)
	v_lshlrev_b32_e32 v9, 16, v9
	s_waitcnt vmcnt(0)
	v_lshlrev_b32_e32 v10, 16, v10
	s_delay_alu instid0(VALU_DEP_1) | instskip(NEXT) | instid1(VALU_DEP_1)
	v_dual_fmac_f32 v7, v10, v9 :: v_dual_add_nc_u32 v8, 32, v8
	v_cmp_le_i32_e64 s0, s12, v8
	s_delay_alu instid0(VALU_DEP_1) | instskip(NEXT) | instid1(SALU_CYCLE_1)
	s_or_b32 s1, s0, s1
	s_and_not1_b32 exec_lo, exec_lo, s1
	s_cbranch_execnz .LBB27_3
; %bb.4:
	s_or_b32 exec_lo, exec_lo, s1
.LBB27_5:
	s_delay_alu instid0(SALU_CYCLE_1)
	s_or_b32 exec_lo, exec_lo, s13
	v_mbcnt_lo_u32_b32 v3, -1, 0
	s_barrier
	buffer_gl0_inv
	v_cmp_gt_u32_e32 vcc_lo, 16, v3
	v_cndmask_b32_e64 v4, 0, 1, vcc_lo
	v_cmp_gt_u32_e32 vcc_lo, 24, v3
	s_delay_alu instid0(VALU_DEP_2) | instskip(SKIP_2) | instid1(VALU_DEP_3)
	v_lshlrev_b32_e32 v4, 4, v4
	v_cndmask_b32_e64 v5, 0, 1, vcc_lo
	v_cmp_gt_u32_e32 vcc_lo, 28, v3
	v_add_lshl_u32 v4, v4, v3, 2
	v_cndmask_b32_e64 v6, 0, 1, vcc_lo
	v_cmp_gt_u32_e32 vcc_lo, 30, v3
	ds_bpermute_b32 v4, v4, v7
	v_lshlrev_b32_e32 v5, 3, v5
	v_lshlrev_b32_e32 v6, 2, v6
	s_delay_alu instid0(VALU_DEP_1)
	v_add_lshl_u32 v6, v6, v3, 2
	s_waitcnt lgkmcnt(0)
	v_add_f32_e32 v4, v7, v4
	v_add_lshl_u32 v5, v5, v3, 2
	ds_bpermute_b32 v5, v5, v4
	s_waitcnt lgkmcnt(0)
	v_add_f32_e32 v4, v4, v5
	ds_bpermute_b32 v5, v6, v4
	v_cndmask_b32_e64 v6, 0, 1, vcc_lo
	v_cmp_ne_u32_e32 vcc_lo, 31, v3
	s_delay_alu instid0(VALU_DEP_2) | instskip(NEXT) | instid1(VALU_DEP_1)
	v_lshlrev_b32_e32 v6, 1, v6
	v_add_lshl_u32 v6, v6, v3, 2
	s_waitcnt lgkmcnt(0)
	v_add_f32_e32 v4, v4, v5
	ds_bpermute_b32 v5, v6, v4
	v_add_co_ci_u32_e32 v6, vcc_lo, 0, v3, vcc_lo
	v_cmp_eq_u32_e32 vcc_lo, 0, v0
	s_waitcnt lgkmcnt(0)
	s_delay_alu instid0(VALU_DEP_2)
	v_dual_add_f32 v3, v4, v5 :: v_dual_lshlrev_b32 v4, 2, v6
	ds_bpermute_b32 v4, v4, v3
	s_and_b32 exec_lo, exec_lo, vcc_lo
	s_cbranch_execz .LBB27_7
; %bb.6:
	v_lshlrev_b64 v[0:1], 2, v[1:2]
	s_waitcnt lgkmcnt(0)
	v_add_f32_e32 v2, v3, v4
	s_delay_alu instid0(VALU_DEP_2) | instskip(NEXT) | instid1(VALU_DEP_3)
	v_add_co_u32 v0, vcc_lo, s2, v0
	v_add_co_ci_u32_e32 v1, vcc_lo, s3, v1, vcc_lo
	global_store_b32 v[0:1], v2, off
.LBB27_7:
	s_nop 0
	s_sendmsg sendmsg(MSG_DEALLOC_VGPRS)
	s_endpgm
	.section	.rodata,"a",@progbits
	.p2align	6, 0x0
	.amdhsa_kernel _ZL28rocblas_dot_batched_4_kernelIiLi32ELi4ELb0EffPK16rocblas_bfloat16EviT5_lT_lS3_lS4_liPT4_
		.amdhsa_group_segment_fixed_size 0
		.amdhsa_private_segment_fixed_size 0
		.amdhsa_kernarg_size 88
		.amdhsa_user_sgpr_count 15
		.amdhsa_user_sgpr_dispatch_ptr 0
		.amdhsa_user_sgpr_queue_ptr 0
		.amdhsa_user_sgpr_kernarg_segment_ptr 1
		.amdhsa_user_sgpr_dispatch_id 0
		.amdhsa_user_sgpr_private_segment_size 0
		.amdhsa_wavefront_size32 1
		.amdhsa_uses_dynamic_stack 0
		.amdhsa_enable_private_segment 0
		.amdhsa_system_sgpr_workgroup_id_x 1
		.amdhsa_system_sgpr_workgroup_id_y 0
		.amdhsa_system_sgpr_workgroup_id_z 0
		.amdhsa_system_sgpr_workgroup_info 0
		.amdhsa_system_vgpr_workitem_id 1
		.amdhsa_next_free_vgpr 14
		.amdhsa_next_free_sgpr 20
		.amdhsa_reserve_vcc 1
		.amdhsa_float_round_mode_32 0
		.amdhsa_float_round_mode_16_64 0
		.amdhsa_float_denorm_mode_32 3
		.amdhsa_float_denorm_mode_16_64 3
		.amdhsa_dx10_clamp 1
		.amdhsa_ieee_mode 1
		.amdhsa_fp16_overflow 0
		.amdhsa_workgroup_processor_mode 1
		.amdhsa_memory_ordered 1
		.amdhsa_forward_progress 0
		.amdhsa_shared_vgpr_count 0
		.amdhsa_exception_fp_ieee_invalid_op 0
		.amdhsa_exception_fp_denorm_src 0
		.amdhsa_exception_fp_ieee_div_zero 0
		.amdhsa_exception_fp_ieee_overflow 0
		.amdhsa_exception_fp_ieee_underflow 0
		.amdhsa_exception_fp_ieee_inexact 0
		.amdhsa_exception_int_div_zero 0
	.end_amdhsa_kernel
	.section	.text._ZL28rocblas_dot_batched_4_kernelIiLi32ELi4ELb0EffPK16rocblas_bfloat16EviT5_lT_lS3_lS4_liPT4_,"axG",@progbits,_ZL28rocblas_dot_batched_4_kernelIiLi32ELi4ELb0EffPK16rocblas_bfloat16EviT5_lT_lS3_lS4_liPT4_,comdat
.Lfunc_end27:
	.size	_ZL28rocblas_dot_batched_4_kernelIiLi32ELi4ELb0EffPK16rocblas_bfloat16EviT5_lT_lS3_lS4_liPT4_, .Lfunc_end27-_ZL28rocblas_dot_batched_4_kernelIiLi32ELi4ELb0EffPK16rocblas_bfloat16EviT5_lT_lS3_lS4_liPT4_
                                        ; -- End function
	.section	.AMDGPU.csdata,"",@progbits
; Kernel info:
; codeLenInByte = 756
; NumSgprs: 22
; NumVgprs: 14
; ScratchSize: 0
; MemoryBound: 0
; FloatMode: 240
; IeeeMode: 1
; LDSByteSize: 0 bytes/workgroup (compile time only)
; SGPRBlocks: 2
; VGPRBlocks: 1
; NumSGPRsForWavesPerEU: 22
; NumVGPRsForWavesPerEU: 14
; Occupancy: 16
; WaveLimiterHint : 0
; COMPUTE_PGM_RSRC2:SCRATCH_EN: 0
; COMPUTE_PGM_RSRC2:USER_SGPR: 15
; COMPUTE_PGM_RSRC2:TRAP_HANDLER: 0
; COMPUTE_PGM_RSRC2:TGID_X_EN: 1
; COMPUTE_PGM_RSRC2:TGID_Y_EN: 0
; COMPUTE_PGM_RSRC2:TGID_Z_EN: 0
; COMPUTE_PGM_RSRC2:TIDIG_COMP_CNT: 1
	.section	.text._ZL28rocblas_dot_batched_4_kernelIiLi64ELi4ELb0EffPK16rocblas_bfloat16EviT5_lT_lS3_lS4_liPT4_,"axG",@progbits,_ZL28rocblas_dot_batched_4_kernelIiLi64ELi4ELb0EffPK16rocblas_bfloat16EviT5_lT_lS3_lS4_liPT4_,comdat
	.globl	_ZL28rocblas_dot_batched_4_kernelIiLi64ELi4ELb0EffPK16rocblas_bfloat16EviT5_lT_lS3_lS4_liPT4_ ; -- Begin function _ZL28rocblas_dot_batched_4_kernelIiLi64ELi4ELb0EffPK16rocblas_bfloat16EviT5_lT_lS3_lS4_liPT4_
	.p2align	8
	.type	_ZL28rocblas_dot_batched_4_kernelIiLi64ELi4ELb0EffPK16rocblas_bfloat16EviT5_lT_lS3_lS4_liPT4_,@function
_ZL28rocblas_dot_batched_4_kernelIiLi64ELi4ELb0EffPK16rocblas_bfloat16EviT5_lT_lS3_lS4_liPT4_: ; @_ZL28rocblas_dot_batched_4_kernelIiLi64ELi4ELb0EffPK16rocblas_bfloat16EviT5_lT_lS3_lS4_liPT4_
; %bb.0:
	s_load_b32 s2, s[0:1], 0x48
	v_bfe_u32 v1, v0, 10, 10
	s_delay_alu instid0(VALU_DEP_1) | instskip(SKIP_1) | instid1(VALU_DEP_1)
	v_lshl_add_u32 v1, s15, 2, v1
	s_waitcnt lgkmcnt(0)
	v_cmp_gt_u32_e32 vcc_lo, s2, v1
	s_and_saveexec_b32 s2, vcc_lo
	s_cbranch_execz .LBB28_7
; %bb.1:
	s_clause 0x1
	s_load_b32 s12, s[0:1], 0x0
	s_load_b64 s[2:3], s[0:1], 0x50
	v_mov_b32_e32 v2, 0
	v_and_b32_e32 v0, 0x3ff, v0
	s_mov_b32 s13, exec_lo
	s_delay_alu instid0(VALU_DEP_2) | instskip(SKIP_1) | instid1(VALU_DEP_2)
	v_mov_b32_e32 v7, v2
	s_waitcnt lgkmcnt(0)
	v_cmpx_gt_i32_e64 s12, v0
	s_cbranch_execz .LBB28_5
; %bb.2:
	s_clause 0x5
	s_load_b128 s[4:7], s[0:1], 0x20
	s_load_b64 s[14:15], s[0:1], 0x40
	s_load_b32 s16, s[0:1], 0x18
	s_load_b32 s18, s[0:1], 0x38
	s_load_b128 s[8:11], s[0:1], 0x8
	s_load_b64 s[0:1], s[0:1], 0x30
	s_waitcnt lgkmcnt(0)
	v_mad_u64_u32 v[3:4], null, s4, v1, 0
	v_mad_u64_u32 v[5:6], null, s14, v1, 0
	v_mad_i64_i32 v[8:9], null, s16, v0, 0
	s_ashr_i32 s17, s16, 31
	s_ashr_i32 s19, s18, 31
	s_delay_alu instid0(VALU_DEP_2) | instskip(SKIP_1) | instid1(VALU_DEP_3)
	v_mad_u64_u32 v[10:11], null, s5, v1, v[4:5]
	v_mov_b32_e32 v7, 0
	v_lshlrev_b64 v[8:9], 1, v[8:9]
	s_lshl_b64 s[4:5], s[10:11], 1
	s_delay_alu instid0(SALU_CYCLE_1) | instskip(SKIP_1) | instid1(VALU_DEP_3)
	s_add_u32 s8, s8, s4
	s_addc_u32 s9, s9, s5
	v_mov_b32_e32 v4, v10
	v_mad_u64_u32 v[11:12], null, s15, v1, v[6:7]
	v_mad_i64_i32 v[12:13], null, s18, v0, 0
	s_delay_alu instid0(VALU_DEP_3) | instskip(SKIP_3) | instid1(VALU_DEP_3)
	v_lshlrev_b64 v[3:4], 1, v[3:4]
	s_lshl_b64 s[0:1], s[0:1], 1
	s_lshl_b64 s[4:5], s[16:17], 7
	s_add_u32 s0, s6, s0
	v_mov_b32_e32 v6, v11
	s_addc_u32 s1, s7, s1
	s_delay_alu instid0(VALU_DEP_3) | instskip(SKIP_1) | instid1(VALU_DEP_3)
	v_lshlrev_b64 v[10:11], 1, v[12:13]
	v_add_co_u32 v3, vcc_lo, v8, v3
	v_lshlrev_b64 v[5:6], 1, v[5:6]
	v_add_co_ci_u32_e32 v4, vcc_lo, v9, v4, vcc_lo
	v_mov_b32_e32 v8, v0
	s_lshl_b64 s[6:7], s[18:19], 7
	s_delay_alu instid0(VALU_DEP_3) | instskip(NEXT) | instid1(VALU_DEP_4)
	v_add_co_u32 v5, vcc_lo, v10, v5
	v_add_co_ci_u32_e32 v6, vcc_lo, v11, v6, vcc_lo
	v_add_co_u32 v3, vcc_lo, s8, v3
	v_add_co_ci_u32_e32 v4, vcc_lo, s9, v4, vcc_lo
	s_delay_alu instid0(VALU_DEP_4) | instskip(NEXT) | instid1(VALU_DEP_4)
	v_add_co_u32 v5, vcc_lo, s0, v5
	v_add_co_ci_u32_e32 v6, vcc_lo, s1, v6, vcc_lo
	s_mov_b32 s1, 0
	.p2align	6
.LBB28_3:                               ; =>This Inner Loop Header: Depth=1
	global_load_u16 v9, v[5:6], off
	global_load_u16 v10, v[3:4], off
	v_add_co_u32 v3, vcc_lo, v3, s4
	v_add_co_ci_u32_e32 v4, vcc_lo, s5, v4, vcc_lo
	v_add_co_u32 v5, vcc_lo, v5, s6
	v_add_co_ci_u32_e32 v6, vcc_lo, s7, v6, vcc_lo
	s_waitcnt vmcnt(1)
	v_lshlrev_b32_e32 v9, 16, v9
	s_waitcnt vmcnt(0)
	v_lshlrev_b32_e32 v10, 16, v10
	s_delay_alu instid0(VALU_DEP_1) | instskip(NEXT) | instid1(VALU_DEP_1)
	v_dual_fmac_f32 v7, v10, v9 :: v_dual_add_nc_u32 v8, 64, v8
	v_cmp_le_i32_e64 s0, s12, v8
	s_delay_alu instid0(VALU_DEP_1) | instskip(NEXT) | instid1(SALU_CYCLE_1)
	s_or_b32 s1, s0, s1
	s_and_not1_b32 exec_lo, exec_lo, s1
	s_cbranch_execnz .LBB28_3
; %bb.4:
	s_or_b32 exec_lo, exec_lo, s1
.LBB28_5:
	s_delay_alu instid0(SALU_CYCLE_1)
	s_or_b32 exec_lo, exec_lo, s13
	v_mbcnt_lo_u32_b32 v3, -1, 0
	s_barrier
	buffer_gl0_inv
	v_lshlrev_b32_e32 v4, 2, v3
	v_cmp_gt_u32_e32 vcc_lo, 16, v3
	ds_bpermute_b32 v4, v4, v7
	v_cndmask_b32_e64 v5, 0, 1, vcc_lo
	v_cmp_gt_u32_e32 vcc_lo, 24, v3
	s_delay_alu instid0(VALU_DEP_2) | instskip(SKIP_2) | instid1(VALU_DEP_2)
	v_lshlrev_b32_e32 v5, 4, v5
	v_cndmask_b32_e64 v6, 0, 1, vcc_lo
	v_cmp_gt_u32_e32 vcc_lo, 28, v3
	v_lshlrev_b32_e32 v6, 3, v6
	s_delay_alu instid0(VALU_DEP_1)
	v_add_lshl_u32 v6, v6, v3, 2
	s_waitcnt lgkmcnt(0)
	v_add_f32_e32 v4, v7, v4
	v_add_lshl_u32 v5, v5, v3, 2
	ds_bpermute_b32 v5, v5, v4
	s_waitcnt lgkmcnt(0)
	v_add_f32_e32 v4, v4, v5
	ds_bpermute_b32 v5, v6, v4
	v_cndmask_b32_e64 v6, 0, 1, vcc_lo
	v_cmp_gt_u32_e32 vcc_lo, 30, v3
	s_delay_alu instid0(VALU_DEP_2) | instskip(NEXT) | instid1(VALU_DEP_1)
	v_lshlrev_b32_e32 v6, 2, v6
	v_add_lshl_u32 v6, v6, v3, 2
	s_waitcnt lgkmcnt(0)
	v_add_f32_e32 v4, v4, v5
	ds_bpermute_b32 v5, v6, v4
	v_cndmask_b32_e64 v6, 0, 1, vcc_lo
	v_cmp_ne_u32_e32 vcc_lo, 31, v3
	s_delay_alu instid0(VALU_DEP_2) | instskip(NEXT) | instid1(VALU_DEP_1)
	v_lshlrev_b32_e32 v6, 1, v6
	v_add_lshl_u32 v6, v6, v3, 2
	s_waitcnt lgkmcnt(0)
	v_add_f32_e32 v4, v4, v5
	ds_bpermute_b32 v5, v6, v4
	v_add_co_ci_u32_e32 v6, vcc_lo, 0, v3, vcc_lo
	v_cmp_eq_u32_e32 vcc_lo, 0, v0
	s_waitcnt lgkmcnt(0)
	s_delay_alu instid0(VALU_DEP_2)
	v_dual_add_f32 v3, v4, v5 :: v_dual_lshlrev_b32 v4, 2, v6
	ds_bpermute_b32 v4, v4, v3
	s_and_b32 exec_lo, exec_lo, vcc_lo
	s_cbranch_execz .LBB28_7
; %bb.6:
	v_lshlrev_b64 v[0:1], 2, v[1:2]
	s_waitcnt lgkmcnt(0)
	v_add_f32_e32 v2, v3, v4
	s_delay_alu instid0(VALU_DEP_2) | instskip(NEXT) | instid1(VALU_DEP_3)
	v_add_co_u32 v0, vcc_lo, s2, v0
	v_add_co_ci_u32_e32 v1, vcc_lo, s3, v1, vcc_lo
	global_store_b32 v[0:1], v2, off
.LBB28_7:
	s_nop 0
	s_sendmsg sendmsg(MSG_DEALLOC_VGPRS)
	s_endpgm
	.section	.rodata,"a",@progbits
	.p2align	6, 0x0
	.amdhsa_kernel _ZL28rocblas_dot_batched_4_kernelIiLi64ELi4ELb0EffPK16rocblas_bfloat16EviT5_lT_lS3_lS4_liPT4_
		.amdhsa_group_segment_fixed_size 0
		.amdhsa_private_segment_fixed_size 0
		.amdhsa_kernarg_size 88
		.amdhsa_user_sgpr_count 15
		.amdhsa_user_sgpr_dispatch_ptr 0
		.amdhsa_user_sgpr_queue_ptr 0
		.amdhsa_user_sgpr_kernarg_segment_ptr 1
		.amdhsa_user_sgpr_dispatch_id 0
		.amdhsa_user_sgpr_private_segment_size 0
		.amdhsa_wavefront_size32 1
		.amdhsa_uses_dynamic_stack 0
		.amdhsa_enable_private_segment 0
		.amdhsa_system_sgpr_workgroup_id_x 1
		.amdhsa_system_sgpr_workgroup_id_y 0
		.amdhsa_system_sgpr_workgroup_id_z 0
		.amdhsa_system_sgpr_workgroup_info 0
		.amdhsa_system_vgpr_workitem_id 1
		.amdhsa_next_free_vgpr 14
		.amdhsa_next_free_sgpr 20
		.amdhsa_reserve_vcc 1
		.amdhsa_float_round_mode_32 0
		.amdhsa_float_round_mode_16_64 0
		.amdhsa_float_denorm_mode_32 3
		.amdhsa_float_denorm_mode_16_64 3
		.amdhsa_dx10_clamp 1
		.amdhsa_ieee_mode 1
		.amdhsa_fp16_overflow 0
		.amdhsa_workgroup_processor_mode 1
		.amdhsa_memory_ordered 1
		.amdhsa_forward_progress 0
		.amdhsa_shared_vgpr_count 0
		.amdhsa_exception_fp_ieee_invalid_op 0
		.amdhsa_exception_fp_denorm_src 0
		.amdhsa_exception_fp_ieee_div_zero 0
		.amdhsa_exception_fp_ieee_overflow 0
		.amdhsa_exception_fp_ieee_underflow 0
		.amdhsa_exception_fp_ieee_inexact 0
		.amdhsa_exception_int_div_zero 0
	.end_amdhsa_kernel
	.section	.text._ZL28rocblas_dot_batched_4_kernelIiLi64ELi4ELb0EffPK16rocblas_bfloat16EviT5_lT_lS3_lS4_liPT4_,"axG",@progbits,_ZL28rocblas_dot_batched_4_kernelIiLi64ELi4ELb0EffPK16rocblas_bfloat16EviT5_lT_lS3_lS4_liPT4_,comdat
.Lfunc_end28:
	.size	_ZL28rocblas_dot_batched_4_kernelIiLi64ELi4ELb0EffPK16rocblas_bfloat16EviT5_lT_lS3_lS4_liPT4_, .Lfunc_end28-_ZL28rocblas_dot_batched_4_kernelIiLi64ELi4ELb0EffPK16rocblas_bfloat16EviT5_lT_lS3_lS4_liPT4_
                                        ; -- End function
	.section	.AMDGPU.csdata,"",@progbits
; Kernel info:
; codeLenInByte = 780
; NumSgprs: 22
; NumVgprs: 14
; ScratchSize: 0
; MemoryBound: 0
; FloatMode: 240
; IeeeMode: 1
; LDSByteSize: 0 bytes/workgroup (compile time only)
; SGPRBlocks: 2
; VGPRBlocks: 1
; NumSGPRsForWavesPerEU: 22
; NumVGPRsForWavesPerEU: 14
; Occupancy: 16
; WaveLimiterHint : 0
; COMPUTE_PGM_RSRC2:SCRATCH_EN: 0
; COMPUTE_PGM_RSRC2:USER_SGPR: 15
; COMPUTE_PGM_RSRC2:TRAP_HANDLER: 0
; COMPUTE_PGM_RSRC2:TGID_X_EN: 1
; COMPUTE_PGM_RSRC2:TGID_Y_EN: 0
; COMPUTE_PGM_RSRC2:TGID_Z_EN: 0
; COMPUTE_PGM_RSRC2:TIDIG_COMP_CNT: 1
	.section	.text._ZL18rocblas_dot_kernelIiLb1ELi1024ELi32ELb0EfPK16rocblas_bfloat16fEviT5_lT_lS3_lS4_liPT6_PT4_,"axG",@progbits,_ZL18rocblas_dot_kernelIiLb1ELi1024ELi32ELb0EfPK16rocblas_bfloat16fEviT5_lT_lS3_lS4_liPT6_PT4_,comdat
	.globl	_ZL18rocblas_dot_kernelIiLb1ELi1024ELi32ELb0EfPK16rocblas_bfloat16fEviT5_lT_lS3_lS4_liPT6_PT4_ ; -- Begin function _ZL18rocblas_dot_kernelIiLb1ELi1024ELi32ELb0EfPK16rocblas_bfloat16fEviT5_lT_lS3_lS4_liPT6_PT4_
	.p2align	8
	.type	_ZL18rocblas_dot_kernelIiLb1ELi1024ELi32ELb0EfPK16rocblas_bfloat16fEviT5_lT_lS3_lS4_liPT6_PT4_,@function
_ZL18rocblas_dot_kernelIiLb1ELi1024ELi32ELb0EfPK16rocblas_bfloat16fEviT5_lT_lS3_lS4_liPT6_PT4_: ; @_ZL18rocblas_dot_kernelIiLb1ELi1024ELi32ELb0EfPK16rocblas_bfloat16fEviT5_lT_lS3_lS4_liPT6_PT4_
; %bb.0:
	s_clause 0x1
	s_load_b32 s10, s[0:1], 0x0
	s_load_b64 s[2:3], s[0:1], 0x58
	v_mov_b32_e32 v5, 0
	s_mov_b32 s8, s15
	s_mov_b32 s9, 0
	s_mov_b32 s11, exec_lo
	s_waitcnt lgkmcnt(0)
	v_cmpx_gt_i32_e64 s10, v0
	s_cbranch_execz .LBB29_4
; %bb.1:
	s_clause 0x6
	s_load_b32 s20, s[0:1], 0x60
	s_load_b128 s[4:7], s[0:1], 0x20
	s_load_b32 s22, s[0:1], 0x18
	s_load_b128 s[12:15], s[0:1], 0x8
	s_load_b64 s[16:17], s[0:1], 0x40
	s_load_b32 s23, s[0:1], 0x38
	s_load_b64 s[18:19], s[0:1], 0x30
	v_mov_b32_e32 v5, 0
	s_waitcnt lgkmcnt(0)
	s_lshl_b32 s1, s20, 10
	s_mul_i32 s0, s5, s8
	v_mad_i64_i32 v[1:2], null, s22, v0, 0
	s_mul_hi_u32 s5, s4, s8
	s_mul_i32 s4, s4, s8
	v_mad_i64_i32 v[3:4], null, s23, v0, 0
	s_add_i32 s5, s5, s0
	s_lshl_b64 s[14:15], s[14:15], 1
	s_delay_alu instid0(VALU_DEP_2)
	v_lshlrev_b64 v[1:2], 1, v[1:2]
	s_lshl_b64 s[4:5], s[4:5], 1
	s_add_u32 s0, s12, s14
	s_addc_u32 s12, s13, s15
	s_mul_i32 s17, s17, s8
	s_mul_hi_u32 s24, s16, s8
	s_add_u32 s0, s0, s4
	s_mul_i32 s16, s16, s8
	s_mul_hi_i32 s21, s22, s1
	s_mul_i32 s20, s22, s1
	s_addc_u32 s12, s12, s5
	s_add_i32 s17, s24, s17
	v_add_co_u32 v1, vcc_lo, s0, v1
	s_lshl_b64 s[14:15], s[18:19], 1
	v_lshlrev_b64 v[3:4], 1, v[3:4]
	s_lshl_b64 s[4:5], s[20:21], 1
	v_add_co_ci_u32_e32 v2, vcc_lo, s12, v2, vcc_lo
	s_lshl_b64 s[12:13], s[16:17], 1
	s_add_u32 s0, s6, s14
	s_addc_u32 s6, s7, s15
	s_add_u32 s0, s0, s12
	s_addc_u32 s6, s6, s13
	v_add_co_u32 v3, vcc_lo, s0, v3
	v_or_b32_e32 v6, s1, v0
	v_add_co_ci_u32_e32 v4, vcc_lo, s6, v4, vcc_lo
	s_mul_hi_i32 s7, s23, s1
	s_mul_i32 s6, s23, s1
	s_mov_b32 s12, s9
	s_lshl_b64 s[6:7], s[6:7], 1
	s_mov_b32 s13, s9
	.p2align	6
.LBB29_2:                               ; =>This Inner Loop Header: Depth=1
	global_load_u16 v7, v[1:2], off
	global_load_u16 v8, v[3:4], off
	v_add_co_u32 v1, s0, v1, s4
	s_delay_alu instid0(VALU_DEP_1)
	v_add_co_ci_u32_e64 v2, s0, s5, v2, s0
	s_add_i32 s14, s13, 1
	v_cmp_le_i32_e32 vcc_lo, s10, v6
	v_add_co_u32 v3, s0, v3, s6
	s_cmp_gt_u32 s13, 30
	v_add_co_ci_u32_e64 v4, s0, s7, v4, s0
	s_cselect_b32 s0, -1, 0
	s_mov_b32 s13, s14
	s_or_b32 s0, s0, vcc_lo
	s_delay_alu instid0(SALU_CYCLE_1) | instskip(NEXT) | instid1(SALU_CYCLE_1)
	s_and_b32 s0, exec_lo, s0
	s_or_b32 s12, s0, s12
	s_waitcnt vmcnt(1)
	v_lshlrev_b32_e32 v7, 16, v7
	s_waitcnt vmcnt(0)
	v_lshlrev_b32_e32 v8, 16, v8
	s_delay_alu instid0(VALU_DEP_1)
	v_dual_fmac_f32 v5, v8, v7 :: v_dual_add_nc_u32 v6, s1, v6
	s_and_not1_b32 exec_lo, exec_lo, s12
	s_cbranch_execnz .LBB29_2
; %bb.3:
	s_or_b32 exec_lo, exec_lo, s12
.LBB29_4:
	s_delay_alu instid0(SALU_CYCLE_1) | instskip(SKIP_2) | instid1(VALU_DEP_2)
	s_or_b32 exec_lo, exec_lo, s11
	v_and_b32_e32 v7, 31, v0
	v_cmp_gt_u32_e32 vcc_lo, 32, v0
	v_lshlrev_b32_e32 v1, 2, v7
	s_and_saveexec_b32 s0, vcc_lo
	s_cbranch_execz .LBB29_6
; %bb.5:
	v_mov_b32_e32 v2, 0
	ds_store_b32 v1, v2
.LBB29_6:
	s_or_b32 exec_lo, exec_lo, s0
	v_mbcnt_lo_u32_b32 v6, -1, 0
	s_mov_b32 s1, exec_lo
	s_waitcnt lgkmcnt(0)
	s_barrier
	buffer_gl0_inv
	v_cmp_gt_u32_e64 s0, 16, v6
	s_delay_alu instid0(VALU_DEP_1) | instskip(SKIP_1) | instid1(VALU_DEP_2)
	v_cndmask_b32_e64 v2, 0, 1, s0
	v_cmp_gt_u32_e64 s0, 24, v6
	v_lshlrev_b32_e32 v2, 4, v2
	s_delay_alu instid0(VALU_DEP_2) | instskip(SKIP_1) | instid1(VALU_DEP_3)
	v_cndmask_b32_e64 v3, 0, 1, s0
	v_cmp_gt_u32_e64 s0, 28, v6
	v_add_lshl_u32 v2, v2, v6, 2
	ds_bpermute_b32 v4, v2, v5
	s_waitcnt lgkmcnt(0)
	v_add_f32_e32 v5, v5, v4
	v_lshlrev_b32_e32 v3, 3, v3
	v_cndmask_b32_e64 v4, 0, 1, s0
	v_cmp_gt_u32_e64 s0, 30, v6
	s_delay_alu instid0(VALU_DEP_3) | instskip(NEXT) | instid1(VALU_DEP_3)
	v_add_lshl_u32 v3, v3, v6, 2
	v_lshlrev_b32_e32 v4, 2, v4
	ds_bpermute_b32 v8, v3, v5
	v_add_lshl_u32 v4, v4, v6, 2
	s_waitcnt lgkmcnt(0)
	v_add_f32_e32 v8, v5, v8
	v_cndmask_b32_e64 v5, 0, 1, s0
	v_cmp_ne_u32_e64 s0, 31, v6
	ds_bpermute_b32 v9, v4, v8
	v_lshlrev_b32_e32 v5, 1, v5
	s_delay_alu instid0(VALU_DEP_1) | instskip(SKIP_1) | instid1(VALU_DEP_1)
	v_add_lshl_u32 v5, v5, v6, 2
	v_add_co_ci_u32_e64 v6, s0, 0, v6, s0
	v_lshlrev_b32_e32 v6, 2, v6
	s_waitcnt lgkmcnt(0)
	v_add_f32_e32 v8, v8, v9
	ds_bpermute_b32 v9, v5, v8
	s_waitcnt lgkmcnt(0)
	v_add_f32_e32 v8, v8, v9
	ds_bpermute_b32 v9, v6, v8
	v_cmpx_eq_u32_e32 0, v7
	s_cbranch_execz .LBB29_8
; %bb.7:
	v_lshrrev_b32_e32 v7, 3, v0
	s_waitcnt lgkmcnt(0)
	s_delay_alu instid0(VALU_DEP_1)
	v_dual_add_f32 v8, v8, v9 :: v_dual_and_b32 v7, 0x7c, v7
	ds_store_b32 v7, v8
.LBB29_8:
	s_or_b32 exec_lo, exec_lo, s1
	v_mov_b32_e32 v7, 0
	s_waitcnt lgkmcnt(0)
	s_barrier
	buffer_gl0_inv
	s_and_saveexec_b32 s0, vcc_lo
	s_cbranch_execz .LBB29_10
; %bb.9:
	ds_load_b32 v7, v1
.LBB29_10:
	s_or_b32 exec_lo, exec_lo, s0
	s_and_saveexec_b32 s0, vcc_lo
	s_cbranch_execz .LBB29_12
; %bb.11:
	s_waitcnt lgkmcnt(0)
	ds_bpermute_b32 v1, v2, v7
	s_waitcnt lgkmcnt(0)
	v_add_f32_e32 v1, v7, v1
	ds_bpermute_b32 v2, v3, v1
	s_waitcnt lgkmcnt(0)
	v_add_f32_e32 v1, v1, v2
	;; [unrolled: 3-line block ×5, first 2 shown]
.LBB29_12:
	s_or_b32 exec_lo, exec_lo, s0
	s_delay_alu instid0(SALU_CYCLE_1)
	s_mov_b32 s0, exec_lo
	v_cmpx_eq_u32_e32 0, v0
	s_cbranch_execz .LBB29_14
; %bb.13:
	s_lshl_b64 s[0:1], s[8:9], 2
	v_mov_b32_e32 v0, 0
	s_add_u32 s0, s2, s0
	s_addc_u32 s1, s3, s1
	s_waitcnt lgkmcnt(0)
	global_store_b32 v0, v7, s[0:1]
.LBB29_14:
	s_nop 0
	s_sendmsg sendmsg(MSG_DEALLOC_VGPRS)
	s_endpgm
	.section	.rodata,"a",@progbits
	.p2align	6, 0x0
	.amdhsa_kernel _ZL18rocblas_dot_kernelIiLb1ELi1024ELi32ELb0EfPK16rocblas_bfloat16fEviT5_lT_lS3_lS4_liPT6_PT4_
		.amdhsa_group_segment_fixed_size 128
		.amdhsa_private_segment_fixed_size 0
		.amdhsa_kernarg_size 352
		.amdhsa_user_sgpr_count 14
		.amdhsa_user_sgpr_dispatch_ptr 0
		.amdhsa_user_sgpr_queue_ptr 0
		.amdhsa_user_sgpr_kernarg_segment_ptr 1
		.amdhsa_user_sgpr_dispatch_id 0
		.amdhsa_user_sgpr_private_segment_size 0
		.amdhsa_wavefront_size32 1
		.amdhsa_uses_dynamic_stack 0
		.amdhsa_enable_private_segment 0
		.amdhsa_system_sgpr_workgroup_id_x 1
		.amdhsa_system_sgpr_workgroup_id_y 0
		.amdhsa_system_sgpr_workgroup_id_z 1
		.amdhsa_system_sgpr_workgroup_info 0
		.amdhsa_system_vgpr_workitem_id 0
		.amdhsa_next_free_vgpr 10
		.amdhsa_next_free_sgpr 25
		.amdhsa_reserve_vcc 1
		.amdhsa_float_round_mode_32 0
		.amdhsa_float_round_mode_16_64 0
		.amdhsa_float_denorm_mode_32 3
		.amdhsa_float_denorm_mode_16_64 3
		.amdhsa_dx10_clamp 1
		.amdhsa_ieee_mode 1
		.amdhsa_fp16_overflow 0
		.amdhsa_workgroup_processor_mode 1
		.amdhsa_memory_ordered 1
		.amdhsa_forward_progress 0
		.amdhsa_shared_vgpr_count 0
		.amdhsa_exception_fp_ieee_invalid_op 0
		.amdhsa_exception_fp_denorm_src 0
		.amdhsa_exception_fp_ieee_div_zero 0
		.amdhsa_exception_fp_ieee_overflow 0
		.amdhsa_exception_fp_ieee_underflow 0
		.amdhsa_exception_fp_ieee_inexact 0
		.amdhsa_exception_int_div_zero 0
	.end_amdhsa_kernel
	.section	.text._ZL18rocblas_dot_kernelIiLb1ELi1024ELi32ELb0EfPK16rocblas_bfloat16fEviT5_lT_lS3_lS4_liPT6_PT4_,"axG",@progbits,_ZL18rocblas_dot_kernelIiLb1ELi1024ELi32ELb0EfPK16rocblas_bfloat16fEviT5_lT_lS3_lS4_liPT6_PT4_,comdat
.Lfunc_end29:
	.size	_ZL18rocblas_dot_kernelIiLb1ELi1024ELi32ELb0EfPK16rocblas_bfloat16fEviT5_lT_lS3_lS4_liPT6_PT4_, .Lfunc_end29-_ZL18rocblas_dot_kernelIiLb1ELi1024ELi32ELb0EfPK16rocblas_bfloat16fEviT5_lT_lS3_lS4_liPT6_PT4_
                                        ; -- End function
	.section	.AMDGPU.csdata,"",@progbits
; Kernel info:
; codeLenInByte = 956
; NumSgprs: 27
; NumVgprs: 10
; ScratchSize: 0
; MemoryBound: 0
; FloatMode: 240
; IeeeMode: 1
; LDSByteSize: 128 bytes/workgroup (compile time only)
; SGPRBlocks: 3
; VGPRBlocks: 1
; NumSGPRsForWavesPerEU: 27
; NumVGPRsForWavesPerEU: 10
; Occupancy: 16
; WaveLimiterHint : 0
; COMPUTE_PGM_RSRC2:SCRATCH_EN: 0
; COMPUTE_PGM_RSRC2:USER_SGPR: 14
; COMPUTE_PGM_RSRC2:TRAP_HANDLER: 0
; COMPUTE_PGM_RSRC2:TGID_X_EN: 1
; COMPUTE_PGM_RSRC2:TGID_Y_EN: 0
; COMPUTE_PGM_RSRC2:TGID_Z_EN: 1
; COMPUTE_PGM_RSRC2:TIDIG_COMP_CNT: 0
	.section	.text._ZL24rocblas_dot_kernel_magsqIiLb1ELi1024ELi32ELb0EfPK16rocblas_bfloat16fEviT5_lT_liPT6_PT4_,"axG",@progbits,_ZL24rocblas_dot_kernel_magsqIiLb1ELi1024ELi32ELb0EfPK16rocblas_bfloat16fEviT5_lT_liPT6_PT4_,comdat
	.globl	_ZL24rocblas_dot_kernel_magsqIiLb1ELi1024ELi32ELb0EfPK16rocblas_bfloat16fEviT5_lT_liPT6_PT4_ ; -- Begin function _ZL24rocblas_dot_kernel_magsqIiLb1ELi1024ELi32ELb0EfPK16rocblas_bfloat16fEviT5_lT_liPT6_PT4_
	.p2align	8
	.type	_ZL24rocblas_dot_kernel_magsqIiLb1ELi1024ELi32ELb0EfPK16rocblas_bfloat16fEviT5_lT_liPT6_PT4_,@function
_ZL24rocblas_dot_kernel_magsqIiLb1ELi1024ELi32ELb0EfPK16rocblas_bfloat16fEviT5_lT_liPT6_PT4_: ; @_ZL24rocblas_dot_kernel_magsqIiLb1ELi1024ELi32ELb0EfPK16rocblas_bfloat16fEviT5_lT_liPT6_PT4_
; %bb.0:
	s_clause 0x1
	s_load_b32 s8, s[0:1], 0x0
	s_load_b64 s[2:3], s[0:1], 0x38
	v_mov_b32_e32 v3, 0
	s_mov_b32 s4, s15
	s_mov_b32 s5, 0
	s_mov_b32 s9, exec_lo
	s_waitcnt lgkmcnt(0)
	v_cmpx_gt_i32_e64 s8, v0
	s_cbranch_execz .LBB30_4
; %bb.1:
	s_clause 0x3
	s_load_b32 s10, s[0:1], 0x40
	s_load_b64 s[6:7], s[0:1], 0x20
	s_load_b32 s16, s[0:1], 0x18
	s_load_b128 s[12:15], s[0:1], 0x8
	v_mov_b32_e32 v3, 0
	s_waitcnt lgkmcnt(0)
	s_lshl_b32 s1, s10, 10
	s_mul_i32 s0, s7, s4
	v_mad_i64_i32 v[1:2], null, s16, v0, 0
	s_mul_hi_u32 s7, s6, s4
	s_mul_i32 s6, s6, s4
	s_add_i32 s7, s7, s0
	s_lshl_b64 s[10:11], s[14:15], 1
	s_lshl_b64 s[6:7], s[6:7], 1
	s_add_u32 s0, s12, s10
	s_delay_alu instid0(VALU_DEP_1)
	v_lshlrev_b64 v[1:2], 1, v[1:2]
	s_addc_u32 s10, s13, s11
	s_add_u32 s0, s0, s6
	s_addc_u32 s6, s10, s7
	v_or_b32_e32 v4, s1, v0
	s_mul_hi_i32 s15, s16, s1
	v_add_co_u32 v1, vcc_lo, s0, v1
	v_add_co_ci_u32_e32 v2, vcc_lo, s6, v2, vcc_lo
	s_mul_i32 s14, s16, s1
	s_mov_b32 s10, s5
	s_lshl_b64 s[6:7], s[14:15], 1
	s_mov_b32 s11, s5
	.p2align	6
.LBB30_2:                               ; =>This Inner Loop Header: Depth=1
	global_load_u16 v5, v[1:2], off
	s_add_i32 s12, s11, 1
	v_cmp_le_i32_e32 vcc_lo, s8, v4
	v_add_co_u32 v1, s0, v1, s6
	s_cmp_gt_u32 s11, 30
	v_add_co_ci_u32_e64 v2, s0, s7, v2, s0
	s_cselect_b32 s0, -1, 0
	s_mov_b32 s11, s12
	s_or_b32 s0, s0, vcc_lo
	s_delay_alu instid0(SALU_CYCLE_1) | instskip(NEXT) | instid1(SALU_CYCLE_1)
	s_and_b32 s0, exec_lo, s0
	s_or_b32 s10, s0, s10
	s_waitcnt vmcnt(0)
	v_lshlrev_b32_e32 v5, 16, v5
	s_delay_alu instid0(VALU_DEP_1)
	v_dual_fmac_f32 v3, v5, v5 :: v_dual_add_nc_u32 v4, s1, v4
	s_and_not1_b32 exec_lo, exec_lo, s10
	s_cbranch_execnz .LBB30_2
; %bb.3:
	s_or_b32 exec_lo, exec_lo, s10
.LBB30_4:
	s_delay_alu instid0(SALU_CYCLE_1) | instskip(SKIP_2) | instid1(VALU_DEP_2)
	s_or_b32 exec_lo, exec_lo, s9
	v_and_b32_e32 v7, 31, v0
	v_cmp_gt_u32_e32 vcc_lo, 32, v0
	v_lshlrev_b32_e32 v1, 2, v7
	s_and_saveexec_b32 s0, vcc_lo
	s_cbranch_execz .LBB30_6
; %bb.5:
	v_mov_b32_e32 v2, 0
	ds_store_b32 v1, v2
.LBB30_6:
	s_or_b32 exec_lo, exec_lo, s0
	v_mbcnt_lo_u32_b32 v6, -1, 0
	s_mov_b32 s1, exec_lo
	s_waitcnt lgkmcnt(0)
	s_barrier
	buffer_gl0_inv
	v_cmp_gt_u32_e64 s0, 16, v6
	s_delay_alu instid0(VALU_DEP_1) | instskip(SKIP_1) | instid1(VALU_DEP_2)
	v_cndmask_b32_e64 v2, 0, 1, s0
	v_cmp_gt_u32_e64 s0, 24, v6
	v_lshlrev_b32_e32 v2, 4, v2
	s_delay_alu instid0(VALU_DEP_2) | instskip(SKIP_1) | instid1(VALU_DEP_3)
	v_cndmask_b32_e64 v4, 0, 1, s0
	v_cmp_gt_u32_e64 s0, 28, v6
	v_add_lshl_u32 v2, v2, v6, 2
	s_delay_alu instid0(VALU_DEP_3)
	v_lshlrev_b32_e32 v4, 3, v4
	ds_bpermute_b32 v5, v2, v3
	v_add_lshl_u32 v4, v4, v6, 2
	s_waitcnt lgkmcnt(0)
	v_add_f32_e32 v5, v3, v5
	v_cndmask_b32_e64 v3, 0, 1, s0
	v_cmp_gt_u32_e64 s0, 30, v6
	ds_bpermute_b32 v8, v4, v5
	s_waitcnt lgkmcnt(0)
	v_dual_add_f32 v8, v5, v8 :: v_dual_lshlrev_b32 v3, 2, v3
	s_delay_alu instid0(VALU_DEP_1) | instskip(SKIP_4) | instid1(VALU_DEP_1)
	v_add_lshl_u32 v3, v3, v6, 2
	v_cndmask_b32_e64 v5, 0, 1, s0
	v_cmp_ne_u32_e64 s0, 31, v6
	ds_bpermute_b32 v9, v3, v8
	v_lshlrev_b32_e32 v5, 1, v5
	v_add_lshl_u32 v5, v5, v6, 2
	v_add_co_ci_u32_e64 v6, s0, 0, v6, s0
	s_delay_alu instid0(VALU_DEP_1)
	v_lshlrev_b32_e32 v6, 2, v6
	s_waitcnt lgkmcnt(0)
	v_add_f32_e32 v8, v8, v9
	ds_bpermute_b32 v9, v5, v8
	s_waitcnt lgkmcnt(0)
	v_add_f32_e32 v8, v8, v9
	ds_bpermute_b32 v9, v6, v8
	v_cmpx_eq_u32_e32 0, v7
	s_cbranch_execz .LBB30_8
; %bb.7:
	v_lshrrev_b32_e32 v7, 3, v0
	s_waitcnt lgkmcnt(0)
	s_delay_alu instid0(VALU_DEP_1)
	v_dual_add_f32 v8, v8, v9 :: v_dual_and_b32 v7, 0x7c, v7
	ds_store_b32 v7, v8
.LBB30_8:
	s_or_b32 exec_lo, exec_lo, s1
	v_mov_b32_e32 v7, 0
	s_waitcnt lgkmcnt(0)
	s_barrier
	buffer_gl0_inv
	s_and_saveexec_b32 s0, vcc_lo
	s_cbranch_execz .LBB30_10
; %bb.9:
	ds_load_b32 v7, v1
.LBB30_10:
	s_or_b32 exec_lo, exec_lo, s0
	s_and_saveexec_b32 s0, vcc_lo
	s_cbranch_execz .LBB30_12
; %bb.11:
	s_waitcnt lgkmcnt(0)
	ds_bpermute_b32 v1, v2, v7
	s_waitcnt lgkmcnt(0)
	v_add_f32_e32 v1, v7, v1
	ds_bpermute_b32 v2, v4, v1
	s_waitcnt lgkmcnt(0)
	v_add_f32_e32 v1, v1, v2
	;; [unrolled: 3-line block ×5, first 2 shown]
.LBB30_12:
	s_or_b32 exec_lo, exec_lo, s0
	s_delay_alu instid0(SALU_CYCLE_1)
	s_mov_b32 s0, exec_lo
	v_cmpx_eq_u32_e32 0, v0
	s_cbranch_execz .LBB30_14
; %bb.13:
	s_lshl_b64 s[0:1], s[4:5], 2
	v_mov_b32_e32 v0, 0
	s_add_u32 s0, s2, s0
	s_addc_u32 s1, s3, s1
	s_waitcnt lgkmcnt(0)
	global_store_b32 v0, v7, s[0:1]
.LBB30_14:
	s_nop 0
	s_sendmsg sendmsg(MSG_DEALLOC_VGPRS)
	s_endpgm
	.section	.rodata,"a",@progbits
	.p2align	6, 0x0
	.amdhsa_kernel _ZL24rocblas_dot_kernel_magsqIiLb1ELi1024ELi32ELb0EfPK16rocblas_bfloat16fEviT5_lT_liPT6_PT4_
		.amdhsa_group_segment_fixed_size 128
		.amdhsa_private_segment_fixed_size 0
		.amdhsa_kernarg_size 320
		.amdhsa_user_sgpr_count 14
		.amdhsa_user_sgpr_dispatch_ptr 0
		.amdhsa_user_sgpr_queue_ptr 0
		.amdhsa_user_sgpr_kernarg_segment_ptr 1
		.amdhsa_user_sgpr_dispatch_id 0
		.amdhsa_user_sgpr_private_segment_size 0
		.amdhsa_wavefront_size32 1
		.amdhsa_uses_dynamic_stack 0
		.amdhsa_enable_private_segment 0
		.amdhsa_system_sgpr_workgroup_id_x 1
		.amdhsa_system_sgpr_workgroup_id_y 0
		.amdhsa_system_sgpr_workgroup_id_z 1
		.amdhsa_system_sgpr_workgroup_info 0
		.amdhsa_system_vgpr_workitem_id 0
		.amdhsa_next_free_vgpr 10
		.amdhsa_next_free_sgpr 17
		.amdhsa_reserve_vcc 1
		.amdhsa_float_round_mode_32 0
		.amdhsa_float_round_mode_16_64 0
		.amdhsa_float_denorm_mode_32 3
		.amdhsa_float_denorm_mode_16_64 3
		.amdhsa_dx10_clamp 1
		.amdhsa_ieee_mode 1
		.amdhsa_fp16_overflow 0
		.amdhsa_workgroup_processor_mode 1
		.amdhsa_memory_ordered 1
		.amdhsa_forward_progress 0
		.amdhsa_shared_vgpr_count 0
		.amdhsa_exception_fp_ieee_invalid_op 0
		.amdhsa_exception_fp_denorm_src 0
		.amdhsa_exception_fp_ieee_div_zero 0
		.amdhsa_exception_fp_ieee_overflow 0
		.amdhsa_exception_fp_ieee_underflow 0
		.amdhsa_exception_fp_ieee_inexact 0
		.amdhsa_exception_int_div_zero 0
	.end_amdhsa_kernel
	.section	.text._ZL24rocblas_dot_kernel_magsqIiLb1ELi1024ELi32ELb0EfPK16rocblas_bfloat16fEviT5_lT_liPT6_PT4_,"axG",@progbits,_ZL24rocblas_dot_kernel_magsqIiLb1ELi1024ELi32ELb0EfPK16rocblas_bfloat16fEviT5_lT_liPT6_PT4_,comdat
.Lfunc_end30:
	.size	_ZL24rocblas_dot_kernel_magsqIiLb1ELi1024ELi32ELb0EfPK16rocblas_bfloat16fEviT5_lT_liPT6_PT4_, .Lfunc_end30-_ZL24rocblas_dot_kernel_magsqIiLb1ELi1024ELi32ELb0EfPK16rocblas_bfloat16fEviT5_lT_liPT6_PT4_
                                        ; -- End function
	.section	.AMDGPU.csdata,"",@progbits
; Kernel info:
; codeLenInByte = 820
; NumSgprs: 19
; NumVgprs: 10
; ScratchSize: 0
; MemoryBound: 0
; FloatMode: 240
; IeeeMode: 1
; LDSByteSize: 128 bytes/workgroup (compile time only)
; SGPRBlocks: 2
; VGPRBlocks: 1
; NumSGPRsForWavesPerEU: 19
; NumVGPRsForWavesPerEU: 10
; Occupancy: 16
; WaveLimiterHint : 0
; COMPUTE_PGM_RSRC2:SCRATCH_EN: 0
; COMPUTE_PGM_RSRC2:USER_SGPR: 14
; COMPUTE_PGM_RSRC2:TRAP_HANDLER: 0
; COMPUTE_PGM_RSRC2:TGID_X_EN: 1
; COMPUTE_PGM_RSRC2:TGID_Y_EN: 0
; COMPUTE_PGM_RSRC2:TGID_Z_EN: 1
; COMPUTE_PGM_RSRC2:TIDIG_COMP_CNT: 0
	.section	.text._ZL38rocblas_dot_kernel_gfx942_float_doubleIiLi1024EfPK16rocblas_bfloat16fEviT2_lT_lS3_lS4_lPT3_PT1_,"axG",@progbits,_ZL38rocblas_dot_kernel_gfx942_float_doubleIiLi1024EfPK16rocblas_bfloat16fEviT2_lT_lS3_lS4_lPT3_PT1_,comdat
	.globl	_ZL38rocblas_dot_kernel_gfx942_float_doubleIiLi1024EfPK16rocblas_bfloat16fEviT2_lT_lS3_lS4_lPT3_PT1_ ; -- Begin function _ZL38rocblas_dot_kernel_gfx942_float_doubleIiLi1024EfPK16rocblas_bfloat16fEviT2_lT_lS3_lS4_lPT3_PT1_
	.p2align	8
	.type	_ZL38rocblas_dot_kernel_gfx942_float_doubleIiLi1024EfPK16rocblas_bfloat16fEviT2_lT_lS3_lS4_lPT3_PT1_,@function
_ZL38rocblas_dot_kernel_gfx942_float_doubleIiLi1024EfPK16rocblas_bfloat16fEviT2_lT_lS3_lS4_lPT3_PT1_: ; @_ZL38rocblas_dot_kernel_gfx942_float_doubleIiLi1024EfPK16rocblas_bfloat16fEviT2_lT_lS3_lS4_lPT3_PT1_
; %bb.0:
	s_endpgm
	.section	.rodata,"a",@progbits
	.p2align	6, 0x0
	.amdhsa_kernel _ZL38rocblas_dot_kernel_gfx942_float_doubleIiLi1024EfPK16rocblas_bfloat16fEviT2_lT_lS3_lS4_lPT3_PT1_
		.amdhsa_group_segment_fixed_size 0
		.amdhsa_private_segment_fixed_size 0
		.amdhsa_kernarg_size 88
		.amdhsa_user_sgpr_count 15
		.amdhsa_user_sgpr_dispatch_ptr 0
		.amdhsa_user_sgpr_queue_ptr 0
		.amdhsa_user_sgpr_kernarg_segment_ptr 1
		.amdhsa_user_sgpr_dispatch_id 0
		.amdhsa_user_sgpr_private_segment_size 0
		.amdhsa_wavefront_size32 1
		.amdhsa_uses_dynamic_stack 0
		.amdhsa_enable_private_segment 0
		.amdhsa_system_sgpr_workgroup_id_x 1
		.amdhsa_system_sgpr_workgroup_id_y 0
		.amdhsa_system_sgpr_workgroup_id_z 0
		.amdhsa_system_sgpr_workgroup_info 0
		.amdhsa_system_vgpr_workitem_id 0
		.amdhsa_next_free_vgpr 1
		.amdhsa_next_free_sgpr 1
		.amdhsa_reserve_vcc 0
		.amdhsa_float_round_mode_32 0
		.amdhsa_float_round_mode_16_64 0
		.amdhsa_float_denorm_mode_32 3
		.amdhsa_float_denorm_mode_16_64 3
		.amdhsa_dx10_clamp 1
		.amdhsa_ieee_mode 1
		.amdhsa_fp16_overflow 0
		.amdhsa_workgroup_processor_mode 1
		.amdhsa_memory_ordered 1
		.amdhsa_forward_progress 0
		.amdhsa_shared_vgpr_count 0
		.amdhsa_exception_fp_ieee_invalid_op 0
		.amdhsa_exception_fp_denorm_src 0
		.amdhsa_exception_fp_ieee_div_zero 0
		.amdhsa_exception_fp_ieee_overflow 0
		.amdhsa_exception_fp_ieee_underflow 0
		.amdhsa_exception_fp_ieee_inexact 0
		.amdhsa_exception_int_div_zero 0
	.end_amdhsa_kernel
	.section	.text._ZL38rocblas_dot_kernel_gfx942_float_doubleIiLi1024EfPK16rocblas_bfloat16fEviT2_lT_lS3_lS4_lPT3_PT1_,"axG",@progbits,_ZL38rocblas_dot_kernel_gfx942_float_doubleIiLi1024EfPK16rocblas_bfloat16fEviT2_lT_lS3_lS4_lPT3_PT1_,comdat
.Lfunc_end31:
	.size	_ZL38rocblas_dot_kernel_gfx942_float_doubleIiLi1024EfPK16rocblas_bfloat16fEviT2_lT_lS3_lS4_lPT3_PT1_, .Lfunc_end31-_ZL38rocblas_dot_kernel_gfx942_float_doubleIiLi1024EfPK16rocblas_bfloat16fEviT2_lT_lS3_lS4_lPT3_PT1_
                                        ; -- End function
	.section	.AMDGPU.csdata,"",@progbits
; Kernel info:
; codeLenInByte = 4
; NumSgprs: 0
; NumVgprs: 0
; ScratchSize: 0
; MemoryBound: 0
; FloatMode: 240
; IeeeMode: 1
; LDSByteSize: 0 bytes/workgroup (compile time only)
; SGPRBlocks: 0
; VGPRBlocks: 0
; NumSGPRsForWavesPerEU: 1
; NumVGPRsForWavesPerEU: 1
; Occupancy: 16
; WaveLimiterHint : 0
; COMPUTE_PGM_RSRC2:SCRATCH_EN: 0
; COMPUTE_PGM_RSRC2:USER_SGPR: 15
; COMPUTE_PGM_RSRC2:TRAP_HANDLER: 0
; COMPUTE_PGM_RSRC2:TGID_X_EN: 1
; COMPUTE_PGM_RSRC2:TGID_Y_EN: 0
; COMPUTE_PGM_RSRC2:TGID_Z_EN: 0
; COMPUTE_PGM_RSRC2:TIDIG_COMP_CNT: 0
	.section	.text._ZL18rocblas_dot_kernelIiLb0ELi512ELi4ELb0EfPK16rocblas_bfloat16fEviT5_lT_lS3_lS4_liPT6_PT4_,"axG",@progbits,_ZL18rocblas_dot_kernelIiLb0ELi512ELi4ELb0EfPK16rocblas_bfloat16fEviT5_lT_lS3_lS4_liPT6_PT4_,comdat
	.globl	_ZL18rocblas_dot_kernelIiLb0ELi512ELi4ELb0EfPK16rocblas_bfloat16fEviT5_lT_lS3_lS4_liPT6_PT4_ ; -- Begin function _ZL18rocblas_dot_kernelIiLb0ELi512ELi4ELb0EfPK16rocblas_bfloat16fEviT5_lT_lS3_lS4_liPT6_PT4_
	.p2align	8
	.type	_ZL18rocblas_dot_kernelIiLb0ELi512ELi4ELb0EfPK16rocblas_bfloat16fEviT5_lT_lS3_lS4_liPT6_PT4_,@function
_ZL18rocblas_dot_kernelIiLb0ELi512ELi4ELb0EfPK16rocblas_bfloat16fEviT5_lT_lS3_lS4_liPT6_PT4_: ; @_ZL18rocblas_dot_kernelIiLb0ELi512ELi4ELb0EfPK16rocblas_bfloat16fEviT5_lT_lS3_lS4_liPT6_PT4_
; %bb.0:
	s_clause 0x2
	s_load_b32 s12, s[0:1], 0x60
	s_load_b32 s13, s[0:1], 0x0
	s_load_b128 s[4:7], s[0:1], 0x50
	v_lshl_or_b32 v1, s14, 9, v0
	v_mov_b32_e32 v6, 0
	s_mov_b32 s2, s15
	s_mov_b32 s3, 0
	s_mov_b32 s15, exec_lo
	s_waitcnt lgkmcnt(0)
	v_cmpx_gt_i32_e64 s13, v1
	s_cbranch_execz .LBB32_4
; %bb.1:
	s_clause 0x5
	s_load_b32 s17, s[0:1], 0x18
	s_load_b128 s[8:11], s[0:1], 0x20
	s_load_b128 s[20:23], s[0:1], 0x8
	s_load_b32 s26, s[0:1], 0x38
	s_load_b64 s[18:19], s[0:1], 0x40
	s_load_b64 s[0:1], s[0:1], 0x30
	s_lshl_b32 s16, s12, 9
	s_delay_alu instid0(SALU_CYCLE_1)
	v_add_nc_u32_e32 v5, s16, v1
	s_waitcnt lgkmcnt(0)
	v_mad_i64_i32 v[2:3], null, s17, v1, 0
	s_mul_i32 s9, s9, s2
	s_mul_hi_u32 s27, s8, s2
	v_mad_i64_i32 v[6:7], null, s26, v1, 0
	s_mul_i32 s8, s8, s2
	s_add_i32 s9, s27, s9
	s_lshl_b64 s[22:23], s[22:23], 1
	s_lshl_b64 s[8:9], s[8:9], 1
	s_add_u32 s20, s20, s22
	s_mul_hi_i32 s25, s17, s16
	s_mul_i32 s24, s17, s16
	s_mul_i32 s17, s19, s2
	s_mul_hi_u32 s19, s18, s2
	s_addc_u32 s21, s21, s23
	v_lshlrev_b64 v[1:2], 1, v[2:3]
	s_add_u32 s20, s20, s8
	s_mul_i32 s18, s18, s2
	s_addc_u32 s21, s21, s9
	s_add_i32 s19, s19, s17
	v_lshlrev_b64 v[3:4], 1, v[6:7]
	v_mov_b32_e32 v6, 0
	s_lshl_b64 s[0:1], s[0:1], 1
	s_lshl_b64 s[8:9], s[24:25], 1
	;; [unrolled: 1-line block ×3, first 2 shown]
	s_add_u32 s0, s10, s0
	v_add_co_u32 v1, vcc_lo, s20, v1
	s_addc_u32 s1, s11, s1
	s_add_u32 s0, s0, s18
	v_add_co_ci_u32_e32 v2, vcc_lo, s21, v2, vcc_lo
	s_addc_u32 s1, s1, s19
	v_add_co_u32 v3, vcc_lo, s0, v3
	v_add_co_ci_u32_e32 v4, vcc_lo, s1, v4, vcc_lo
	s_mul_hi_i32 s1, s26, s16
	s_mul_i32 s0, s26, s16
	s_mov_b32 s17, s3
	s_lshl_b64 s[10:11], s[0:1], 1
	s_mov_b32 s1, s3
	.p2align	6
.LBB32_2:                               ; =>This Inner Loop Header: Depth=1
	global_load_u16 v7, v[1:2], off
	global_load_u16 v8, v[3:4], off
	v_add_co_u32 v1, s0, v1, s8
	s_delay_alu instid0(VALU_DEP_1)
	v_add_co_ci_u32_e64 v2, s0, s9, v2, s0
	s_add_i32 s18, s17, 1
	v_cmp_le_i32_e32 vcc_lo, s13, v5
	v_add_co_u32 v3, s0, v3, s10
	s_cmp_gt_u32 s17, 2
	v_add_co_ci_u32_e64 v4, s0, s11, v4, s0
	s_cselect_b32 s0, -1, 0
	s_mov_b32 s17, s18
	s_or_b32 s0, s0, vcc_lo
	s_delay_alu instid0(SALU_CYCLE_1) | instskip(NEXT) | instid1(SALU_CYCLE_1)
	s_and_b32 s0, exec_lo, s0
	s_or_b32 s1, s0, s1
	s_waitcnt vmcnt(1)
	v_lshlrev_b32_e32 v7, 16, v7
	s_waitcnt vmcnt(0)
	v_lshlrev_b32_e32 v8, 16, v8
	s_delay_alu instid0(VALU_DEP_1)
	v_dual_fmac_f32 v6, v8, v7 :: v_dual_add_nc_u32 v5, s16, v5
	s_and_not1_b32 exec_lo, exec_lo, s1
	s_cbranch_execnz .LBB32_2
; %bb.3:
	s_or_b32 exec_lo, exec_lo, s1
.LBB32_4:
	s_delay_alu instid0(SALU_CYCLE_1) | instskip(SKIP_2) | instid1(VALU_DEP_2)
	s_or_b32 exec_lo, exec_lo, s15
	v_and_b32_e32 v2, 31, v0
	v_cmp_gt_u32_e32 vcc_lo, 32, v0
	v_lshlrev_b32_e32 v1, 2, v2
	s_and_saveexec_b32 s0, vcc_lo
	s_cbranch_execz .LBB32_6
; %bb.5:
	v_mov_b32_e32 v3, 0
	ds_store_b32 v1, v3
.LBB32_6:
	s_or_b32 exec_lo, exec_lo, s0
	v_mbcnt_lo_u32_b32 v7, -1, 0
	s_mov_b32 s1, exec_lo
	s_waitcnt lgkmcnt(0)
	s_barrier
	buffer_gl0_inv
	v_cmp_gt_u32_e64 s0, 16, v7
	s_delay_alu instid0(VALU_DEP_1) | instskip(SKIP_1) | instid1(VALU_DEP_2)
	v_cndmask_b32_e64 v3, 0, 1, s0
	v_cmp_gt_u32_e64 s0, 24, v7
	v_lshlrev_b32_e32 v3, 4, v3
	s_delay_alu instid0(VALU_DEP_1) | instskip(SKIP_3) | instid1(VALU_DEP_2)
	v_add_lshl_u32 v3, v3, v7, 2
	ds_bpermute_b32 v4, v3, v6
	v_cndmask_b32_e64 v3, 0, 1, s0
	v_cmp_gt_u32_e64 s0, 28, v7
	v_lshlrev_b32_e32 v3, 3, v3
	s_delay_alu instid0(VALU_DEP_1)
	v_add_lshl_u32 v3, v3, v7, 2
	s_waitcnt lgkmcnt(0)
	v_add_f32_e32 v5, v6, v4
	v_cndmask_b32_e64 v4, 0, 1, s0
	v_cmp_gt_u32_e64 s0, 30, v7
	ds_bpermute_b32 v6, v3, v5
	v_lshlrev_b32_e32 v4, 2, v4
	s_delay_alu instid0(VALU_DEP_1)
	v_add_lshl_u32 v4, v4, v7, 2
	s_waitcnt lgkmcnt(0)
	v_add_f32_e32 v6, v5, v6
	v_cndmask_b32_e64 v5, 0, 1, s0
	v_cmp_ne_u32_e64 s0, 31, v7
	ds_bpermute_b32 v8, v4, v6
	v_lshlrev_b32_e32 v5, 1, v5
	v_add_co_ci_u32_e64 v9, s0, 0, v7, s0
	s_delay_alu instid0(VALU_DEP_2)
	v_add_lshl_u32 v5, v5, v7, 2
	s_waitcnt lgkmcnt(0)
	v_add_f32_e32 v6, v6, v8
	ds_bpermute_b32 v8, v5, v6
	s_waitcnt lgkmcnt(0)
	v_dual_add_f32 v7, v6, v8 :: v_dual_lshlrev_b32 v6, 2, v9
	ds_bpermute_b32 v8, v6, v7
	v_cmpx_eq_u32_e32 0, v2
	s_cbranch_execz .LBB32_8
; %bb.7:
	v_lshrrev_b32_e32 v2, 3, v0
	s_waitcnt lgkmcnt(0)
	s_delay_alu instid0(VALU_DEP_1)
	v_dual_add_f32 v7, v7, v8 :: v_dual_and_b32 v2, 60, v2
	ds_store_b32 v2, v7
.LBB32_8:
	s_or_b32 exec_lo, exec_lo, s1
	v_mov_b32_e32 v2, 0
	s_mov_b32 s1, exec_lo
	s_waitcnt lgkmcnt(0)
	s_barrier
	buffer_gl0_inv
	v_cmpx_gt_u32_e32 16, v0
	s_cbranch_execz .LBB32_10
; %bb.9:
	ds_load_b32 v2, v1
.LBB32_10:
	s_or_b32 exec_lo, exec_lo, s1
	s_and_saveexec_b32 s0, vcc_lo
	s_cbranch_execz .LBB32_12
; %bb.11:
	s_waitcnt lgkmcnt(0)
	ds_bpermute_b32 v1, v3, v2
	s_waitcnt lgkmcnt(0)
	v_add_f32_e32 v1, v2, v1
	ds_bpermute_b32 v2, v4, v1
	s_waitcnt lgkmcnt(0)
	v_add_f32_e32 v1, v1, v2
	;; [unrolled: 3-line block ×4, first 2 shown]
.LBB32_12:
	s_or_b32 exec_lo, exec_lo, s0
	s_delay_alu instid0(SALU_CYCLE_1)
	s_mov_b32 s0, exec_lo
	v_cmpx_eq_u32_e32 0, v0
	s_cbranch_execz .LBB32_18
; %bb.13:
	s_cmp_lg_u32 s12, 1
	s_cbranch_scc0 .LBB32_15
; %bb.14:
	s_mul_hi_u32 s1, s12, s2
	s_mul_i32 s0, s12, s2
	s_mov_b32 s15, 0
	s_lshl_b64 s[0:1], s[0:1], 2
	s_delay_alu instid0(SALU_CYCLE_1) | instskip(SKIP_2) | instid1(SALU_CYCLE_1)
	s_add_u32 s4, s4, s0
	s_addc_u32 s5, s5, s1
	s_lshl_b64 s[0:1], s[14:15], 2
	s_add_u32 s0, s4, s0
	s_addc_u32 s1, s5, s1
	s_cbranch_execz .LBB32_16
	s_branch .LBB32_17
.LBB32_15:
                                        ; implicit-def: $sgpr0_sgpr1
.LBB32_16:
	s_lshl_b64 s[0:1], s[2:3], 2
	s_delay_alu instid0(SALU_CYCLE_1)
	s_add_u32 s0, s6, s0
	s_addc_u32 s1, s7, s1
.LBB32_17:
	v_mov_b32_e32 v0, 0
	s_waitcnt lgkmcnt(0)
	global_store_b32 v0, v2, s[0:1]
.LBB32_18:
	s_nop 0
	s_sendmsg sendmsg(MSG_DEALLOC_VGPRS)
	s_endpgm
	.section	.rodata,"a",@progbits
	.p2align	6, 0x0
	.amdhsa_kernel _ZL18rocblas_dot_kernelIiLb0ELi512ELi4ELb0EfPK16rocblas_bfloat16fEviT5_lT_lS3_lS4_liPT6_PT4_
		.amdhsa_group_segment_fixed_size 128
		.amdhsa_private_segment_fixed_size 0
		.amdhsa_kernarg_size 352
		.amdhsa_user_sgpr_count 14
		.amdhsa_user_sgpr_dispatch_ptr 0
		.amdhsa_user_sgpr_queue_ptr 0
		.amdhsa_user_sgpr_kernarg_segment_ptr 1
		.amdhsa_user_sgpr_dispatch_id 0
		.amdhsa_user_sgpr_private_segment_size 0
		.amdhsa_wavefront_size32 1
		.amdhsa_uses_dynamic_stack 0
		.amdhsa_enable_private_segment 0
		.amdhsa_system_sgpr_workgroup_id_x 1
		.amdhsa_system_sgpr_workgroup_id_y 0
		.amdhsa_system_sgpr_workgroup_id_z 1
		.amdhsa_system_sgpr_workgroup_info 0
		.amdhsa_system_vgpr_workitem_id 0
		.amdhsa_next_free_vgpr 10
		.amdhsa_next_free_sgpr 28
		.amdhsa_reserve_vcc 1
		.amdhsa_float_round_mode_32 0
		.amdhsa_float_round_mode_16_64 0
		.amdhsa_float_denorm_mode_32 3
		.amdhsa_float_denorm_mode_16_64 3
		.amdhsa_dx10_clamp 1
		.amdhsa_ieee_mode 1
		.amdhsa_fp16_overflow 0
		.amdhsa_workgroup_processor_mode 1
		.amdhsa_memory_ordered 1
		.amdhsa_forward_progress 0
		.amdhsa_shared_vgpr_count 0
		.amdhsa_exception_fp_ieee_invalid_op 0
		.amdhsa_exception_fp_denorm_src 0
		.amdhsa_exception_fp_ieee_div_zero 0
		.amdhsa_exception_fp_ieee_overflow 0
		.amdhsa_exception_fp_ieee_underflow 0
		.amdhsa_exception_fp_ieee_inexact 0
		.amdhsa_exception_int_div_zero 0
	.end_amdhsa_kernel
	.section	.text._ZL18rocblas_dot_kernelIiLb0ELi512ELi4ELb0EfPK16rocblas_bfloat16fEviT5_lT_lS3_lS4_liPT6_PT4_,"axG",@progbits,_ZL18rocblas_dot_kernelIiLb0ELi512ELi4ELb0EfPK16rocblas_bfloat16fEviT5_lT_lS3_lS4_liPT6_PT4_,comdat
.Lfunc_end32:
	.size	_ZL18rocblas_dot_kernelIiLb0ELi512ELi4ELb0EfPK16rocblas_bfloat16fEviT5_lT_lS3_lS4_liPT6_PT4_, .Lfunc_end32-_ZL18rocblas_dot_kernelIiLb0ELi512ELi4ELb0EfPK16rocblas_bfloat16fEviT5_lT_lS3_lS4_liPT6_PT4_
                                        ; -- End function
	.section	.AMDGPU.csdata,"",@progbits
; Kernel info:
; codeLenInByte = 1012
; NumSgprs: 30
; NumVgprs: 10
; ScratchSize: 0
; MemoryBound: 0
; FloatMode: 240
; IeeeMode: 1
; LDSByteSize: 128 bytes/workgroup (compile time only)
; SGPRBlocks: 3
; VGPRBlocks: 1
; NumSGPRsForWavesPerEU: 30
; NumVGPRsForWavesPerEU: 10
; Occupancy: 16
; WaveLimiterHint : 0
; COMPUTE_PGM_RSRC2:SCRATCH_EN: 0
; COMPUTE_PGM_RSRC2:USER_SGPR: 14
; COMPUTE_PGM_RSRC2:TRAP_HANDLER: 0
; COMPUTE_PGM_RSRC2:TGID_X_EN: 1
; COMPUTE_PGM_RSRC2:TGID_Y_EN: 0
; COMPUTE_PGM_RSRC2:TGID_Z_EN: 1
; COMPUTE_PGM_RSRC2:TIDIG_COMP_CNT: 0
	.section	.text._ZL24rocblas_dot_kernel_magsqIiLb0ELi512ELi4ELb0EfPK16rocblas_bfloat16fEviT5_lT_liPT6_PT4_,"axG",@progbits,_ZL24rocblas_dot_kernel_magsqIiLb0ELi512ELi4ELb0EfPK16rocblas_bfloat16fEviT5_lT_liPT6_PT4_,comdat
	.globl	_ZL24rocblas_dot_kernel_magsqIiLb0ELi512ELi4ELb0EfPK16rocblas_bfloat16fEviT5_lT_liPT6_PT4_ ; -- Begin function _ZL24rocblas_dot_kernel_magsqIiLb0ELi512ELi4ELb0EfPK16rocblas_bfloat16fEviT5_lT_liPT6_PT4_
	.p2align	8
	.type	_ZL24rocblas_dot_kernel_magsqIiLb0ELi512ELi4ELb0EfPK16rocblas_bfloat16fEviT5_lT_liPT6_PT4_,@function
_ZL24rocblas_dot_kernel_magsqIiLb0ELi512ELi4ELb0EfPK16rocblas_bfloat16fEviT5_lT_liPT6_PT4_: ; @_ZL24rocblas_dot_kernel_magsqIiLb0ELi512ELi4ELb0EfPK16rocblas_bfloat16fEviT5_lT_liPT6_PT4_
; %bb.0:
	s_clause 0x2
	s_load_b32 s11, s[0:1], 0x0
	s_load_b128 s[4:7], s[0:1], 0x30
	s_load_b32 s10, s[0:1], 0x40
	v_lshl_or_b32 v1, s14, 9, v0
	v_mov_b32_e32 v3, 0
	s_mov_b32 s2, s15
	s_mov_b32 s3, 0
	s_mov_b32 s12, exec_lo
	s_waitcnt lgkmcnt(0)
	v_cmpx_gt_i32_e64 s11, v1
	s_cbranch_execz .LBB33_4
; %bb.1:
	s_clause 0x2
	s_load_b32 s13, s[0:1], 0x18
	s_load_b64 s[8:9], s[0:1], 0x20
	s_load_b128 s[16:19], s[0:1], 0x8
	s_lshl_b32 s1, s10, 9
	s_mov_b32 s15, s3
	v_add_nc_u32_e32 v4, s1, v1
	s_waitcnt lgkmcnt(0)
	v_mad_i64_i32 v[2:3], null, s13, v1, 0
	s_mul_i32 s0, s9, s2
	s_mul_hi_u32 s9, s8, s2
	s_mul_i32 s8, s8, s2
	s_add_i32 s9, s9, s0
	s_lshl_b64 s[18:19], s[18:19], 1
	s_lshl_b64 s[8:9], s[8:9], 1
	s_delay_alu instid0(VALU_DEP_1)
	v_lshlrev_b64 v[1:2], 1, v[2:3]
	v_mov_b32_e32 v3, 0
	s_add_u32 s0, s16, s18
	s_mul_hi_i32 s21, s13, s1
	s_mul_i32 s20, s13, s1
	s_addc_u32 s13, s17, s19
	s_add_u32 s0, s0, s8
	s_addc_u32 s8, s13, s9
	v_add_co_u32 v1, vcc_lo, s0, v1
	v_add_co_ci_u32_e32 v2, vcc_lo, s8, v2, vcc_lo
	s_lshl_b64 s[8:9], s[20:21], 1
	s_mov_b32 s13, s3
	.p2align	6
.LBB33_2:                               ; =>This Inner Loop Header: Depth=1
	global_load_u16 v5, v[1:2], off
	s_add_i32 s16, s15, 1
	v_cmp_le_i32_e32 vcc_lo, s11, v4
	v_add_co_u32 v1, s0, v1, s8
	s_cmp_gt_u32 s15, 2
	v_add_co_ci_u32_e64 v2, s0, s9, v2, s0
	s_cselect_b32 s0, -1, 0
	s_mov_b32 s15, s16
	s_or_b32 s0, s0, vcc_lo
	s_delay_alu instid0(SALU_CYCLE_1) | instskip(NEXT) | instid1(SALU_CYCLE_1)
	s_and_b32 s0, exec_lo, s0
	s_or_b32 s13, s0, s13
	s_waitcnt vmcnt(0)
	v_lshlrev_b32_e32 v5, 16, v5
	s_delay_alu instid0(VALU_DEP_1)
	v_dual_fmac_f32 v3, v5, v5 :: v_dual_add_nc_u32 v4, s1, v4
	s_and_not1_b32 exec_lo, exec_lo, s13
	s_cbranch_execnz .LBB33_2
; %bb.3:
	s_or_b32 exec_lo, exec_lo, s13
.LBB33_4:
	s_delay_alu instid0(SALU_CYCLE_1) | instskip(SKIP_2) | instid1(VALU_DEP_2)
	s_or_b32 exec_lo, exec_lo, s12
	v_and_b32_e32 v2, 31, v0
	v_cmp_gt_u32_e32 vcc_lo, 32, v0
	v_lshlrev_b32_e32 v1, 2, v2
	s_and_saveexec_b32 s0, vcc_lo
	s_cbranch_execz .LBB33_6
; %bb.5:
	v_mov_b32_e32 v4, 0
	ds_store_b32 v1, v4
.LBB33_6:
	s_or_b32 exec_lo, exec_lo, s0
	v_mbcnt_lo_u32_b32 v6, -1, 0
	s_mov_b32 s1, exec_lo
	s_waitcnt lgkmcnt(0)
	s_barrier
	buffer_gl0_inv
	v_cmp_gt_u32_e64 s0, 16, v6
	s_delay_alu instid0(VALU_DEP_1) | instskip(SKIP_1) | instid1(VALU_DEP_2)
	v_cndmask_b32_e64 v4, 0, 1, s0
	v_cmp_gt_u32_e64 s0, 24, v6
	v_lshlrev_b32_e32 v4, 4, v4
	s_delay_alu instid0(VALU_DEP_1) | instskip(SKIP_4) | instid1(VALU_DEP_2)
	v_add_lshl_u32 v4, v4, v6, 2
	ds_bpermute_b32 v5, v4, v3
	v_cndmask_b32_e64 v4, 0, 1, s0
	v_cmp_gt_u32_e64 s0, 28, v6
	s_waitcnt lgkmcnt(0)
	v_dual_add_f32 v5, v3, v5 :: v_dual_lshlrev_b32 v4, 3, v4
	s_delay_alu instid0(VALU_DEP_2) | instskip(SKIP_1) | instid1(VALU_DEP_3)
	v_cndmask_b32_e64 v3, 0, 1, s0
	v_cmp_gt_u32_e64 s0, 30, v6
	v_add_lshl_u32 v4, v4, v6, 2
	s_delay_alu instid0(VALU_DEP_3)
	v_lshlrev_b32_e32 v3, 2, v3
	ds_bpermute_b32 v7, v4, v5
	v_add_lshl_u32 v3, v3, v6, 2
	s_waitcnt lgkmcnt(0)
	v_add_f32_e32 v7, v5, v7
	v_cndmask_b32_e64 v5, 0, 1, s0
	v_cmp_ne_u32_e64 s0, 31, v6
	ds_bpermute_b32 v8, v3, v7
	v_lshlrev_b32_e32 v5, 1, v5
	s_delay_alu instid0(VALU_DEP_1) | instskip(SKIP_2) | instid1(VALU_DEP_1)
	v_add_lshl_u32 v5, v5, v6, 2
	v_add_co_ci_u32_e64 v6, s0, 0, v6, s0
	s_waitcnt lgkmcnt(0)
	v_dual_add_f32 v7, v7, v8 :: v_dual_lshlrev_b32 v6, 2, v6
	ds_bpermute_b32 v8, v5, v7
	s_waitcnt lgkmcnt(0)
	v_add_f32_e32 v7, v7, v8
	ds_bpermute_b32 v8, v6, v7
	v_cmpx_eq_u32_e32 0, v2
	s_cbranch_execz .LBB33_8
; %bb.7:
	v_lshrrev_b32_e32 v2, 3, v0
	s_waitcnt lgkmcnt(0)
	s_delay_alu instid0(VALU_DEP_1)
	v_dual_add_f32 v7, v7, v8 :: v_dual_and_b32 v2, 60, v2
	ds_store_b32 v2, v7
.LBB33_8:
	s_or_b32 exec_lo, exec_lo, s1
	v_mov_b32_e32 v2, 0
	s_mov_b32 s1, exec_lo
	s_waitcnt lgkmcnt(0)
	s_barrier
	buffer_gl0_inv
	v_cmpx_gt_u32_e32 16, v0
	s_cbranch_execz .LBB33_10
; %bb.9:
	ds_load_b32 v2, v1
.LBB33_10:
	s_or_b32 exec_lo, exec_lo, s1
	s_and_saveexec_b32 s0, vcc_lo
	s_cbranch_execz .LBB33_12
; %bb.11:
	s_waitcnt lgkmcnt(0)
	ds_bpermute_b32 v1, v4, v2
	s_waitcnt lgkmcnt(0)
	v_add_f32_e32 v1, v2, v1
	ds_bpermute_b32 v2, v3, v1
	s_waitcnt lgkmcnt(0)
	v_add_f32_e32 v1, v1, v2
	;; [unrolled: 3-line block ×4, first 2 shown]
.LBB33_12:
	s_or_b32 exec_lo, exec_lo, s0
	s_delay_alu instid0(SALU_CYCLE_1)
	s_mov_b32 s0, exec_lo
	v_cmpx_eq_u32_e32 0, v0
	s_cbranch_execz .LBB33_18
; %bb.13:
	s_cmp_lg_u32 s10, 1
	s_cbranch_scc0 .LBB33_15
; %bb.14:
	s_mul_hi_u32 s1, s10, s2
	s_mul_i32 s0, s10, s2
	s_mov_b32 s15, 0
	s_lshl_b64 s[0:1], s[0:1], 2
	s_delay_alu instid0(SALU_CYCLE_1) | instskip(SKIP_2) | instid1(SALU_CYCLE_1)
	s_add_u32 s4, s4, s0
	s_addc_u32 s5, s5, s1
	s_lshl_b64 s[0:1], s[14:15], 2
	s_add_u32 s0, s4, s0
	s_addc_u32 s1, s5, s1
	s_cbranch_execz .LBB33_16
	s_branch .LBB33_17
.LBB33_15:
                                        ; implicit-def: $sgpr0_sgpr1
.LBB33_16:
	s_lshl_b64 s[0:1], s[2:3], 2
	s_delay_alu instid0(SALU_CYCLE_1)
	s_add_u32 s0, s6, s0
	s_addc_u32 s1, s7, s1
.LBB33_17:
	v_mov_b32_e32 v0, 0
	s_waitcnt lgkmcnt(0)
	global_store_b32 v0, v2, s[0:1]
.LBB33_18:
	s_nop 0
	s_sendmsg sendmsg(MSG_DEALLOC_VGPRS)
	s_endpgm
	.section	.rodata,"a",@progbits
	.p2align	6, 0x0
	.amdhsa_kernel _ZL24rocblas_dot_kernel_magsqIiLb0ELi512ELi4ELb0EfPK16rocblas_bfloat16fEviT5_lT_liPT6_PT4_
		.amdhsa_group_segment_fixed_size 128
		.amdhsa_private_segment_fixed_size 0
		.amdhsa_kernarg_size 320
		.amdhsa_user_sgpr_count 14
		.amdhsa_user_sgpr_dispatch_ptr 0
		.amdhsa_user_sgpr_queue_ptr 0
		.amdhsa_user_sgpr_kernarg_segment_ptr 1
		.amdhsa_user_sgpr_dispatch_id 0
		.amdhsa_user_sgpr_private_segment_size 0
		.amdhsa_wavefront_size32 1
		.amdhsa_uses_dynamic_stack 0
		.amdhsa_enable_private_segment 0
		.amdhsa_system_sgpr_workgroup_id_x 1
		.amdhsa_system_sgpr_workgroup_id_y 0
		.amdhsa_system_sgpr_workgroup_id_z 1
		.amdhsa_system_sgpr_workgroup_info 0
		.amdhsa_system_vgpr_workitem_id 0
		.amdhsa_next_free_vgpr 9
		.amdhsa_next_free_sgpr 22
		.amdhsa_reserve_vcc 1
		.amdhsa_float_round_mode_32 0
		.amdhsa_float_round_mode_16_64 0
		.amdhsa_float_denorm_mode_32 3
		.amdhsa_float_denorm_mode_16_64 3
		.amdhsa_dx10_clamp 1
		.amdhsa_ieee_mode 1
		.amdhsa_fp16_overflow 0
		.amdhsa_workgroup_processor_mode 1
		.amdhsa_memory_ordered 1
		.amdhsa_forward_progress 0
		.amdhsa_shared_vgpr_count 0
		.amdhsa_exception_fp_ieee_invalid_op 0
		.amdhsa_exception_fp_denorm_src 0
		.amdhsa_exception_fp_ieee_div_zero 0
		.amdhsa_exception_fp_ieee_overflow 0
		.amdhsa_exception_fp_ieee_underflow 0
		.amdhsa_exception_fp_ieee_inexact 0
		.amdhsa_exception_int_div_zero 0
	.end_amdhsa_kernel
	.section	.text._ZL24rocblas_dot_kernel_magsqIiLb0ELi512ELi4ELb0EfPK16rocblas_bfloat16fEviT5_lT_liPT6_PT4_,"axG",@progbits,_ZL24rocblas_dot_kernel_magsqIiLb0ELi512ELi4ELb0EfPK16rocblas_bfloat16fEviT5_lT_liPT6_PT4_,comdat
.Lfunc_end33:
	.size	_ZL24rocblas_dot_kernel_magsqIiLb0ELi512ELi4ELb0EfPK16rocblas_bfloat16fEviT5_lT_liPT6_PT4_, .Lfunc_end33-_ZL24rocblas_dot_kernel_magsqIiLb0ELi512ELi4ELb0EfPK16rocblas_bfloat16fEviT5_lT_liPT6_PT4_
                                        ; -- End function
	.section	.AMDGPU.csdata,"",@progbits
; Kernel info:
; codeLenInByte = 872
; NumSgprs: 24
; NumVgprs: 9
; ScratchSize: 0
; MemoryBound: 0
; FloatMode: 240
; IeeeMode: 1
; LDSByteSize: 128 bytes/workgroup (compile time only)
; SGPRBlocks: 2
; VGPRBlocks: 1
; NumSGPRsForWavesPerEU: 24
; NumVGPRsForWavesPerEU: 9
; Occupancy: 16
; WaveLimiterHint : 0
; COMPUTE_PGM_RSRC2:SCRATCH_EN: 0
; COMPUTE_PGM_RSRC2:USER_SGPR: 14
; COMPUTE_PGM_RSRC2:TRAP_HANDLER: 0
; COMPUTE_PGM_RSRC2:TGID_X_EN: 1
; COMPUTE_PGM_RSRC2:TGID_Y_EN: 0
; COMPUTE_PGM_RSRC2:TGID_Z_EN: 1
; COMPUTE_PGM_RSRC2:TIDIG_COMP_CNT: 0
	.section	.text._ZL28rocblas_dot_batched_4_kernelIlLi32ELi4ELb0Ef16rocblas_bfloat16PKS0_EviT5_lT_lS3_lS4_liPT4_,"axG",@progbits,_ZL28rocblas_dot_batched_4_kernelIlLi32ELi4ELb0Ef16rocblas_bfloat16PKS0_EviT5_lT_lS3_lS4_liPT4_,comdat
	.globl	_ZL28rocblas_dot_batched_4_kernelIlLi32ELi4ELb0Ef16rocblas_bfloat16PKS0_EviT5_lT_lS3_lS4_liPT4_ ; -- Begin function _ZL28rocblas_dot_batched_4_kernelIlLi32ELi4ELb0Ef16rocblas_bfloat16PKS0_EviT5_lT_lS3_lS4_liPT4_
	.p2align	8
	.type	_ZL28rocblas_dot_batched_4_kernelIlLi32ELi4ELb0Ef16rocblas_bfloat16PKS0_EviT5_lT_lS3_lS4_liPT4_,@function
_ZL28rocblas_dot_batched_4_kernelIlLi32ELi4ELb0Ef16rocblas_bfloat16PKS0_EviT5_lT_lS3_lS4_liPT4_: ; @_ZL28rocblas_dot_batched_4_kernelIlLi32ELi4ELb0Ef16rocblas_bfloat16PKS0_EviT5_lT_lS3_lS4_liPT4_
; %bb.0:
	s_load_b32 s2, s[0:1], 0x48
	v_bfe_u32 v1, v0, 10, 10
	s_delay_alu instid0(VALU_DEP_1) | instskip(SKIP_1) | instid1(VALU_DEP_1)
	v_lshl_add_u32 v1, s15, 2, v1
	s_waitcnt lgkmcnt(0)
	v_cmp_gt_u32_e32 vcc_lo, s2, v1
	s_and_saveexec_b32 s2, vcc_lo
	s_cbranch_execz .LBB34_11
; %bb.1:
	s_clause 0x1
	s_load_b32 s16, s[0:1], 0x0
	s_load_b64 s[2:3], s[0:1], 0x50
	v_mov_b32_e32 v2, 0
	v_and_b32_e32 v0, 0x3ff, v0
	s_mov_b32 s17, exec_lo
	s_delay_alu instid0(VALU_DEP_2) | instskip(SKIP_1) | instid1(VALU_DEP_2)
	v_mov_b32_e32 v7, v2
	s_waitcnt lgkmcnt(0)
	v_cmpx_gt_i32_e64 s16, v0
	s_cbranch_execz .LBB34_5
; %bb.2:
	s_clause 0x3
	s_load_b128 s[12:15], s[0:1], 0x10
	s_load_b256 s[4:11], s[0:1], 0x20
	s_load_b64 s[18:19], s[0:1], 0x40
	s_load_b64 s[0:1], s[0:1], 0x8
	s_waitcnt lgkmcnt(0)
	v_mad_u64_u32 v[3:4], null, s14, v0, 0
	v_mad_u64_u32 v[5:6], null, s4, v1, 0
	;; [unrolled: 1-line block ×4, first 2 shown]
	s_lshl_b64 s[12:13], s[12:13], 1
	s_delay_alu instid0(VALU_DEP_3) | instskip(SKIP_4) | instid1(VALU_DEP_2)
	v_mad_u64_u32 v[12:13], null, s15, v0, v[4:5]
	v_mov_b32_e32 v7, 0
	s_add_u32 s12, s0, s12
	s_addc_u32 s13, s1, s13
	s_lshl_b64 s[0:1], s[8:9], 1
	v_mov_b32_e32 v4, v12
	v_mad_u64_u32 v[13:14], null, s5, v1, v[6:7]
	v_mad_u64_u32 v[14:15], null, s11, v0, v[9:10]
	;; [unrolled: 1-line block ×3, first 2 shown]
	s_delay_alu instid0(VALU_DEP_4) | instskip(SKIP_1) | instid1(VALU_DEP_4)
	v_lshlrev_b64 v[3:4], 1, v[3:4]
	s_lshl_b64 s[4:5], s[14:15], 6
	v_mov_b32_e32 v6, v13
	s_add_u32 s0, s6, s0
	s_delay_alu instid0(VALU_DEP_4) | instskip(SKIP_1) | instid1(VALU_DEP_4)
	v_mov_b32_e32 v9, v14
	s_addc_u32 s1, s7, s1
	v_mov_b32_e32 v11, v15
	v_lshlrev_b64 v[5:6], 1, v[5:6]
	s_lshl_b64 s[6:7], s[10:11], 6
	v_lshlrev_b64 v[8:9], 1, v[8:9]
	s_delay_alu instid0(VALU_DEP_3) | instskip(NEXT) | instid1(VALU_DEP_3)
	v_lshlrev_b64 v[10:11], 1, v[10:11]
	v_add_co_u32 v3, vcc_lo, v3, v5
	s_delay_alu instid0(VALU_DEP_4) | instskip(NEXT) | instid1(VALU_DEP_3)
	v_add_co_ci_u32_e32 v4, vcc_lo, v4, v6, vcc_lo
	v_add_co_u32 v5, vcc_lo, v8, v10
	v_mov_b32_e32 v8, v0
	v_add_co_ci_u32_e32 v6, vcc_lo, v9, v11, vcc_lo
	v_add_co_u32 v3, vcc_lo, s12, v3
	v_add_co_ci_u32_e32 v4, vcc_lo, s13, v4, vcc_lo
	v_add_co_u32 v5, vcc_lo, s0, v5
	s_delay_alu instid0(VALU_DEP_4)
	v_add_co_ci_u32_e32 v6, vcc_lo, s1, v6, vcc_lo
	s_mov_b32 s1, 0
	.p2align	6
.LBB34_3:                               ; =>This Inner Loop Header: Depth=1
	global_load_u16 v9, v[5:6], off
	global_load_u16 v10, v[3:4], off
	v_add_co_u32 v3, vcc_lo, v3, s4
	v_add_co_ci_u32_e32 v4, vcc_lo, s5, v4, vcc_lo
	v_add_co_u32 v5, vcc_lo, v5, s6
	v_add_co_ci_u32_e32 v6, vcc_lo, s7, v6, vcc_lo
	s_waitcnt vmcnt(1)
	v_lshlrev_b32_e32 v9, 16, v9
	s_waitcnt vmcnt(0)
	v_lshlrev_b32_e32 v10, 16, v10
	s_delay_alu instid0(VALU_DEP_1) | instskip(NEXT) | instid1(VALU_DEP_1)
	v_dual_fmac_f32 v7, v10, v9 :: v_dual_add_nc_u32 v8, 32, v8
	v_cmp_le_i32_e64 s0, s16, v8
	s_delay_alu instid0(VALU_DEP_1) | instskip(NEXT) | instid1(SALU_CYCLE_1)
	s_or_b32 s1, s0, s1
	s_and_not1_b32 exec_lo, exec_lo, s1
	s_cbranch_execnz .LBB34_3
; %bb.4:
	s_or_b32 exec_lo, exec_lo, s1
.LBB34_5:
	s_delay_alu instid0(SALU_CYCLE_1)
	s_or_b32 exec_lo, exec_lo, s17
	v_mbcnt_lo_u32_b32 v3, -1, 0
	s_barrier
	buffer_gl0_inv
	v_cmp_gt_u32_e32 vcc_lo, 16, v3
	v_cndmask_b32_e64 v4, 0, 1, vcc_lo
	v_cmp_gt_u32_e32 vcc_lo, 24, v3
	s_delay_alu instid0(VALU_DEP_2) | instskip(SKIP_2) | instid1(VALU_DEP_3)
	v_lshlrev_b32_e32 v4, 4, v4
	v_cndmask_b32_e64 v5, 0, 1, vcc_lo
	v_cmp_gt_u32_e32 vcc_lo, 28, v3
	v_add_lshl_u32 v4, v4, v3, 2
	v_cndmask_b32_e64 v6, 0, 1, vcc_lo
	v_cmp_gt_u32_e32 vcc_lo, 30, v3
	ds_bpermute_b32 v4, v4, v7
	v_lshlrev_b32_e32 v5, 3, v5
	v_lshlrev_b32_e32 v6, 2, v6
	s_delay_alu instid0(VALU_DEP_1)
	v_add_lshl_u32 v6, v6, v3, 2
	s_waitcnt lgkmcnt(0)
	v_add_f32_e32 v4, v7, v4
	v_add_lshl_u32 v5, v5, v3, 2
	ds_bpermute_b32 v5, v5, v4
	s_waitcnt lgkmcnt(0)
	v_add_f32_e32 v4, v4, v5
	ds_bpermute_b32 v5, v6, v4
	v_cndmask_b32_e64 v6, 0, 1, vcc_lo
	v_cmp_ne_u32_e32 vcc_lo, 31, v3
	s_delay_alu instid0(VALU_DEP_2) | instskip(NEXT) | instid1(VALU_DEP_1)
	v_lshlrev_b32_e32 v6, 1, v6
	v_add_lshl_u32 v6, v6, v3, 2
	s_waitcnt lgkmcnt(0)
	v_add_f32_e32 v4, v4, v5
	ds_bpermute_b32 v5, v6, v4
	v_add_co_ci_u32_e32 v6, vcc_lo, 0, v3, vcc_lo
	v_cmp_eq_u32_e32 vcc_lo, 0, v0
	s_waitcnt lgkmcnt(0)
	s_delay_alu instid0(VALU_DEP_2)
	v_dual_add_f32 v3, v4, v5 :: v_dual_lshlrev_b32 v4, 2, v6
	ds_bpermute_b32 v4, v4, v3
	s_and_b32 exec_lo, exec_lo, vcc_lo
	s_cbranch_execz .LBB34_11
; %bb.6:
	s_waitcnt lgkmcnt(0)
	v_add_f32_e32 v3, v3, v4
	s_delay_alu instid0(VALU_DEP_1) | instskip(NEXT) | instid1(VALU_DEP_1)
	v_and_b32_e32 v0, 0x7f800000, v3
	v_cmp_ne_u32_e32 vcc_lo, 0x7f800000, v0
                                        ; implicit-def: $vgpr0
	s_and_saveexec_b32 s0, vcc_lo
	s_delay_alu instid0(SALU_CYCLE_1)
	s_xor_b32 s0, exec_lo, s0
; %bb.7:
	v_bfe_u32 v0, v3, 16, 1
	s_delay_alu instid0(VALU_DEP_1)
	v_add3_u32 v0, v3, v0, 0x7fff
                                        ; implicit-def: $vgpr3
; %bb.8:
	s_and_not1_saveexec_b32 s0, s0
; %bb.9:
	v_and_b32_e32 v0, 0xffff, v3
	v_or_b32_e32 v4, 0x10000, v3
	s_delay_alu instid0(VALU_DEP_2) | instskip(NEXT) | instid1(VALU_DEP_2)
	v_cmp_eq_u32_e32 vcc_lo, 0, v0
	v_cndmask_b32_e32 v0, v4, v3, vcc_lo
; %bb.10:
	s_or_b32 exec_lo, exec_lo, s0
	v_lshlrev_b64 v[1:2], 1, v[1:2]
	s_delay_alu instid0(VALU_DEP_1) | instskip(NEXT) | instid1(VALU_DEP_2)
	v_add_co_u32 v1, vcc_lo, s2, v1
	v_add_co_ci_u32_e32 v2, vcc_lo, s3, v2, vcc_lo
	global_store_d16_hi_b16 v[1:2], v0, off
.LBB34_11:
	s_nop 0
	s_sendmsg sendmsg(MSG_DEALLOC_VGPRS)
	s_endpgm
	.section	.rodata,"a",@progbits
	.p2align	6, 0x0
	.amdhsa_kernel _ZL28rocblas_dot_batched_4_kernelIlLi32ELi4ELb0Ef16rocblas_bfloat16PKS0_EviT5_lT_lS3_lS4_liPT4_
		.amdhsa_group_segment_fixed_size 0
		.amdhsa_private_segment_fixed_size 0
		.amdhsa_kernarg_size 88
		.amdhsa_user_sgpr_count 15
		.amdhsa_user_sgpr_dispatch_ptr 0
		.amdhsa_user_sgpr_queue_ptr 0
		.amdhsa_user_sgpr_kernarg_segment_ptr 1
		.amdhsa_user_sgpr_dispatch_id 0
		.amdhsa_user_sgpr_private_segment_size 0
		.amdhsa_wavefront_size32 1
		.amdhsa_uses_dynamic_stack 0
		.amdhsa_enable_private_segment 0
		.amdhsa_system_sgpr_workgroup_id_x 1
		.amdhsa_system_sgpr_workgroup_id_y 0
		.amdhsa_system_sgpr_workgroup_id_z 0
		.amdhsa_system_sgpr_workgroup_info 0
		.amdhsa_system_vgpr_workitem_id 1
		.amdhsa_next_free_vgpr 17
		.amdhsa_next_free_sgpr 20
		.amdhsa_reserve_vcc 1
		.amdhsa_float_round_mode_32 0
		.amdhsa_float_round_mode_16_64 0
		.amdhsa_float_denorm_mode_32 3
		.amdhsa_float_denorm_mode_16_64 3
		.amdhsa_dx10_clamp 1
		.amdhsa_ieee_mode 1
		.amdhsa_fp16_overflow 0
		.amdhsa_workgroup_processor_mode 1
		.amdhsa_memory_ordered 1
		.amdhsa_forward_progress 0
		.amdhsa_shared_vgpr_count 0
		.amdhsa_exception_fp_ieee_invalid_op 0
		.amdhsa_exception_fp_denorm_src 0
		.amdhsa_exception_fp_ieee_div_zero 0
		.amdhsa_exception_fp_ieee_overflow 0
		.amdhsa_exception_fp_ieee_underflow 0
		.amdhsa_exception_fp_ieee_inexact 0
		.amdhsa_exception_int_div_zero 0
	.end_amdhsa_kernel
	.section	.text._ZL28rocblas_dot_batched_4_kernelIlLi32ELi4ELb0Ef16rocblas_bfloat16PKS0_EviT5_lT_lS3_lS4_liPT4_,"axG",@progbits,_ZL28rocblas_dot_batched_4_kernelIlLi32ELi4ELb0Ef16rocblas_bfloat16PKS0_EviT5_lT_lS3_lS4_liPT4_,comdat
.Lfunc_end34:
	.size	_ZL28rocblas_dot_batched_4_kernelIlLi32ELi4ELb0Ef16rocblas_bfloat16PKS0_EviT5_lT_lS3_lS4_liPT4_, .Lfunc_end34-_ZL28rocblas_dot_batched_4_kernelIlLi32ELi4ELb0Ef16rocblas_bfloat16PKS0_EviT5_lT_lS3_lS4_liPT4_
                                        ; -- End function
	.section	.AMDGPU.csdata,"",@progbits
; Kernel info:
; codeLenInByte = 848
; NumSgprs: 22
; NumVgprs: 17
; ScratchSize: 0
; MemoryBound: 0
; FloatMode: 240
; IeeeMode: 1
; LDSByteSize: 0 bytes/workgroup (compile time only)
; SGPRBlocks: 2
; VGPRBlocks: 2
; NumSGPRsForWavesPerEU: 22
; NumVGPRsForWavesPerEU: 17
; Occupancy: 16
; WaveLimiterHint : 0
; COMPUTE_PGM_RSRC2:SCRATCH_EN: 0
; COMPUTE_PGM_RSRC2:USER_SGPR: 15
; COMPUTE_PGM_RSRC2:TRAP_HANDLER: 0
; COMPUTE_PGM_RSRC2:TGID_X_EN: 1
; COMPUTE_PGM_RSRC2:TGID_Y_EN: 0
; COMPUTE_PGM_RSRC2:TGID_Z_EN: 0
; COMPUTE_PGM_RSRC2:TIDIG_COMP_CNT: 1
	.section	.text._ZL28rocblas_dot_batched_4_kernelIlLi64ELi4ELb0Ef16rocblas_bfloat16PKS0_EviT5_lT_lS3_lS4_liPT4_,"axG",@progbits,_ZL28rocblas_dot_batched_4_kernelIlLi64ELi4ELb0Ef16rocblas_bfloat16PKS0_EviT5_lT_lS3_lS4_liPT4_,comdat
	.globl	_ZL28rocblas_dot_batched_4_kernelIlLi64ELi4ELb0Ef16rocblas_bfloat16PKS0_EviT5_lT_lS3_lS4_liPT4_ ; -- Begin function _ZL28rocblas_dot_batched_4_kernelIlLi64ELi4ELb0Ef16rocblas_bfloat16PKS0_EviT5_lT_lS3_lS4_liPT4_
	.p2align	8
	.type	_ZL28rocblas_dot_batched_4_kernelIlLi64ELi4ELb0Ef16rocblas_bfloat16PKS0_EviT5_lT_lS3_lS4_liPT4_,@function
_ZL28rocblas_dot_batched_4_kernelIlLi64ELi4ELb0Ef16rocblas_bfloat16PKS0_EviT5_lT_lS3_lS4_liPT4_: ; @_ZL28rocblas_dot_batched_4_kernelIlLi64ELi4ELb0Ef16rocblas_bfloat16PKS0_EviT5_lT_lS3_lS4_liPT4_
; %bb.0:
	s_load_b32 s2, s[0:1], 0x48
	v_bfe_u32 v1, v0, 10, 10
	s_delay_alu instid0(VALU_DEP_1) | instskip(SKIP_1) | instid1(VALU_DEP_1)
	v_lshl_add_u32 v1, s15, 2, v1
	s_waitcnt lgkmcnt(0)
	v_cmp_gt_u32_e32 vcc_lo, s2, v1
	s_and_saveexec_b32 s2, vcc_lo
	s_cbranch_execz .LBB35_11
; %bb.1:
	s_clause 0x1
	s_load_b32 s16, s[0:1], 0x0
	s_load_b64 s[2:3], s[0:1], 0x50
	v_mov_b32_e32 v2, 0
	v_and_b32_e32 v0, 0x3ff, v0
	s_mov_b32 s17, exec_lo
	s_delay_alu instid0(VALU_DEP_2) | instskip(SKIP_1) | instid1(VALU_DEP_2)
	v_mov_b32_e32 v7, v2
	s_waitcnt lgkmcnt(0)
	v_cmpx_gt_i32_e64 s16, v0
	s_cbranch_execz .LBB35_5
; %bb.2:
	s_clause 0x3
	s_load_b128 s[12:15], s[0:1], 0x10
	s_load_b256 s[4:11], s[0:1], 0x20
	s_load_b64 s[18:19], s[0:1], 0x40
	s_load_b64 s[0:1], s[0:1], 0x8
	s_waitcnt lgkmcnt(0)
	v_mad_u64_u32 v[3:4], null, s14, v0, 0
	v_mad_u64_u32 v[5:6], null, s4, v1, 0
	;; [unrolled: 1-line block ×4, first 2 shown]
	s_lshl_b64 s[12:13], s[12:13], 1
	s_delay_alu instid0(VALU_DEP_3) | instskip(SKIP_4) | instid1(VALU_DEP_2)
	v_mad_u64_u32 v[12:13], null, s15, v0, v[4:5]
	v_mov_b32_e32 v7, 0
	s_add_u32 s12, s0, s12
	s_addc_u32 s13, s1, s13
	s_lshl_b64 s[0:1], s[8:9], 1
	v_mov_b32_e32 v4, v12
	v_mad_u64_u32 v[13:14], null, s5, v1, v[6:7]
	v_mad_u64_u32 v[14:15], null, s11, v0, v[9:10]
	;; [unrolled: 1-line block ×3, first 2 shown]
	s_delay_alu instid0(VALU_DEP_4) | instskip(SKIP_1) | instid1(VALU_DEP_4)
	v_lshlrev_b64 v[3:4], 1, v[3:4]
	s_lshl_b64 s[4:5], s[14:15], 7
	v_mov_b32_e32 v6, v13
	s_add_u32 s0, s6, s0
	s_delay_alu instid0(VALU_DEP_4) | instskip(SKIP_1) | instid1(VALU_DEP_4)
	v_mov_b32_e32 v9, v14
	s_addc_u32 s1, s7, s1
	v_mov_b32_e32 v11, v15
	v_lshlrev_b64 v[5:6], 1, v[5:6]
	s_lshl_b64 s[6:7], s[10:11], 7
	v_lshlrev_b64 v[8:9], 1, v[8:9]
	s_delay_alu instid0(VALU_DEP_3) | instskip(NEXT) | instid1(VALU_DEP_3)
	v_lshlrev_b64 v[10:11], 1, v[10:11]
	v_add_co_u32 v3, vcc_lo, v3, v5
	s_delay_alu instid0(VALU_DEP_4) | instskip(NEXT) | instid1(VALU_DEP_3)
	v_add_co_ci_u32_e32 v4, vcc_lo, v4, v6, vcc_lo
	v_add_co_u32 v5, vcc_lo, v8, v10
	v_mov_b32_e32 v8, v0
	v_add_co_ci_u32_e32 v6, vcc_lo, v9, v11, vcc_lo
	v_add_co_u32 v3, vcc_lo, s12, v3
	v_add_co_ci_u32_e32 v4, vcc_lo, s13, v4, vcc_lo
	v_add_co_u32 v5, vcc_lo, s0, v5
	s_delay_alu instid0(VALU_DEP_4)
	v_add_co_ci_u32_e32 v6, vcc_lo, s1, v6, vcc_lo
	s_mov_b32 s1, 0
	.p2align	6
.LBB35_3:                               ; =>This Inner Loop Header: Depth=1
	global_load_u16 v9, v[5:6], off
	global_load_u16 v10, v[3:4], off
	v_add_co_u32 v3, vcc_lo, v3, s4
	v_add_co_ci_u32_e32 v4, vcc_lo, s5, v4, vcc_lo
	v_add_co_u32 v5, vcc_lo, v5, s6
	v_add_co_ci_u32_e32 v6, vcc_lo, s7, v6, vcc_lo
	s_waitcnt vmcnt(1)
	v_lshlrev_b32_e32 v9, 16, v9
	s_waitcnt vmcnt(0)
	v_lshlrev_b32_e32 v10, 16, v10
	s_delay_alu instid0(VALU_DEP_1) | instskip(NEXT) | instid1(VALU_DEP_1)
	v_dual_fmac_f32 v7, v10, v9 :: v_dual_add_nc_u32 v8, 64, v8
	v_cmp_le_i32_e64 s0, s16, v8
	s_delay_alu instid0(VALU_DEP_1) | instskip(NEXT) | instid1(SALU_CYCLE_1)
	s_or_b32 s1, s0, s1
	s_and_not1_b32 exec_lo, exec_lo, s1
	s_cbranch_execnz .LBB35_3
; %bb.4:
	s_or_b32 exec_lo, exec_lo, s1
.LBB35_5:
	s_delay_alu instid0(SALU_CYCLE_1)
	s_or_b32 exec_lo, exec_lo, s17
	v_mbcnt_lo_u32_b32 v3, -1, 0
	s_barrier
	buffer_gl0_inv
	v_lshlrev_b32_e32 v4, 2, v3
	v_cmp_gt_u32_e32 vcc_lo, 16, v3
	ds_bpermute_b32 v4, v4, v7
	v_cndmask_b32_e64 v5, 0, 1, vcc_lo
	v_cmp_gt_u32_e32 vcc_lo, 24, v3
	s_delay_alu instid0(VALU_DEP_2) | instskip(SKIP_2) | instid1(VALU_DEP_2)
	v_lshlrev_b32_e32 v5, 4, v5
	v_cndmask_b32_e64 v6, 0, 1, vcc_lo
	v_cmp_gt_u32_e32 vcc_lo, 28, v3
	v_lshlrev_b32_e32 v6, 3, v6
	s_delay_alu instid0(VALU_DEP_1)
	v_add_lshl_u32 v6, v6, v3, 2
	s_waitcnt lgkmcnt(0)
	v_add_f32_e32 v4, v7, v4
	v_add_lshl_u32 v5, v5, v3, 2
	ds_bpermute_b32 v5, v5, v4
	s_waitcnt lgkmcnt(0)
	v_add_f32_e32 v4, v4, v5
	ds_bpermute_b32 v5, v6, v4
	v_cndmask_b32_e64 v6, 0, 1, vcc_lo
	v_cmp_gt_u32_e32 vcc_lo, 30, v3
	s_delay_alu instid0(VALU_DEP_2) | instskip(NEXT) | instid1(VALU_DEP_1)
	v_lshlrev_b32_e32 v6, 2, v6
	v_add_lshl_u32 v6, v6, v3, 2
	s_waitcnt lgkmcnt(0)
	v_add_f32_e32 v4, v4, v5
	ds_bpermute_b32 v5, v6, v4
	v_cndmask_b32_e64 v6, 0, 1, vcc_lo
	v_cmp_ne_u32_e32 vcc_lo, 31, v3
	s_delay_alu instid0(VALU_DEP_2) | instskip(NEXT) | instid1(VALU_DEP_1)
	v_lshlrev_b32_e32 v6, 1, v6
	v_add_lshl_u32 v6, v6, v3, 2
	s_waitcnt lgkmcnt(0)
	v_add_f32_e32 v4, v4, v5
	ds_bpermute_b32 v5, v6, v4
	v_add_co_ci_u32_e32 v6, vcc_lo, 0, v3, vcc_lo
	v_cmp_eq_u32_e32 vcc_lo, 0, v0
	s_waitcnt lgkmcnt(0)
	s_delay_alu instid0(VALU_DEP_2)
	v_dual_add_f32 v3, v4, v5 :: v_dual_lshlrev_b32 v4, 2, v6
	ds_bpermute_b32 v4, v4, v3
	s_and_b32 exec_lo, exec_lo, vcc_lo
	s_cbranch_execz .LBB35_11
; %bb.6:
	s_waitcnt lgkmcnt(0)
	v_add_f32_e32 v3, v3, v4
	s_delay_alu instid0(VALU_DEP_1) | instskip(NEXT) | instid1(VALU_DEP_1)
	v_and_b32_e32 v0, 0x7f800000, v3
	v_cmp_ne_u32_e32 vcc_lo, 0x7f800000, v0
                                        ; implicit-def: $vgpr0
	s_and_saveexec_b32 s0, vcc_lo
	s_delay_alu instid0(SALU_CYCLE_1)
	s_xor_b32 s0, exec_lo, s0
; %bb.7:
	v_bfe_u32 v0, v3, 16, 1
	s_delay_alu instid0(VALU_DEP_1)
	v_add3_u32 v0, v3, v0, 0x7fff
                                        ; implicit-def: $vgpr3
; %bb.8:
	s_and_not1_saveexec_b32 s0, s0
; %bb.9:
	v_and_b32_e32 v0, 0xffff, v3
	v_or_b32_e32 v4, 0x10000, v3
	s_delay_alu instid0(VALU_DEP_2) | instskip(NEXT) | instid1(VALU_DEP_2)
	v_cmp_eq_u32_e32 vcc_lo, 0, v0
	v_cndmask_b32_e32 v0, v4, v3, vcc_lo
; %bb.10:
	s_or_b32 exec_lo, exec_lo, s0
	v_lshlrev_b64 v[1:2], 1, v[1:2]
	s_delay_alu instid0(VALU_DEP_1) | instskip(NEXT) | instid1(VALU_DEP_2)
	v_add_co_u32 v1, vcc_lo, s2, v1
	v_add_co_ci_u32_e32 v2, vcc_lo, s3, v2, vcc_lo
	global_store_d16_hi_b16 v[1:2], v0, off
.LBB35_11:
	s_nop 0
	s_sendmsg sendmsg(MSG_DEALLOC_VGPRS)
	s_endpgm
	.section	.rodata,"a",@progbits
	.p2align	6, 0x0
	.amdhsa_kernel _ZL28rocblas_dot_batched_4_kernelIlLi64ELi4ELb0Ef16rocblas_bfloat16PKS0_EviT5_lT_lS3_lS4_liPT4_
		.amdhsa_group_segment_fixed_size 0
		.amdhsa_private_segment_fixed_size 0
		.amdhsa_kernarg_size 88
		.amdhsa_user_sgpr_count 15
		.amdhsa_user_sgpr_dispatch_ptr 0
		.amdhsa_user_sgpr_queue_ptr 0
		.amdhsa_user_sgpr_kernarg_segment_ptr 1
		.amdhsa_user_sgpr_dispatch_id 0
		.amdhsa_user_sgpr_private_segment_size 0
		.amdhsa_wavefront_size32 1
		.amdhsa_uses_dynamic_stack 0
		.amdhsa_enable_private_segment 0
		.amdhsa_system_sgpr_workgroup_id_x 1
		.amdhsa_system_sgpr_workgroup_id_y 0
		.amdhsa_system_sgpr_workgroup_id_z 0
		.amdhsa_system_sgpr_workgroup_info 0
		.amdhsa_system_vgpr_workitem_id 1
		.amdhsa_next_free_vgpr 17
		.amdhsa_next_free_sgpr 20
		.amdhsa_reserve_vcc 1
		.amdhsa_float_round_mode_32 0
		.amdhsa_float_round_mode_16_64 0
		.amdhsa_float_denorm_mode_32 3
		.amdhsa_float_denorm_mode_16_64 3
		.amdhsa_dx10_clamp 1
		.amdhsa_ieee_mode 1
		.amdhsa_fp16_overflow 0
		.amdhsa_workgroup_processor_mode 1
		.amdhsa_memory_ordered 1
		.amdhsa_forward_progress 0
		.amdhsa_shared_vgpr_count 0
		.amdhsa_exception_fp_ieee_invalid_op 0
		.amdhsa_exception_fp_denorm_src 0
		.amdhsa_exception_fp_ieee_div_zero 0
		.amdhsa_exception_fp_ieee_overflow 0
		.amdhsa_exception_fp_ieee_underflow 0
		.amdhsa_exception_fp_ieee_inexact 0
		.amdhsa_exception_int_div_zero 0
	.end_amdhsa_kernel
	.section	.text._ZL28rocblas_dot_batched_4_kernelIlLi64ELi4ELb0Ef16rocblas_bfloat16PKS0_EviT5_lT_lS3_lS4_liPT4_,"axG",@progbits,_ZL28rocblas_dot_batched_4_kernelIlLi64ELi4ELb0Ef16rocblas_bfloat16PKS0_EviT5_lT_lS3_lS4_liPT4_,comdat
.Lfunc_end35:
	.size	_ZL28rocblas_dot_batched_4_kernelIlLi64ELi4ELb0Ef16rocblas_bfloat16PKS0_EviT5_lT_lS3_lS4_liPT4_, .Lfunc_end35-_ZL28rocblas_dot_batched_4_kernelIlLi64ELi4ELb0Ef16rocblas_bfloat16PKS0_EviT5_lT_lS3_lS4_liPT4_
                                        ; -- End function
	.section	.AMDGPU.csdata,"",@progbits
; Kernel info:
; codeLenInByte = 872
; NumSgprs: 22
; NumVgprs: 17
; ScratchSize: 0
; MemoryBound: 0
; FloatMode: 240
; IeeeMode: 1
; LDSByteSize: 0 bytes/workgroup (compile time only)
; SGPRBlocks: 2
; VGPRBlocks: 2
; NumSGPRsForWavesPerEU: 22
; NumVGPRsForWavesPerEU: 17
; Occupancy: 16
; WaveLimiterHint : 0
; COMPUTE_PGM_RSRC2:SCRATCH_EN: 0
; COMPUTE_PGM_RSRC2:USER_SGPR: 15
; COMPUTE_PGM_RSRC2:TRAP_HANDLER: 0
; COMPUTE_PGM_RSRC2:TGID_X_EN: 1
; COMPUTE_PGM_RSRC2:TGID_Y_EN: 0
; COMPUTE_PGM_RSRC2:TGID_Z_EN: 0
; COMPUTE_PGM_RSRC2:TIDIG_COMP_CNT: 1
	.section	.text._ZL18rocblas_dot_kernelIlLb1ELi1024ELi32ELb0E16rocblas_bfloat16PKS0_fEviT5_lT_lS3_lS4_liPT6_PT4_,"axG",@progbits,_ZL18rocblas_dot_kernelIlLb1ELi1024ELi32ELb0E16rocblas_bfloat16PKS0_fEviT5_lT_lS3_lS4_liPT6_PT4_,comdat
	.globl	_ZL18rocblas_dot_kernelIlLb1ELi1024ELi32ELb0E16rocblas_bfloat16PKS0_fEviT5_lT_lS3_lS4_liPT6_PT4_ ; -- Begin function _ZL18rocblas_dot_kernelIlLb1ELi1024ELi32ELb0E16rocblas_bfloat16PKS0_fEviT5_lT_lS3_lS4_liPT6_PT4_
	.p2align	8
	.type	_ZL18rocblas_dot_kernelIlLb1ELi1024ELi32ELb0E16rocblas_bfloat16PKS0_fEviT5_lT_lS3_lS4_liPT6_PT4_,@function
_ZL18rocblas_dot_kernelIlLb1ELi1024ELi32ELb0E16rocblas_bfloat16PKS0_fEviT5_lT_lS3_lS4_liPT6_PT4_: ; @_ZL18rocblas_dot_kernelIlLb1ELi1024ELi32ELb0E16rocblas_bfloat16PKS0_fEviT5_lT_lS3_lS4_liPT6_PT4_
; %bb.0:
	s_clause 0x1
	s_load_b32 s18, s[0:1], 0x0
	s_load_b64 s[2:3], s[0:1], 0x58
	v_mov_b32_e32 v6, 0
	s_mov_b32 s16, s15
	s_mov_b32 s17, 0
	s_mov_b32 s19, exec_lo
	s_waitcnt lgkmcnt(0)
	v_cmpx_gt_i32_e64 s18, v0
	s_cbranch_execz .LBB36_4
; %bb.1:
	s_clause 0x4
	s_load_b32 s24, s[0:1], 0x60
	s_load_b256 s[4:11], s[0:1], 0x20
	s_load_b128 s[12:15], s[0:1], 0x10
	s_load_b64 s[20:21], s[0:1], 0x40
	s_load_b64 s[22:23], s[0:1], 0x8
	s_waitcnt lgkmcnt(0)
	s_lshl_b32 s1, s24, 10
	v_mad_u64_u32 v[3:4], null, s10, v0, 0
	v_mad_u64_u32 v[1:2], null, s14, v0, 0
	v_or_b32_e32 v5, s1, v0
	s_mul_i32 s0, s5, s16
	s_mul_hi_u32 s5, s4, s16
	s_mul_i32 s4, s4, s16
	s_add_i32 s5, s5, s0
	s_lshl_b64 s[12:13], s[12:13], 1
	s_delay_alu instid0(VALU_DEP_2)
	v_mad_u64_u32 v[6:7], null, s15, v0, v[2:3]
	v_mad_u64_u32 v[7:8], null, s11, v0, v[4:5]
	s_lshl_b64 s[4:5], s[4:5], 1
	s_add_u32 s12, s22, s12
	s_addc_u32 s13, s23, s13
	s_add_u32 s22, s12, s4
	s_delay_alu instid0(VALU_DEP_2)
	v_mov_b32_e32 v2, v6
	s_addc_u32 s23, s13, s5
	s_ashr_i32 s4, s1, 31
	s_mul_hi_u32 s0, s14, s1
	s_mul_i32 s5, s14, s4
	v_mov_b32_e32 v4, v7
	s_mul_i32 s21, s21, s16
	s_mul_hi_u32 s25, s20, s16
	s_mul_i32 s26, s15, s1
	s_add_i32 s0, s0, s5
	v_lshlrev_b64 v[1:2], 1, v[1:2]
	s_mul_i32 s20, s20, s16
	s_mul_i32 s24, s14, s1
	s_add_i32 s21, s25, s21
	s_add_i32 s25, s0, s26
	s_lshl_b64 s[8:9], s[8:9], 1
	v_lshlrev_b64 v[3:4], 1, v[3:4]
	s_lshl_b64 s[12:13], s[20:21], 1
	s_mul_i32 s0, s10, s4
	s_lshl_b64 s[4:5], s[24:25], 1
	s_add_u32 s6, s6, s8
	s_addc_u32 s7, s7, s9
	v_add_co_u32 v1, vcc_lo, s22, v1
	s_add_u32 s6, s6, s12
	v_add_co_ci_u32_e32 v2, vcc_lo, s23, v2, vcc_lo
	s_mul_hi_u32 s8, s10, s1
	s_addc_u32 s7, s7, s13
	v_add_co_u32 v3, vcc_lo, s6, v3
	s_add_i32 s0, s8, s0
	s_mul_i32 s8, s11, s1
	v_add_co_ci_u32_e32 v4, vcc_lo, s7, v4, vcc_lo
	v_mov_b32_e32 v6, 0
	s_add_i32 s7, s0, s8
	s_mul_i32 s6, s10, s1
	s_mov_b32 s8, s17
	s_lshl_b64 s[6:7], s[6:7], 1
	s_mov_b32 s9, s17
	.p2align	6
.LBB36_2:                               ; =>This Inner Loop Header: Depth=1
	global_load_u16 v7, v[1:2], off
	global_load_u16 v8, v[3:4], off
	v_add_co_u32 v1, s0, v1, s4
	s_delay_alu instid0(VALU_DEP_1)
	v_add_co_ci_u32_e64 v2, s0, s5, v2, s0
	s_add_i32 s10, s9, 1
	v_cmp_le_i32_e32 vcc_lo, s18, v5
	v_add_co_u32 v3, s0, v3, s6
	s_cmp_gt_u32 s9, 30
	v_add_co_ci_u32_e64 v4, s0, s7, v4, s0
	s_cselect_b32 s0, -1, 0
	s_mov_b32 s9, s10
	s_or_b32 s0, s0, vcc_lo
	s_delay_alu instid0(SALU_CYCLE_1) | instskip(NEXT) | instid1(SALU_CYCLE_1)
	s_and_b32 s0, exec_lo, s0
	s_or_b32 s8, s0, s8
	s_waitcnt vmcnt(1)
	v_lshlrev_b32_e32 v7, 16, v7
	s_waitcnt vmcnt(0)
	v_lshlrev_b32_e32 v8, 16, v8
	s_delay_alu instid0(VALU_DEP_1)
	v_dual_fmac_f32 v6, v8, v7 :: v_dual_add_nc_u32 v5, s1, v5
	s_and_not1_b32 exec_lo, exec_lo, s8
	s_cbranch_execnz .LBB36_2
; %bb.3:
	s_or_b32 exec_lo, exec_lo, s8
.LBB36_4:
	s_delay_alu instid0(SALU_CYCLE_1) | instskip(SKIP_2) | instid1(VALU_DEP_2)
	s_or_b32 exec_lo, exec_lo, s19
	v_and_b32_e32 v5, 31, v0
	v_cmp_gt_u32_e32 vcc_lo, 32, v0
	v_lshlrev_b32_e32 v1, 2, v5
	s_and_saveexec_b32 s0, vcc_lo
	s_cbranch_execz .LBB36_6
; %bb.5:
	v_mov_b32_e32 v2, 0
	ds_store_b32 v1, v2
.LBB36_6:
	s_or_b32 exec_lo, exec_lo, s0
	v_mbcnt_lo_u32_b32 v7, -1, 0
	s_mov_b32 s1, exec_lo
	s_waitcnt lgkmcnt(0)
	s_barrier
	buffer_gl0_inv
	v_cmp_gt_u32_e64 s0, 16, v7
	s_delay_alu instid0(VALU_DEP_1) | instskip(SKIP_1) | instid1(VALU_DEP_2)
	v_cndmask_b32_e64 v2, 0, 1, s0
	v_cmp_gt_u32_e64 s0, 24, v7
	v_lshlrev_b32_e32 v2, 4, v2
	s_delay_alu instid0(VALU_DEP_2) | instskip(SKIP_1) | instid1(VALU_DEP_3)
	v_cndmask_b32_e64 v3, 0, 1, s0
	v_cmp_gt_u32_e64 s0, 28, v7
	v_add_lshl_u32 v2, v2, v7, 2
	ds_bpermute_b32 v4, v2, v6
	s_waitcnt lgkmcnt(0)
	v_dual_add_f32 v6, v6, v4 :: v_dual_lshlrev_b32 v3, 3, v3
	s_delay_alu instid0(VALU_DEP_1) | instskip(SKIP_4) | instid1(VALU_DEP_1)
	v_add_lshl_u32 v3, v3, v7, 2
	v_cndmask_b32_e64 v4, 0, 1, s0
	v_cmp_gt_u32_e64 s0, 30, v7
	ds_bpermute_b32 v8, v3, v6
	v_lshlrev_b32_e32 v4, 2, v4
	v_add_lshl_u32 v4, v4, v7, 2
	s_waitcnt lgkmcnt(0)
	v_add_f32_e32 v8, v6, v8
	v_cndmask_b32_e64 v6, 0, 1, s0
	v_cmp_ne_u32_e64 s0, 31, v7
	s_delay_alu instid0(VALU_DEP_2) | instskip(NEXT) | instid1(VALU_DEP_1)
	v_lshlrev_b32_e32 v6, 1, v6
	v_add_lshl_u32 v6, v6, v7, 2
	s_delay_alu instid0(VALU_DEP_3) | instskip(NEXT) | instid1(VALU_DEP_1)
	v_add_co_ci_u32_e64 v7, s0, 0, v7, s0
	v_lshlrev_b32_e32 v7, 2, v7
	ds_bpermute_b32 v9, v4, v8
	s_waitcnt lgkmcnt(0)
	v_add_f32_e32 v8, v8, v9
	ds_bpermute_b32 v9, v6, v8
	s_waitcnt lgkmcnt(0)
	v_add_f32_e32 v8, v8, v9
	ds_bpermute_b32 v9, v7, v8
	v_cmpx_eq_u32_e32 0, v5
	s_cbranch_execz .LBB36_8
; %bb.7:
	v_lshrrev_b32_e32 v5, 3, v0
	s_waitcnt lgkmcnt(0)
	v_add_f32_e32 v8, v8, v9
	s_delay_alu instid0(VALU_DEP_2)
	v_and_b32_e32 v5, 0x7c, v5
	ds_store_b32 v5, v8
.LBB36_8:
	s_or_b32 exec_lo, exec_lo, s1
	v_mov_b32_e32 v5, 0
	s_waitcnt lgkmcnt(0)
	s_barrier
	buffer_gl0_inv
	s_and_saveexec_b32 s0, vcc_lo
	s_cbranch_execz .LBB36_10
; %bb.9:
	ds_load_b32 v5, v1
.LBB36_10:
	s_or_b32 exec_lo, exec_lo, s0
	s_and_saveexec_b32 s0, vcc_lo
	s_cbranch_execz .LBB36_12
; %bb.11:
	s_waitcnt lgkmcnt(0)
	ds_bpermute_b32 v1, v2, v5
	s_waitcnt lgkmcnt(0)
	v_add_f32_e32 v1, v5, v1
	ds_bpermute_b32 v2, v3, v1
	s_waitcnt lgkmcnt(0)
	v_add_f32_e32 v1, v1, v2
	;; [unrolled: 3-line block ×5, first 2 shown]
.LBB36_12:
	s_or_b32 exec_lo, exec_lo, s0
	s_delay_alu instid0(SALU_CYCLE_1)
	s_mov_b32 s0, exec_lo
	v_cmpx_eq_u32_e32 0, v0
	s_cbranch_execz .LBB36_18
; %bb.13:
	s_waitcnt lgkmcnt(0)
	v_and_b32_e32 v0, 0x7f800000, v5
	s_delay_alu instid0(VALU_DEP_1) | instskip(SKIP_1) | instid1(SALU_CYCLE_1)
	v_cmp_ne_u32_e32 vcc_lo, 0x7f800000, v0
                                        ; implicit-def: $vgpr0
	s_and_saveexec_b32 s0, vcc_lo
	s_xor_b32 s0, exec_lo, s0
; %bb.14:
	v_bfe_u32 v0, v5, 16, 1
	s_delay_alu instid0(VALU_DEP_1)
	v_add3_u32 v0, v5, v0, 0x7fff
                                        ; implicit-def: $vgpr5
; %bb.15:
	s_and_not1_saveexec_b32 s0, s0
; %bb.16:
	v_and_b32_e32 v0, 0xffff, v5
	v_or_b32_e32 v1, 0x10000, v5
	s_delay_alu instid0(VALU_DEP_2) | instskip(NEXT) | instid1(VALU_DEP_2)
	v_cmp_eq_u32_e32 vcc_lo, 0, v0
	v_cndmask_b32_e32 v0, v1, v5, vcc_lo
; %bb.17:
	s_or_b32 exec_lo, exec_lo, s0
	s_lshl_b64 s[0:1], s[16:17], 1
	v_mov_b32_e32 v1, 0
	s_add_u32 s0, s2, s0
	s_addc_u32 s1, s3, s1
	global_store_d16_hi_b16 v1, v0, s[0:1]
.LBB36_18:
	s_nop 0
	s_sendmsg sendmsg(MSG_DEALLOC_VGPRS)
	s_endpgm
	.section	.rodata,"a",@progbits
	.p2align	6, 0x0
	.amdhsa_kernel _ZL18rocblas_dot_kernelIlLb1ELi1024ELi32ELb0E16rocblas_bfloat16PKS0_fEviT5_lT_lS3_lS4_liPT6_PT4_
		.amdhsa_group_segment_fixed_size 128
		.amdhsa_private_segment_fixed_size 0
		.amdhsa_kernarg_size 352
		.amdhsa_user_sgpr_count 14
		.amdhsa_user_sgpr_dispatch_ptr 0
		.amdhsa_user_sgpr_queue_ptr 0
		.amdhsa_user_sgpr_kernarg_segment_ptr 1
		.amdhsa_user_sgpr_dispatch_id 0
		.amdhsa_user_sgpr_private_segment_size 0
		.amdhsa_wavefront_size32 1
		.amdhsa_uses_dynamic_stack 0
		.amdhsa_enable_private_segment 0
		.amdhsa_system_sgpr_workgroup_id_x 1
		.amdhsa_system_sgpr_workgroup_id_y 0
		.amdhsa_system_sgpr_workgroup_id_z 1
		.amdhsa_system_sgpr_workgroup_info 0
		.amdhsa_system_vgpr_workitem_id 0
		.amdhsa_next_free_vgpr 10
		.amdhsa_next_free_sgpr 27
		.amdhsa_reserve_vcc 1
		.amdhsa_float_round_mode_32 0
		.amdhsa_float_round_mode_16_64 0
		.amdhsa_float_denorm_mode_32 3
		.amdhsa_float_denorm_mode_16_64 3
		.amdhsa_dx10_clamp 1
		.amdhsa_ieee_mode 1
		.amdhsa_fp16_overflow 0
		.amdhsa_workgroup_processor_mode 1
		.amdhsa_memory_ordered 1
		.amdhsa_forward_progress 0
		.amdhsa_shared_vgpr_count 0
		.amdhsa_exception_fp_ieee_invalid_op 0
		.amdhsa_exception_fp_denorm_src 0
		.amdhsa_exception_fp_ieee_div_zero 0
		.amdhsa_exception_fp_ieee_overflow 0
		.amdhsa_exception_fp_ieee_underflow 0
		.amdhsa_exception_fp_ieee_inexact 0
		.amdhsa_exception_int_div_zero 0
	.end_amdhsa_kernel
	.section	.text._ZL18rocblas_dot_kernelIlLb1ELi1024ELi32ELb0E16rocblas_bfloat16PKS0_fEviT5_lT_lS3_lS4_liPT6_PT4_,"axG",@progbits,_ZL18rocblas_dot_kernelIlLb1ELi1024ELi32ELb0E16rocblas_bfloat16PKS0_fEviT5_lT_lS3_lS4_liPT6_PT4_,comdat
.Lfunc_end36:
	.size	_ZL18rocblas_dot_kernelIlLb1ELi1024ELi32ELb0E16rocblas_bfloat16PKS0_fEviT5_lT_lS3_lS4_liPT6_PT4_, .Lfunc_end36-_ZL18rocblas_dot_kernelIlLb1ELi1024ELi32ELb0E16rocblas_bfloat16PKS0_fEviT5_lT_lS3_lS4_liPT6_PT4_
                                        ; -- End function
	.section	.AMDGPU.csdata,"",@progbits
; Kernel info:
; codeLenInByte = 1096
; NumSgprs: 29
; NumVgprs: 10
; ScratchSize: 0
; MemoryBound: 0
; FloatMode: 240
; IeeeMode: 1
; LDSByteSize: 128 bytes/workgroup (compile time only)
; SGPRBlocks: 3
; VGPRBlocks: 1
; NumSGPRsForWavesPerEU: 29
; NumVGPRsForWavesPerEU: 10
; Occupancy: 16
; WaveLimiterHint : 0
; COMPUTE_PGM_RSRC2:SCRATCH_EN: 0
; COMPUTE_PGM_RSRC2:USER_SGPR: 14
; COMPUTE_PGM_RSRC2:TRAP_HANDLER: 0
; COMPUTE_PGM_RSRC2:TGID_X_EN: 1
; COMPUTE_PGM_RSRC2:TGID_Y_EN: 0
; COMPUTE_PGM_RSRC2:TGID_Z_EN: 1
; COMPUTE_PGM_RSRC2:TIDIG_COMP_CNT: 0
	.section	.text._ZL24rocblas_dot_kernel_magsqIlLb1ELi1024ELi32ELb0E16rocblas_bfloat16PKS0_fEviT5_lT_liPT6_PT4_,"axG",@progbits,_ZL24rocblas_dot_kernel_magsqIlLb1ELi1024ELi32ELb0E16rocblas_bfloat16PKS0_fEviT5_lT_liPT6_PT4_,comdat
	.globl	_ZL24rocblas_dot_kernel_magsqIlLb1ELi1024ELi32ELb0E16rocblas_bfloat16PKS0_fEviT5_lT_liPT6_PT4_ ; -- Begin function _ZL24rocblas_dot_kernel_magsqIlLb1ELi1024ELi32ELb0E16rocblas_bfloat16PKS0_fEviT5_lT_liPT6_PT4_
	.p2align	8
	.type	_ZL24rocblas_dot_kernel_magsqIlLb1ELi1024ELi32ELb0E16rocblas_bfloat16PKS0_fEviT5_lT_liPT6_PT4_,@function
_ZL24rocblas_dot_kernel_magsqIlLb1ELi1024ELi32ELb0E16rocblas_bfloat16PKS0_fEviT5_lT_liPT6_PT4_: ; @_ZL24rocblas_dot_kernel_magsqIlLb1ELi1024ELi32ELb0E16rocblas_bfloat16PKS0_fEviT5_lT_liPT6_PT4_
; %bb.0:
	s_clause 0x1
	s_load_b32 s8, s[0:1], 0x0
	s_load_b64 s[2:3], s[0:1], 0x38
	v_mov_b32_e32 v3, 0
	s_mov_b32 s4, s15
	s_mov_b32 s5, 0
	s_mov_b32 s9, exec_lo
	s_waitcnt lgkmcnt(0)
	v_cmpx_gt_i32_e64 s8, v0
	s_cbranch_execz .LBB37_4
; %bb.1:
	s_clause 0x3
	s_load_b128 s[12:15], s[0:1], 0x10
	s_load_b32 s16, s[0:1], 0x40
	s_load_b64 s[6:7], s[0:1], 0x20
	s_load_b64 s[10:11], s[0:1], 0x8
	s_waitcnt lgkmcnt(0)
	v_mad_u64_u32 v[1:2], null, s14, v0, 0
	s_mul_i32 s0, s7, s4
	s_mul_hi_u32 s7, s6, s4
	s_mul_i32 s6, s6, s4
	s_add_i32 s7, s7, s0
	s_lshl_b64 s[12:13], s[12:13], 1
	s_lshl_b32 s1, s16, 10
	s_delay_alu instid0(VALU_DEP_1)
	v_mad_u64_u32 v[3:4], null, s15, v0, v[2:3]
	s_lshl_b64 s[6:7], s[6:7], 1
	s_add_u32 s0, s10, s12
	s_addc_u32 s10, s11, s13
	s_add_u32 s0, s0, s6
	s_addc_u32 s10, s10, s7
	s_ashr_i32 s6, s1, 31
	s_delay_alu instid0(VALU_DEP_1) | instskip(SKIP_3) | instid1(VALU_DEP_1)
	v_dual_mov_b32 v2, v3 :: v_dual_mov_b32 v3, 0
	s_mul_hi_u32 s7, s14, s1
	s_mul_i32 s6, s14, s6
	s_mul_i32 s11, s15, s1
	v_lshlrev_b64 v[1:2], 1, v[1:2]
	s_add_i32 s7, s7, s6
	v_or_b32_e32 v4, s1, v0
	s_mul_i32 s6, s14, s1
	s_add_i32 s7, s7, s11
	s_mov_b32 s11, s5
	v_add_co_u32 v1, vcc_lo, s0, v1
	v_add_co_ci_u32_e32 v2, vcc_lo, s10, v2, vcc_lo
	s_lshl_b64 s[6:7], s[6:7], 1
	s_mov_b32 s10, s5
	.p2align	6
.LBB37_2:                               ; =>This Inner Loop Header: Depth=1
	global_load_u16 v5, v[1:2], off
	s_add_i32 s12, s11, 1
	v_cmp_le_i32_e32 vcc_lo, s8, v4
	v_add_co_u32 v1, s0, v1, s6
	s_cmp_gt_u32 s11, 30
	v_add_co_ci_u32_e64 v2, s0, s7, v2, s0
	s_cselect_b32 s0, -1, 0
	s_mov_b32 s11, s12
	s_or_b32 s0, s0, vcc_lo
	s_delay_alu instid0(SALU_CYCLE_1) | instskip(NEXT) | instid1(SALU_CYCLE_1)
	s_and_b32 s0, exec_lo, s0
	s_or_b32 s10, s0, s10
	s_waitcnt vmcnt(0)
	v_lshlrev_b32_e32 v5, 16, v5
	s_delay_alu instid0(VALU_DEP_1)
	v_dual_fmac_f32 v3, v5, v5 :: v_dual_add_nc_u32 v4, s1, v4
	s_and_not1_b32 exec_lo, exec_lo, s10
	s_cbranch_execnz .LBB37_2
; %bb.3:
	s_or_b32 exec_lo, exec_lo, s10
.LBB37_4:
	s_delay_alu instid0(SALU_CYCLE_1) | instskip(SKIP_2) | instid1(VALU_DEP_2)
	s_or_b32 exec_lo, exec_lo, s9
	v_and_b32_e32 v5, 31, v0
	v_cmp_gt_u32_e32 vcc_lo, 32, v0
	v_lshlrev_b32_e32 v1, 2, v5
	s_and_saveexec_b32 s0, vcc_lo
	s_cbranch_execz .LBB37_6
; %bb.5:
	v_mov_b32_e32 v2, 0
	ds_store_b32 v1, v2
.LBB37_6:
	s_or_b32 exec_lo, exec_lo, s0
	v_mbcnt_lo_u32_b32 v7, -1, 0
	s_mov_b32 s1, exec_lo
	s_waitcnt lgkmcnt(0)
	s_barrier
	buffer_gl0_inv
	v_cmp_gt_u32_e64 s0, 16, v7
	s_delay_alu instid0(VALU_DEP_1) | instskip(SKIP_1) | instid1(VALU_DEP_2)
	v_cndmask_b32_e64 v2, 0, 1, s0
	v_cmp_gt_u32_e64 s0, 24, v7
	v_lshlrev_b32_e32 v2, 4, v2
	s_delay_alu instid0(VALU_DEP_2) | instskip(SKIP_1) | instid1(VALU_DEP_3)
	v_cndmask_b32_e64 v4, 0, 1, s0
	v_cmp_gt_u32_e64 s0, 28, v7
	v_add_lshl_u32 v2, v2, v7, 2
	s_delay_alu instid0(VALU_DEP_3)
	v_lshlrev_b32_e32 v4, 3, v4
	ds_bpermute_b32 v6, v2, v3
	v_add_lshl_u32 v4, v4, v7, 2
	s_waitcnt lgkmcnt(0)
	v_add_f32_e32 v6, v3, v6
	v_cndmask_b32_e64 v3, 0, 1, s0
	v_cmp_gt_u32_e64 s0, 30, v7
	s_delay_alu instid0(VALU_DEP_2)
	v_lshlrev_b32_e32 v3, 2, v3
	ds_bpermute_b32 v8, v4, v6
	v_add_lshl_u32 v3, v3, v7, 2
	s_waitcnt lgkmcnt(0)
	v_add_f32_e32 v8, v6, v8
	v_cndmask_b32_e64 v6, 0, 1, s0
	v_cmp_ne_u32_e64 s0, 31, v7
	s_delay_alu instid0(VALU_DEP_2) | instskip(NEXT) | instid1(VALU_DEP_1)
	v_lshlrev_b32_e32 v6, 1, v6
	v_add_lshl_u32 v6, v6, v7, 2
	s_delay_alu instid0(VALU_DEP_3) | instskip(NEXT) | instid1(VALU_DEP_1)
	v_add_co_ci_u32_e64 v7, s0, 0, v7, s0
	v_lshlrev_b32_e32 v7, 2, v7
	ds_bpermute_b32 v9, v3, v8
	s_waitcnt lgkmcnt(0)
	v_add_f32_e32 v8, v8, v9
	ds_bpermute_b32 v9, v6, v8
	s_waitcnt lgkmcnt(0)
	v_add_f32_e32 v8, v8, v9
	ds_bpermute_b32 v9, v7, v8
	v_cmpx_eq_u32_e32 0, v5
	s_cbranch_execz .LBB37_8
; %bb.7:
	v_lshrrev_b32_e32 v5, 3, v0
	s_waitcnt lgkmcnt(0)
	v_add_f32_e32 v8, v8, v9
	s_delay_alu instid0(VALU_DEP_2)
	v_and_b32_e32 v5, 0x7c, v5
	ds_store_b32 v5, v8
.LBB37_8:
	s_or_b32 exec_lo, exec_lo, s1
	v_mov_b32_e32 v5, 0
	s_waitcnt lgkmcnt(0)
	s_barrier
	buffer_gl0_inv
	s_and_saveexec_b32 s0, vcc_lo
	s_cbranch_execz .LBB37_10
; %bb.9:
	ds_load_b32 v5, v1
.LBB37_10:
	s_or_b32 exec_lo, exec_lo, s0
	s_and_saveexec_b32 s0, vcc_lo
	s_cbranch_execz .LBB37_12
; %bb.11:
	s_waitcnt lgkmcnt(0)
	ds_bpermute_b32 v1, v2, v5
	s_waitcnt lgkmcnt(0)
	v_add_f32_e32 v1, v5, v1
	ds_bpermute_b32 v2, v4, v1
	s_waitcnt lgkmcnt(0)
	v_add_f32_e32 v1, v1, v2
	;; [unrolled: 3-line block ×5, first 2 shown]
.LBB37_12:
	s_or_b32 exec_lo, exec_lo, s0
	s_delay_alu instid0(SALU_CYCLE_1)
	s_mov_b32 s0, exec_lo
	v_cmpx_eq_u32_e32 0, v0
	s_cbranch_execz .LBB37_18
; %bb.13:
	s_waitcnt lgkmcnt(0)
	v_and_b32_e32 v0, 0x7f800000, v5
	s_delay_alu instid0(VALU_DEP_1) | instskip(SKIP_1) | instid1(SALU_CYCLE_1)
	v_cmp_ne_u32_e32 vcc_lo, 0x7f800000, v0
                                        ; implicit-def: $vgpr0
	s_and_saveexec_b32 s0, vcc_lo
	s_xor_b32 s0, exec_lo, s0
; %bb.14:
	v_bfe_u32 v0, v5, 16, 1
	s_delay_alu instid0(VALU_DEP_1)
	v_add3_u32 v0, v5, v0, 0x7fff
                                        ; implicit-def: $vgpr5
; %bb.15:
	s_and_not1_saveexec_b32 s0, s0
; %bb.16:
	v_and_b32_e32 v0, 0xffff, v5
	v_or_b32_e32 v1, 0x10000, v5
	s_delay_alu instid0(VALU_DEP_2) | instskip(NEXT) | instid1(VALU_DEP_2)
	v_cmp_eq_u32_e32 vcc_lo, 0, v0
	v_cndmask_b32_e32 v0, v1, v5, vcc_lo
; %bb.17:
	s_or_b32 exec_lo, exec_lo, s0
	s_lshl_b64 s[0:1], s[4:5], 1
	v_mov_b32_e32 v1, 0
	s_add_u32 s0, s2, s0
	s_addc_u32 s1, s3, s1
	global_store_d16_hi_b16 v1, v0, s[0:1]
.LBB37_18:
	s_nop 0
	s_sendmsg sendmsg(MSG_DEALLOC_VGPRS)
	s_endpgm
	.section	.rodata,"a",@progbits
	.p2align	6, 0x0
	.amdhsa_kernel _ZL24rocblas_dot_kernel_magsqIlLb1ELi1024ELi32ELb0E16rocblas_bfloat16PKS0_fEviT5_lT_liPT6_PT4_
		.amdhsa_group_segment_fixed_size 128
		.amdhsa_private_segment_fixed_size 0
		.amdhsa_kernarg_size 320
		.amdhsa_user_sgpr_count 14
		.amdhsa_user_sgpr_dispatch_ptr 0
		.amdhsa_user_sgpr_queue_ptr 0
		.amdhsa_user_sgpr_kernarg_segment_ptr 1
		.amdhsa_user_sgpr_dispatch_id 0
		.amdhsa_user_sgpr_private_segment_size 0
		.amdhsa_wavefront_size32 1
		.amdhsa_uses_dynamic_stack 0
		.amdhsa_enable_private_segment 0
		.amdhsa_system_sgpr_workgroup_id_x 1
		.amdhsa_system_sgpr_workgroup_id_y 0
		.amdhsa_system_sgpr_workgroup_id_z 1
		.amdhsa_system_sgpr_workgroup_info 0
		.amdhsa_system_vgpr_workitem_id 0
		.amdhsa_next_free_vgpr 10
		.amdhsa_next_free_sgpr 17
		.amdhsa_reserve_vcc 1
		.amdhsa_float_round_mode_32 0
		.amdhsa_float_round_mode_16_64 0
		.amdhsa_float_denorm_mode_32 3
		.amdhsa_float_denorm_mode_16_64 3
		.amdhsa_dx10_clamp 1
		.amdhsa_ieee_mode 1
		.amdhsa_fp16_overflow 0
		.amdhsa_workgroup_processor_mode 1
		.amdhsa_memory_ordered 1
		.amdhsa_forward_progress 0
		.amdhsa_shared_vgpr_count 0
		.amdhsa_exception_fp_ieee_invalid_op 0
		.amdhsa_exception_fp_denorm_src 0
		.amdhsa_exception_fp_ieee_div_zero 0
		.amdhsa_exception_fp_ieee_overflow 0
		.amdhsa_exception_fp_ieee_underflow 0
		.amdhsa_exception_fp_ieee_inexact 0
		.amdhsa_exception_int_div_zero 0
	.end_amdhsa_kernel
	.section	.text._ZL24rocblas_dot_kernel_magsqIlLb1ELi1024ELi32ELb0E16rocblas_bfloat16PKS0_fEviT5_lT_liPT6_PT4_,"axG",@progbits,_ZL24rocblas_dot_kernel_magsqIlLb1ELi1024ELi32ELb0E16rocblas_bfloat16PKS0_fEviT5_lT_liPT6_PT4_,comdat
.Lfunc_end37:
	.size	_ZL24rocblas_dot_kernel_magsqIlLb1ELi1024ELi32ELb0E16rocblas_bfloat16PKS0_fEviT5_lT_liPT6_PT4_, .Lfunc_end37-_ZL24rocblas_dot_kernel_magsqIlLb1ELi1024ELi32ELb0E16rocblas_bfloat16PKS0_fEviT5_lT_liPT6_PT4_
                                        ; -- End function
	.section	.AMDGPU.csdata,"",@progbits
; Kernel info:
; codeLenInByte = 948
; NumSgprs: 19
; NumVgprs: 10
; ScratchSize: 0
; MemoryBound: 0
; FloatMode: 240
; IeeeMode: 1
; LDSByteSize: 128 bytes/workgroup (compile time only)
; SGPRBlocks: 2
; VGPRBlocks: 1
; NumSGPRsForWavesPerEU: 19
; NumVGPRsForWavesPerEU: 10
; Occupancy: 16
; WaveLimiterHint : 0
; COMPUTE_PGM_RSRC2:SCRATCH_EN: 0
; COMPUTE_PGM_RSRC2:USER_SGPR: 14
; COMPUTE_PGM_RSRC2:TRAP_HANDLER: 0
; COMPUTE_PGM_RSRC2:TGID_X_EN: 1
; COMPUTE_PGM_RSRC2:TGID_Y_EN: 0
; COMPUTE_PGM_RSRC2:TGID_Z_EN: 1
; COMPUTE_PGM_RSRC2:TIDIG_COMP_CNT: 0
	.section	.text._ZL38rocblas_dot_kernel_gfx942_float_doubleIlLi1024E16rocblas_bfloat16PKS0_fEviT2_lT_lS3_lS4_lPT3_PT1_,"axG",@progbits,_ZL38rocblas_dot_kernel_gfx942_float_doubleIlLi1024E16rocblas_bfloat16PKS0_fEviT2_lT_lS3_lS4_lPT3_PT1_,comdat
	.globl	_ZL38rocblas_dot_kernel_gfx942_float_doubleIlLi1024E16rocblas_bfloat16PKS0_fEviT2_lT_lS3_lS4_lPT3_PT1_ ; -- Begin function _ZL38rocblas_dot_kernel_gfx942_float_doubleIlLi1024E16rocblas_bfloat16PKS0_fEviT2_lT_lS3_lS4_lPT3_PT1_
	.p2align	8
	.type	_ZL38rocblas_dot_kernel_gfx942_float_doubleIlLi1024E16rocblas_bfloat16PKS0_fEviT2_lT_lS3_lS4_lPT3_PT1_,@function
_ZL38rocblas_dot_kernel_gfx942_float_doubleIlLi1024E16rocblas_bfloat16PKS0_fEviT2_lT_lS3_lS4_lPT3_PT1_: ; @_ZL38rocblas_dot_kernel_gfx942_float_doubleIlLi1024E16rocblas_bfloat16PKS0_fEviT2_lT_lS3_lS4_lPT3_PT1_
; %bb.0:
	s_endpgm
	.section	.rodata,"a",@progbits
	.p2align	6, 0x0
	.amdhsa_kernel _ZL38rocblas_dot_kernel_gfx942_float_doubleIlLi1024E16rocblas_bfloat16PKS0_fEviT2_lT_lS3_lS4_lPT3_PT1_
		.amdhsa_group_segment_fixed_size 0
		.amdhsa_private_segment_fixed_size 0
		.amdhsa_kernarg_size 88
		.amdhsa_user_sgpr_count 15
		.amdhsa_user_sgpr_dispatch_ptr 0
		.amdhsa_user_sgpr_queue_ptr 0
		.amdhsa_user_sgpr_kernarg_segment_ptr 1
		.amdhsa_user_sgpr_dispatch_id 0
		.amdhsa_user_sgpr_private_segment_size 0
		.amdhsa_wavefront_size32 1
		.amdhsa_uses_dynamic_stack 0
		.amdhsa_enable_private_segment 0
		.amdhsa_system_sgpr_workgroup_id_x 1
		.amdhsa_system_sgpr_workgroup_id_y 0
		.amdhsa_system_sgpr_workgroup_id_z 0
		.amdhsa_system_sgpr_workgroup_info 0
		.amdhsa_system_vgpr_workitem_id 0
		.amdhsa_next_free_vgpr 1
		.amdhsa_next_free_sgpr 1
		.amdhsa_reserve_vcc 0
		.amdhsa_float_round_mode_32 0
		.amdhsa_float_round_mode_16_64 0
		.amdhsa_float_denorm_mode_32 3
		.amdhsa_float_denorm_mode_16_64 3
		.amdhsa_dx10_clamp 1
		.amdhsa_ieee_mode 1
		.amdhsa_fp16_overflow 0
		.amdhsa_workgroup_processor_mode 1
		.amdhsa_memory_ordered 1
		.amdhsa_forward_progress 0
		.amdhsa_shared_vgpr_count 0
		.amdhsa_exception_fp_ieee_invalid_op 0
		.amdhsa_exception_fp_denorm_src 0
		.amdhsa_exception_fp_ieee_div_zero 0
		.amdhsa_exception_fp_ieee_overflow 0
		.amdhsa_exception_fp_ieee_underflow 0
		.amdhsa_exception_fp_ieee_inexact 0
		.amdhsa_exception_int_div_zero 0
	.end_amdhsa_kernel
	.section	.text._ZL38rocblas_dot_kernel_gfx942_float_doubleIlLi1024E16rocblas_bfloat16PKS0_fEviT2_lT_lS3_lS4_lPT3_PT1_,"axG",@progbits,_ZL38rocblas_dot_kernel_gfx942_float_doubleIlLi1024E16rocblas_bfloat16PKS0_fEviT2_lT_lS3_lS4_lPT3_PT1_,comdat
.Lfunc_end38:
	.size	_ZL38rocblas_dot_kernel_gfx942_float_doubleIlLi1024E16rocblas_bfloat16PKS0_fEviT2_lT_lS3_lS4_lPT3_PT1_, .Lfunc_end38-_ZL38rocblas_dot_kernel_gfx942_float_doubleIlLi1024E16rocblas_bfloat16PKS0_fEviT2_lT_lS3_lS4_lPT3_PT1_
                                        ; -- End function
	.section	.AMDGPU.csdata,"",@progbits
; Kernel info:
; codeLenInByte = 4
; NumSgprs: 0
; NumVgprs: 0
; ScratchSize: 0
; MemoryBound: 0
; FloatMode: 240
; IeeeMode: 1
; LDSByteSize: 0 bytes/workgroup (compile time only)
; SGPRBlocks: 0
; VGPRBlocks: 0
; NumSGPRsForWavesPerEU: 1
; NumVGPRsForWavesPerEU: 1
; Occupancy: 16
; WaveLimiterHint : 0
; COMPUTE_PGM_RSRC2:SCRATCH_EN: 0
; COMPUTE_PGM_RSRC2:USER_SGPR: 15
; COMPUTE_PGM_RSRC2:TRAP_HANDLER: 0
; COMPUTE_PGM_RSRC2:TGID_X_EN: 1
; COMPUTE_PGM_RSRC2:TGID_Y_EN: 0
; COMPUTE_PGM_RSRC2:TGID_Z_EN: 0
; COMPUTE_PGM_RSRC2:TIDIG_COMP_CNT: 0
	.section	.text._ZL18rocblas_dot_kernelIlLb0ELi512ELi8ELb0E16rocblas_bfloat16PKS0_fEviT5_lT_lS3_lS4_liPT6_PT4_,"axG",@progbits,_ZL18rocblas_dot_kernelIlLb0ELi512ELi8ELb0E16rocblas_bfloat16PKS0_fEviT5_lT_lS3_lS4_liPT6_PT4_,comdat
	.globl	_ZL18rocblas_dot_kernelIlLb0ELi512ELi8ELb0E16rocblas_bfloat16PKS0_fEviT5_lT_lS3_lS4_liPT6_PT4_ ; -- Begin function _ZL18rocblas_dot_kernelIlLb0ELi512ELi8ELb0E16rocblas_bfloat16PKS0_fEviT5_lT_lS3_lS4_liPT6_PT4_
	.p2align	8
	.type	_ZL18rocblas_dot_kernelIlLb0ELi512ELi8ELb0E16rocblas_bfloat16PKS0_fEviT5_lT_lS3_lS4_liPT6_PT4_,@function
_ZL18rocblas_dot_kernelIlLb0ELi512ELi8ELb0E16rocblas_bfloat16PKS0_fEviT5_lT_lS3_lS4_liPT6_PT4_: ; @_ZL18rocblas_dot_kernelIlLb0ELi512ELi8ELb0E16rocblas_bfloat16PKS0_fEviT5_lT_lS3_lS4_liPT6_PT4_
; %bb.0:
	s_clause 0x2
	s_load_b32 s12, s[0:1], 0x60
	s_load_b32 s13, s[0:1], 0x0
	s_load_b128 s[16:19], s[0:1], 0x50
	v_lshl_or_b32 v1, s14, 9, v0
	v_mov_b32_e32 v6, 0
	s_mov_b32 s2, s15
	s_mov_b32 s3, 0
	s_mov_b32 s15, exec_lo
	s_waitcnt lgkmcnt(0)
	v_cmpx_gt_i32_e64 s13, v1
	s_cbranch_execz .LBB39_4
; %bb.1:
	s_clause 0x2
	s_load_b128 s[20:23], s[0:1], 0x10
	s_load_b256 s[4:11], s[0:1], 0x20
	s_load_b64 s[26:27], s[0:1], 0x8
	v_ashrrev_i32_e32 v4, 31, v1
	s_load_b64 s[0:1], s[0:1], 0x40
	s_lshl_b32 s24, s12, 9
	s_delay_alu instid0(SALU_CYCLE_1)
	v_add_nc_u32_e32 v5, s24, v1
	s_waitcnt lgkmcnt(0)
	v_mul_lo_u32 v8, s23, v1
	v_mul_lo_u32 v9, s22, v4
	v_mad_u64_u32 v[2:3], null, s22, v1, 0
	s_mul_i32 s5, s5, s2
	s_mul_hi_u32 s25, s4, s2
	s_mul_i32 s4, s4, s2
	v_mul_lo_u32 v10, s11, v1
	v_mul_lo_u32 v4, s10, v4
	s_add_i32 s5, s25, s5
	s_delay_alu instid0(VALU_DEP_3)
	v_add3_u32 v3, v3, v9, v8
	v_mad_u64_u32 v[6:7], null, s10, v1, 0
	s_lshl_b64 s[20:21], s[20:21], 1
	s_lshl_b64 s[4:5], s[4:5], 1
	s_add_u32 s20, s26, s20
	s_addc_u32 s21, s27, s21
	v_lshlrev_b64 v[1:2], 1, v[2:3]
	s_add_u32 s20, s20, s4
	s_addc_u32 s21, s21, s5
	s_ashr_i32 s25, s24, 31
	s_mul_hi_u32 s4, s22, s24
	s_mul_i32 s5, s22, s25
	v_add3_u32 v7, v7, v4, v10
	s_mul_i32 s23, s23, s24
	s_add_i32 s5, s4, s5
	v_add_co_u32 v1, vcc_lo, s20, v1
	s_mul_i32 s1, s1, s2
	s_mul_hi_u32 s20, s0, s2
	s_mul_i32 s4, s22, s24
	s_add_i32 s5, s5, s23
	s_add_i32 s1, s20, s1
	s_mul_i32 s0, s0, s2
	v_lshlrev_b64 v[3:4], 1, v[6:7]
	v_mov_b32_e32 v6, 0
	s_lshl_b64 s[8:9], s[8:9], 1
	s_lshl_b64 s[4:5], s[4:5], 1
	;; [unrolled: 1-line block ×3, first 2 shown]
	s_add_u32 s6, s6, s8
	s_addc_u32 s7, s7, s9
	s_add_u32 s0, s6, s0
	v_add_co_ci_u32_e32 v2, vcc_lo, s21, v2, vcc_lo
	s_mul_i32 s6, s10, s25
	s_mul_hi_u32 s8, s10, s24
	s_addc_u32 s1, s7, s1
	v_add_co_u32 v3, vcc_lo, s0, v3
	s_add_i32 s6, s8, s6
	s_mul_i32 s7, s11, s24
	v_add_co_ci_u32_e32 v4, vcc_lo, s1, v4, vcc_lo
	s_add_i32 s1, s6, s7
	s_mul_i32 s0, s10, s24
	s_mov_b32 s8, s3
	s_lshl_b64 s[6:7], s[0:1], 1
	s_mov_b32 s1, s3
	.p2align	6
.LBB39_2:                               ; =>This Inner Loop Header: Depth=1
	global_load_u16 v7, v[1:2], off
	global_load_u16 v8, v[3:4], off
	v_add_co_u32 v1, s0, v1, s4
	s_delay_alu instid0(VALU_DEP_1)
	v_add_co_ci_u32_e64 v2, s0, s5, v2, s0
	s_add_i32 s9, s8, 1
	v_cmp_le_i32_e32 vcc_lo, s13, v5
	v_add_co_u32 v3, s0, v3, s6
	s_cmp_gt_u32 s8, 6
	v_add_co_ci_u32_e64 v4, s0, s7, v4, s0
	s_cselect_b32 s0, -1, 0
	s_mov_b32 s8, s9
	s_or_b32 s0, s0, vcc_lo
	s_delay_alu instid0(SALU_CYCLE_1) | instskip(NEXT) | instid1(SALU_CYCLE_1)
	s_and_b32 s0, exec_lo, s0
	s_or_b32 s1, s0, s1
	s_waitcnt vmcnt(1)
	v_lshlrev_b32_e32 v7, 16, v7
	s_waitcnt vmcnt(0)
	v_lshlrev_b32_e32 v8, 16, v8
	s_delay_alu instid0(VALU_DEP_1)
	v_dual_fmac_f32 v6, v8, v7 :: v_dual_add_nc_u32 v5, s24, v5
	s_and_not1_b32 exec_lo, exec_lo, s1
	s_cbranch_execnz .LBB39_2
; %bb.3:
	s_or_b32 exec_lo, exec_lo, s1
.LBB39_4:
	s_delay_alu instid0(SALU_CYCLE_1) | instskip(SKIP_2) | instid1(VALU_DEP_2)
	s_or_b32 exec_lo, exec_lo, s15
	v_and_b32_e32 v1, 31, v0
	v_cmp_gt_u32_e32 vcc_lo, 32, v0
	v_lshlrev_b32_e32 v2, 2, v1
	s_and_saveexec_b32 s0, vcc_lo
	s_cbranch_execz .LBB39_6
; %bb.5:
	v_mov_b32_e32 v3, 0
	ds_store_b32 v2, v3
.LBB39_6:
	s_or_b32 exec_lo, exec_lo, s0
	v_mbcnt_lo_u32_b32 v7, -1, 0
	s_mov_b32 s1, exec_lo
	s_waitcnt lgkmcnt(0)
	s_barrier
	buffer_gl0_inv
	v_cmp_gt_u32_e64 s0, 16, v7
	s_delay_alu instid0(VALU_DEP_1) | instskip(SKIP_1) | instid1(VALU_DEP_2)
	v_cndmask_b32_e64 v3, 0, 1, s0
	v_cmp_gt_u32_e64 s0, 24, v7
	v_lshlrev_b32_e32 v3, 4, v3
	s_delay_alu instid0(VALU_DEP_1) | instskip(SKIP_3) | instid1(VALU_DEP_2)
	v_add_lshl_u32 v3, v3, v7, 2
	ds_bpermute_b32 v4, v3, v6
	v_cndmask_b32_e64 v3, 0, 1, s0
	v_cmp_gt_u32_e64 s0, 28, v7
	v_lshlrev_b32_e32 v3, 3, v3
	s_delay_alu instid0(VALU_DEP_1)
	v_add_lshl_u32 v3, v3, v7, 2
	s_waitcnt lgkmcnt(0)
	v_add_f32_e32 v5, v6, v4
	v_cndmask_b32_e64 v4, 0, 1, s0
	v_cmp_gt_u32_e64 s0, 30, v7
	ds_bpermute_b32 v6, v3, v5
	v_lshlrev_b32_e32 v4, 2, v4
	s_delay_alu instid0(VALU_DEP_1)
	v_add_lshl_u32 v4, v4, v7, 2
	s_waitcnt lgkmcnt(0)
	v_add_f32_e32 v6, v5, v6
	v_cndmask_b32_e64 v5, 0, 1, s0
	v_cmp_ne_u32_e64 s0, 31, v7
	ds_bpermute_b32 v8, v4, v6
	v_lshlrev_b32_e32 v5, 1, v5
	v_add_co_ci_u32_e64 v9, s0, 0, v7, s0
	s_delay_alu instid0(VALU_DEP_2)
	v_add_lshl_u32 v5, v5, v7, 2
	s_waitcnt lgkmcnt(0)
	v_add_f32_e32 v6, v6, v8
	ds_bpermute_b32 v8, v5, v6
	s_waitcnt lgkmcnt(0)
	v_dual_add_f32 v7, v6, v8 :: v_dual_lshlrev_b32 v6, 2, v9
	ds_bpermute_b32 v8, v6, v7
	v_cmpx_eq_u32_e32 0, v1
	s_cbranch_execz .LBB39_8
; %bb.7:
	v_lshrrev_b32_e32 v1, 3, v0
	s_waitcnt lgkmcnt(0)
	v_add_f32_e32 v7, v7, v8
	s_delay_alu instid0(VALU_DEP_2)
	v_and_b32_e32 v1, 60, v1
	ds_store_b32 v1, v7
.LBB39_8:
	s_or_b32 exec_lo, exec_lo, s1
	v_mov_b32_e32 v1, 0
	s_mov_b32 s1, exec_lo
	s_waitcnt lgkmcnt(0)
	s_barrier
	buffer_gl0_inv
	v_cmpx_gt_u32_e32 16, v0
	s_cbranch_execz .LBB39_10
; %bb.9:
	ds_load_b32 v1, v2
.LBB39_10:
	s_or_b32 exec_lo, exec_lo, s1
	s_and_saveexec_b32 s0, vcc_lo
	s_cbranch_execz .LBB39_12
; %bb.11:
	s_waitcnt lgkmcnt(0)
	ds_bpermute_b32 v2, v3, v1
	s_waitcnt lgkmcnt(0)
	v_add_f32_e32 v1, v1, v2
	ds_bpermute_b32 v2, v4, v1
	s_waitcnt lgkmcnt(0)
	v_add_f32_e32 v1, v1, v2
	ds_bpermute_b32 v2, v5, v1
	s_waitcnt lgkmcnt(0)
	v_add_f32_e32 v1, v1, v2
	ds_bpermute_b32 v2, v6, v1
	s_waitcnt lgkmcnt(0)
	v_add_f32_e32 v1, v1, v2
.LBB39_12:
	s_or_b32 exec_lo, exec_lo, s0
	s_delay_alu instid0(SALU_CYCLE_1)
	s_mov_b32 s0, exec_lo
	v_cmpx_eq_u32_e32 0, v0
	s_cbranch_execz .LBB39_21
; %bb.13:
	s_cmp_lg_u32 s12, 1
	s_mov_b32 s15, -1
	s_cbranch_scc0 .LBB39_15
; %bb.14:
	s_mul_hi_u32 s1, s12, s2
	s_mul_i32 s0, s12, s2
	s_mov_b32 s15, 0
	s_lshl_b64 s[0:1], s[0:1], 2
	v_mov_b32_e32 v0, 0
	s_add_u32 s4, s16, s0
	s_addc_u32 s5, s17, s1
	s_lshl_b64 s[0:1], s[14:15], 2
	s_delay_alu instid0(SALU_CYCLE_1)
	s_add_u32 s0, s4, s0
	s_addc_u32 s1, s5, s1
	s_waitcnt lgkmcnt(0)
	global_store_b32 v0, v1, s[0:1]
.LBB39_15:
	s_and_not1_b32 vcc_lo, exec_lo, s15
	s_cbranch_vccnz .LBB39_21
; %bb.16:
	s_waitcnt lgkmcnt(0)
	v_and_b32_e32 v0, 0x7f800000, v1
	s_delay_alu instid0(VALU_DEP_1) | instskip(SKIP_1) | instid1(SALU_CYCLE_1)
	v_cmp_ne_u32_e32 vcc_lo, 0x7f800000, v0
                                        ; implicit-def: $vgpr0
	s_and_saveexec_b32 s0, vcc_lo
	s_xor_b32 s0, exec_lo, s0
; %bb.17:
	v_bfe_u32 v0, v1, 16, 1
	s_delay_alu instid0(VALU_DEP_1)
	v_add3_u32 v0, v1, v0, 0x7fff
                                        ; implicit-def: $vgpr1
; %bb.18:
	s_and_not1_saveexec_b32 s0, s0
; %bb.19:
	v_and_b32_e32 v0, 0xffff, v1
	v_or_b32_e32 v2, 0x10000, v1
	s_delay_alu instid0(VALU_DEP_2) | instskip(NEXT) | instid1(VALU_DEP_2)
	v_cmp_eq_u32_e32 vcc_lo, 0, v0
	v_cndmask_b32_e32 v0, v2, v1, vcc_lo
; %bb.20:
	s_or_b32 exec_lo, exec_lo, s0
	s_lshl_b64 s[0:1], s[2:3], 1
	v_mov_b32_e32 v1, 0
	s_add_u32 s0, s18, s0
	s_addc_u32 s1, s19, s1
	global_store_d16_hi_b16 v1, v0, s[0:1]
.LBB39_21:
	s_nop 0
	s_sendmsg sendmsg(MSG_DEALLOC_VGPRS)
	s_endpgm
	.section	.rodata,"a",@progbits
	.p2align	6, 0x0
	.amdhsa_kernel _ZL18rocblas_dot_kernelIlLb0ELi512ELi8ELb0E16rocblas_bfloat16PKS0_fEviT5_lT_lS3_lS4_liPT6_PT4_
		.amdhsa_group_segment_fixed_size 128
		.amdhsa_private_segment_fixed_size 0
		.amdhsa_kernarg_size 352
		.amdhsa_user_sgpr_count 14
		.amdhsa_user_sgpr_dispatch_ptr 0
		.amdhsa_user_sgpr_queue_ptr 0
		.amdhsa_user_sgpr_kernarg_segment_ptr 1
		.amdhsa_user_sgpr_dispatch_id 0
		.amdhsa_user_sgpr_private_segment_size 0
		.amdhsa_wavefront_size32 1
		.amdhsa_uses_dynamic_stack 0
		.amdhsa_enable_private_segment 0
		.amdhsa_system_sgpr_workgroup_id_x 1
		.amdhsa_system_sgpr_workgroup_id_y 0
		.amdhsa_system_sgpr_workgroup_id_z 1
		.amdhsa_system_sgpr_workgroup_info 0
		.amdhsa_system_vgpr_workitem_id 0
		.amdhsa_next_free_vgpr 11
		.amdhsa_next_free_sgpr 28
		.amdhsa_reserve_vcc 1
		.amdhsa_float_round_mode_32 0
		.amdhsa_float_round_mode_16_64 0
		.amdhsa_float_denorm_mode_32 3
		.amdhsa_float_denorm_mode_16_64 3
		.amdhsa_dx10_clamp 1
		.amdhsa_ieee_mode 1
		.amdhsa_fp16_overflow 0
		.amdhsa_workgroup_processor_mode 1
		.amdhsa_memory_ordered 1
		.amdhsa_forward_progress 0
		.amdhsa_shared_vgpr_count 0
		.amdhsa_exception_fp_ieee_invalid_op 0
		.amdhsa_exception_fp_denorm_src 0
		.amdhsa_exception_fp_ieee_div_zero 0
		.amdhsa_exception_fp_ieee_overflow 0
		.amdhsa_exception_fp_ieee_underflow 0
		.amdhsa_exception_fp_ieee_inexact 0
		.amdhsa_exception_int_div_zero 0
	.end_amdhsa_kernel
	.section	.text._ZL18rocblas_dot_kernelIlLb0ELi512ELi8ELb0E16rocblas_bfloat16PKS0_fEviT5_lT_lS3_lS4_liPT6_PT4_,"axG",@progbits,_ZL18rocblas_dot_kernelIlLb0ELi512ELi8ELb0E16rocblas_bfloat16PKS0_fEviT5_lT_lS3_lS4_liPT6_PT4_,comdat
.Lfunc_end39:
	.size	_ZL18rocblas_dot_kernelIlLb0ELi512ELi8ELb0E16rocblas_bfloat16PKS0_fEviT5_lT_lS3_lS4_liPT6_PT4_, .Lfunc_end39-_ZL18rocblas_dot_kernelIlLb0ELi512ELi8ELb0E16rocblas_bfloat16PKS0_fEviT5_lT_lS3_lS4_liPT6_PT4_
                                        ; -- End function
	.section	.AMDGPU.csdata,"",@progbits
; Kernel info:
; codeLenInByte = 1192
; NumSgprs: 30
; NumVgprs: 11
; ScratchSize: 0
; MemoryBound: 0
; FloatMode: 240
; IeeeMode: 1
; LDSByteSize: 128 bytes/workgroup (compile time only)
; SGPRBlocks: 3
; VGPRBlocks: 1
; NumSGPRsForWavesPerEU: 30
; NumVGPRsForWavesPerEU: 11
; Occupancy: 16
; WaveLimiterHint : 0
; COMPUTE_PGM_RSRC2:SCRATCH_EN: 0
; COMPUTE_PGM_RSRC2:USER_SGPR: 14
; COMPUTE_PGM_RSRC2:TRAP_HANDLER: 0
; COMPUTE_PGM_RSRC2:TGID_X_EN: 1
; COMPUTE_PGM_RSRC2:TGID_Y_EN: 0
; COMPUTE_PGM_RSRC2:TGID_Z_EN: 1
; COMPUTE_PGM_RSRC2:TIDIG_COMP_CNT: 0
	.section	.text._ZL24rocblas_dot_kernel_magsqIlLb0ELi512ELi8ELb0E16rocblas_bfloat16PKS0_fEviT5_lT_liPT6_PT4_,"axG",@progbits,_ZL24rocblas_dot_kernel_magsqIlLb0ELi512ELi8ELb0E16rocblas_bfloat16PKS0_fEviT5_lT_liPT6_PT4_,comdat
	.globl	_ZL24rocblas_dot_kernel_magsqIlLb0ELi512ELi8ELb0E16rocblas_bfloat16PKS0_fEviT5_lT_liPT6_PT4_ ; -- Begin function _ZL24rocblas_dot_kernel_magsqIlLb0ELi512ELi8ELb0E16rocblas_bfloat16PKS0_fEviT5_lT_liPT6_PT4_
	.p2align	8
	.type	_ZL24rocblas_dot_kernel_magsqIlLb0ELi512ELi8ELb0E16rocblas_bfloat16PKS0_fEviT5_lT_liPT6_PT4_,@function
_ZL24rocblas_dot_kernel_magsqIlLb0ELi512ELi8ELb0E16rocblas_bfloat16PKS0_fEviT5_lT_liPT6_PT4_: ; @_ZL24rocblas_dot_kernel_magsqIlLb0ELi512ELi8ELb0E16rocblas_bfloat16PKS0_fEviT5_lT_liPT6_PT4_
; %bb.0:
	s_clause 0x2
	s_load_b32 s11, s[0:1], 0x0
	s_load_b128 s[4:7], s[0:1], 0x30
	s_load_b32 s10, s[0:1], 0x40
	v_lshl_or_b32 v1, s14, 9, v0
	v_mov_b32_e32 v3, 0
	s_mov_b32 s2, s15
	s_mov_b32 s3, 0
	s_mov_b32 s12, exec_lo
	s_waitcnt lgkmcnt(0)
	v_cmpx_gt_i32_e64 s11, v1
	s_cbranch_execz .LBB40_4
; %bb.1:
	s_clause 0x2
	s_load_b128 s[16:19], s[0:1], 0x10
	s_load_b64 s[8:9], s[0:1], 0x20
	s_load_b64 s[20:21], s[0:1], 0x8
	v_ashrrev_i32_e32 v2, 31, v1
	s_lshl_b32 s1, s10, 9
	s_delay_alu instid0(SALU_CYCLE_1)
	v_add_nc_u32_e32 v4, s1, v1
	s_waitcnt lgkmcnt(0)
	v_mul_lo_u32 v5, s19, v1
	v_mul_lo_u32 v6, s18, v2
	v_mad_u64_u32 v[2:3], null, s18, v1, 0
	s_mul_i32 s0, s9, s2
	s_mul_hi_u32 s9, s8, s2
	s_mul_i32 s8, s8, s2
	s_add_i32 s9, s9, s0
	s_lshl_b64 s[16:17], s[16:17], 1
	s_lshl_b64 s[8:9], s[8:9], 1
	s_delay_alu instid0(VALU_DEP_1)
	v_add3_u32 v3, v3, v6, v5
	s_add_u32 s0, s20, s16
	s_addc_u32 s13, s21, s17
	s_add_u32 s0, s0, s8
	s_addc_u32 s13, s13, s9
	v_lshlrev_b64 v[1:2], 1, v[2:3]
	v_mov_b32_e32 v3, 0
	s_ashr_i32 s8, s1, 31
	s_mul_hi_u32 s9, s18, s1
	s_mul_i32 s8, s18, s8
	s_mul_i32 s15, s19, s1
	v_add_co_u32 v1, vcc_lo, s0, v1
	s_add_i32 s9, s9, s8
	v_add_co_ci_u32_e32 v2, vcc_lo, s13, v2, vcc_lo
	s_mul_i32 s8, s18, s1
	s_add_i32 s9, s9, s15
	s_mov_b32 s13, s3
	s_lshl_b64 s[8:9], s[8:9], 1
	s_mov_b32 s15, s3
	.p2align	6
.LBB40_2:                               ; =>This Inner Loop Header: Depth=1
	global_load_u16 v5, v[1:2], off
	s_add_i32 s16, s15, 1
	v_cmp_le_i32_e32 vcc_lo, s11, v4
	v_add_co_u32 v1, s0, v1, s8
	s_cmp_gt_u32 s15, 6
	v_add_co_ci_u32_e64 v2, s0, s9, v2, s0
	s_cselect_b32 s0, -1, 0
	s_mov_b32 s15, s16
	s_or_b32 s0, s0, vcc_lo
	s_delay_alu instid0(SALU_CYCLE_1) | instskip(NEXT) | instid1(SALU_CYCLE_1)
	s_and_b32 s0, exec_lo, s0
	s_or_b32 s13, s0, s13
	s_waitcnt vmcnt(0)
	v_lshlrev_b32_e32 v5, 16, v5
	s_delay_alu instid0(VALU_DEP_1)
	v_dual_fmac_f32 v3, v5, v5 :: v_dual_add_nc_u32 v4, s1, v4
	s_and_not1_b32 exec_lo, exec_lo, s13
	s_cbranch_execnz .LBB40_2
; %bb.3:
	s_or_b32 exec_lo, exec_lo, s13
.LBB40_4:
	s_delay_alu instid0(SALU_CYCLE_1) | instskip(SKIP_2) | instid1(VALU_DEP_2)
	s_or_b32 exec_lo, exec_lo, s12
	v_and_b32_e32 v1, 31, v0
	v_cmp_gt_u32_e32 vcc_lo, 32, v0
	v_lshlrev_b32_e32 v2, 2, v1
	s_and_saveexec_b32 s0, vcc_lo
	s_cbranch_execz .LBB40_6
; %bb.5:
	v_mov_b32_e32 v4, 0
	ds_store_b32 v2, v4
.LBB40_6:
	s_or_b32 exec_lo, exec_lo, s0
	v_mbcnt_lo_u32_b32 v6, -1, 0
	s_mov_b32 s1, exec_lo
	s_waitcnt lgkmcnt(0)
	s_barrier
	buffer_gl0_inv
	v_cmp_gt_u32_e64 s0, 16, v6
	s_delay_alu instid0(VALU_DEP_1) | instskip(SKIP_1) | instid1(VALU_DEP_2)
	v_cndmask_b32_e64 v4, 0, 1, s0
	v_cmp_gt_u32_e64 s0, 24, v6
	v_lshlrev_b32_e32 v4, 4, v4
	s_delay_alu instid0(VALU_DEP_1) | instskip(SKIP_4) | instid1(VALU_DEP_2)
	v_add_lshl_u32 v4, v4, v6, 2
	ds_bpermute_b32 v5, v4, v3
	v_cndmask_b32_e64 v4, 0, 1, s0
	v_cmp_gt_u32_e64 s0, 28, v6
	s_waitcnt lgkmcnt(0)
	v_dual_add_f32 v5, v3, v5 :: v_dual_lshlrev_b32 v4, 3, v4
	s_delay_alu instid0(VALU_DEP_2) | instskip(SKIP_1) | instid1(VALU_DEP_3)
	v_cndmask_b32_e64 v3, 0, 1, s0
	v_cmp_gt_u32_e64 s0, 30, v6
	v_add_lshl_u32 v4, v4, v6, 2
	s_delay_alu instid0(VALU_DEP_3)
	v_lshlrev_b32_e32 v3, 2, v3
	ds_bpermute_b32 v7, v4, v5
	v_add_lshl_u32 v3, v3, v6, 2
	s_waitcnt lgkmcnt(0)
	v_add_f32_e32 v7, v5, v7
	v_cndmask_b32_e64 v5, 0, 1, s0
	v_cmp_ne_u32_e64 s0, 31, v6
	ds_bpermute_b32 v8, v3, v7
	v_lshlrev_b32_e32 v5, 1, v5
	s_delay_alu instid0(VALU_DEP_1) | instskip(SKIP_2) | instid1(VALU_DEP_1)
	v_add_lshl_u32 v5, v5, v6, 2
	v_add_co_ci_u32_e64 v6, s0, 0, v6, s0
	s_waitcnt lgkmcnt(0)
	v_dual_add_f32 v7, v7, v8 :: v_dual_lshlrev_b32 v6, 2, v6
	ds_bpermute_b32 v8, v5, v7
	s_waitcnt lgkmcnt(0)
	v_add_f32_e32 v7, v7, v8
	ds_bpermute_b32 v8, v6, v7
	v_cmpx_eq_u32_e32 0, v1
	s_cbranch_execz .LBB40_8
; %bb.7:
	v_lshrrev_b32_e32 v1, 3, v0
	s_waitcnt lgkmcnt(0)
	v_add_f32_e32 v7, v7, v8
	s_delay_alu instid0(VALU_DEP_2)
	v_and_b32_e32 v1, 60, v1
	ds_store_b32 v1, v7
.LBB40_8:
	s_or_b32 exec_lo, exec_lo, s1
	v_mov_b32_e32 v1, 0
	s_mov_b32 s1, exec_lo
	s_waitcnt lgkmcnt(0)
	s_barrier
	buffer_gl0_inv
	v_cmpx_gt_u32_e32 16, v0
	s_cbranch_execz .LBB40_10
; %bb.9:
	ds_load_b32 v1, v2
.LBB40_10:
	s_or_b32 exec_lo, exec_lo, s1
	s_and_saveexec_b32 s0, vcc_lo
	s_cbranch_execz .LBB40_12
; %bb.11:
	s_waitcnt lgkmcnt(0)
	ds_bpermute_b32 v2, v4, v1
	s_waitcnt lgkmcnt(0)
	v_add_f32_e32 v1, v1, v2
	ds_bpermute_b32 v2, v3, v1
	s_waitcnt lgkmcnt(0)
	v_add_f32_e32 v1, v1, v2
	;; [unrolled: 3-line block ×4, first 2 shown]
.LBB40_12:
	s_or_b32 exec_lo, exec_lo, s0
	s_delay_alu instid0(SALU_CYCLE_1)
	s_mov_b32 s0, exec_lo
	v_cmpx_eq_u32_e32 0, v0
	s_cbranch_execz .LBB40_21
; %bb.13:
	s_cmp_lg_u32 s10, 1
	s_mov_b32 s15, -1
	s_cbranch_scc0 .LBB40_15
; %bb.14:
	s_mul_hi_u32 s1, s10, s2
	s_mul_i32 s0, s10, s2
	s_mov_b32 s15, 0
	s_lshl_b64 s[0:1], s[0:1], 2
	v_mov_b32_e32 v0, 0
	s_add_u32 s4, s4, s0
	s_addc_u32 s5, s5, s1
	s_lshl_b64 s[0:1], s[14:15], 2
	s_delay_alu instid0(SALU_CYCLE_1)
	s_add_u32 s0, s4, s0
	s_addc_u32 s1, s5, s1
	s_waitcnt lgkmcnt(0)
	global_store_b32 v0, v1, s[0:1]
.LBB40_15:
	s_and_not1_b32 vcc_lo, exec_lo, s15
	s_cbranch_vccnz .LBB40_21
; %bb.16:
	s_waitcnt lgkmcnt(0)
	v_and_b32_e32 v0, 0x7f800000, v1
	s_delay_alu instid0(VALU_DEP_1) | instskip(SKIP_1) | instid1(SALU_CYCLE_1)
	v_cmp_ne_u32_e32 vcc_lo, 0x7f800000, v0
                                        ; implicit-def: $vgpr0
	s_and_saveexec_b32 s0, vcc_lo
	s_xor_b32 s0, exec_lo, s0
; %bb.17:
	v_bfe_u32 v0, v1, 16, 1
	s_delay_alu instid0(VALU_DEP_1)
	v_add3_u32 v0, v1, v0, 0x7fff
                                        ; implicit-def: $vgpr1
; %bb.18:
	s_and_not1_saveexec_b32 s0, s0
; %bb.19:
	v_and_b32_e32 v0, 0xffff, v1
	v_or_b32_e32 v2, 0x10000, v1
	s_delay_alu instid0(VALU_DEP_2) | instskip(NEXT) | instid1(VALU_DEP_2)
	v_cmp_eq_u32_e32 vcc_lo, 0, v0
	v_cndmask_b32_e32 v0, v2, v1, vcc_lo
; %bb.20:
	s_or_b32 exec_lo, exec_lo, s0
	s_lshl_b64 s[0:1], s[2:3], 1
	v_mov_b32_e32 v1, 0
	s_add_u32 s0, s6, s0
	s_addc_u32 s1, s7, s1
	global_store_d16_hi_b16 v1, v0, s[0:1]
.LBB40_21:
	s_nop 0
	s_sendmsg sendmsg(MSG_DEALLOC_VGPRS)
	s_endpgm
	.section	.rodata,"a",@progbits
	.p2align	6, 0x0
	.amdhsa_kernel _ZL24rocblas_dot_kernel_magsqIlLb0ELi512ELi8ELb0E16rocblas_bfloat16PKS0_fEviT5_lT_liPT6_PT4_
		.amdhsa_group_segment_fixed_size 128
		.amdhsa_private_segment_fixed_size 0
		.amdhsa_kernarg_size 320
		.amdhsa_user_sgpr_count 14
		.amdhsa_user_sgpr_dispatch_ptr 0
		.amdhsa_user_sgpr_queue_ptr 0
		.amdhsa_user_sgpr_kernarg_segment_ptr 1
		.amdhsa_user_sgpr_dispatch_id 0
		.amdhsa_user_sgpr_private_segment_size 0
		.amdhsa_wavefront_size32 1
		.amdhsa_uses_dynamic_stack 0
		.amdhsa_enable_private_segment 0
		.amdhsa_system_sgpr_workgroup_id_x 1
		.amdhsa_system_sgpr_workgroup_id_y 0
		.amdhsa_system_sgpr_workgroup_id_z 1
		.amdhsa_system_sgpr_workgroup_info 0
		.amdhsa_system_vgpr_workitem_id 0
		.amdhsa_next_free_vgpr 9
		.amdhsa_next_free_sgpr 22
		.amdhsa_reserve_vcc 1
		.amdhsa_float_round_mode_32 0
		.amdhsa_float_round_mode_16_64 0
		.amdhsa_float_denorm_mode_32 3
		.amdhsa_float_denorm_mode_16_64 3
		.amdhsa_dx10_clamp 1
		.amdhsa_ieee_mode 1
		.amdhsa_fp16_overflow 0
		.amdhsa_workgroup_processor_mode 1
		.amdhsa_memory_ordered 1
		.amdhsa_forward_progress 0
		.amdhsa_shared_vgpr_count 0
		.amdhsa_exception_fp_ieee_invalid_op 0
		.amdhsa_exception_fp_denorm_src 0
		.amdhsa_exception_fp_ieee_div_zero 0
		.amdhsa_exception_fp_ieee_overflow 0
		.amdhsa_exception_fp_ieee_underflow 0
		.amdhsa_exception_fp_ieee_inexact 0
		.amdhsa_exception_int_div_zero 0
	.end_amdhsa_kernel
	.section	.text._ZL24rocblas_dot_kernel_magsqIlLb0ELi512ELi8ELb0E16rocblas_bfloat16PKS0_fEviT5_lT_liPT6_PT4_,"axG",@progbits,_ZL24rocblas_dot_kernel_magsqIlLb0ELi512ELi8ELb0E16rocblas_bfloat16PKS0_fEviT5_lT_liPT6_PT4_,comdat
.Lfunc_end40:
	.size	_ZL24rocblas_dot_kernel_magsqIlLb0ELi512ELi8ELb0E16rocblas_bfloat16PKS0_fEviT5_lT_liPT6_PT4_, .Lfunc_end40-_ZL24rocblas_dot_kernel_magsqIlLb0ELi512ELi8ELb0E16rocblas_bfloat16PKS0_fEviT5_lT_liPT6_PT4_
                                        ; -- End function
	.section	.AMDGPU.csdata,"",@progbits
; Kernel info:
; codeLenInByte = 1028
; NumSgprs: 24
; NumVgprs: 9
; ScratchSize: 0
; MemoryBound: 0
; FloatMode: 240
; IeeeMode: 1
; LDSByteSize: 128 bytes/workgroup (compile time only)
; SGPRBlocks: 2
; VGPRBlocks: 1
; NumSGPRsForWavesPerEU: 24
; NumVGPRsForWavesPerEU: 9
; Occupancy: 16
; WaveLimiterHint : 0
; COMPUTE_PGM_RSRC2:SCRATCH_EN: 0
; COMPUTE_PGM_RSRC2:USER_SGPR: 14
; COMPUTE_PGM_RSRC2:TRAP_HANDLER: 0
; COMPUTE_PGM_RSRC2:TGID_X_EN: 1
; COMPUTE_PGM_RSRC2:TGID_Y_EN: 0
; COMPUTE_PGM_RSRC2:TGID_Z_EN: 1
; COMPUTE_PGM_RSRC2:TIDIG_COMP_CNT: 0
	.section	.text._ZL28rocblas_dot_batched_4_kernelIiLi32ELi4ELb0EffPKfEviT5_lT_lS2_lS3_liPT4_,"axG",@progbits,_ZL28rocblas_dot_batched_4_kernelIiLi32ELi4ELb0EffPKfEviT5_lT_lS2_lS3_liPT4_,comdat
	.globl	_ZL28rocblas_dot_batched_4_kernelIiLi32ELi4ELb0EffPKfEviT5_lT_lS2_lS3_liPT4_ ; -- Begin function _ZL28rocblas_dot_batched_4_kernelIiLi32ELi4ELb0EffPKfEviT5_lT_lS2_lS3_liPT4_
	.p2align	8
	.type	_ZL28rocblas_dot_batched_4_kernelIiLi32ELi4ELb0EffPKfEviT5_lT_lS2_lS3_liPT4_,@function
_ZL28rocblas_dot_batched_4_kernelIiLi32ELi4ELb0EffPKfEviT5_lT_lS2_lS3_liPT4_: ; @_ZL28rocblas_dot_batched_4_kernelIiLi32ELi4ELb0EffPKfEviT5_lT_lS2_lS3_liPT4_
; %bb.0:
	s_load_b32 s2, s[0:1], 0x48
	v_bfe_u32 v1, v0, 10, 10
	s_delay_alu instid0(VALU_DEP_1) | instskip(SKIP_1) | instid1(VALU_DEP_1)
	v_lshl_add_u32 v1, s15, 2, v1
	s_waitcnt lgkmcnt(0)
	v_cmp_gt_u32_e32 vcc_lo, s2, v1
	s_and_saveexec_b32 s2, vcc_lo
	s_cbranch_execz .LBB41_7
; %bb.1:
	s_clause 0x1
	s_load_b32 s12, s[0:1], 0x0
	s_load_b64 s[2:3], s[0:1], 0x50
	v_mov_b32_e32 v2, 0
	v_and_b32_e32 v0, 0x3ff, v0
	s_mov_b32 s13, exec_lo
	s_delay_alu instid0(VALU_DEP_2) | instskip(SKIP_1) | instid1(VALU_DEP_2)
	v_mov_b32_e32 v7, v2
	s_waitcnt lgkmcnt(0)
	v_cmpx_gt_i32_e64 s12, v0
	s_cbranch_execz .LBB41_5
; %bb.2:
	s_clause 0x5
	s_load_b128 s[4:7], s[0:1], 0x20
	s_load_b64 s[14:15], s[0:1], 0x40
	s_load_b32 s16, s[0:1], 0x18
	s_load_b32 s18, s[0:1], 0x38
	s_load_b128 s[8:11], s[0:1], 0x8
	s_load_b64 s[0:1], s[0:1], 0x30
	s_waitcnt lgkmcnt(0)
	v_mad_u64_u32 v[3:4], null, s4, v1, 0
	v_mad_u64_u32 v[5:6], null, s14, v1, 0
	v_mad_i64_i32 v[8:9], null, s16, v0, 0
	s_ashr_i32 s17, s16, 31
	s_ashr_i32 s19, s18, 31
	s_delay_alu instid0(VALU_DEP_2) | instskip(SKIP_1) | instid1(VALU_DEP_3)
	v_mad_u64_u32 v[10:11], null, s5, v1, v[4:5]
	v_mov_b32_e32 v7, 0
	v_lshlrev_b64 v[8:9], 2, v[8:9]
	s_lshl_b64 s[4:5], s[10:11], 2
	s_delay_alu instid0(SALU_CYCLE_1) | instskip(SKIP_1) | instid1(VALU_DEP_3)
	s_add_u32 s8, s8, s4
	s_addc_u32 s9, s9, s5
	v_mov_b32_e32 v4, v10
	v_mad_u64_u32 v[11:12], null, s15, v1, v[6:7]
	v_mad_i64_i32 v[12:13], null, s18, v0, 0
	s_delay_alu instid0(VALU_DEP_3) | instskip(SKIP_3) | instid1(VALU_DEP_3)
	v_lshlrev_b64 v[3:4], 2, v[3:4]
	s_lshl_b64 s[0:1], s[0:1], 2
	s_lshl_b64 s[4:5], s[16:17], 7
	s_add_u32 s0, s6, s0
	v_mov_b32_e32 v6, v11
	s_addc_u32 s1, s7, s1
	s_delay_alu instid0(VALU_DEP_3) | instskip(SKIP_1) | instid1(VALU_DEP_3)
	v_lshlrev_b64 v[10:11], 2, v[12:13]
	v_add_co_u32 v3, vcc_lo, v8, v3
	v_lshlrev_b64 v[5:6], 2, v[5:6]
	v_add_co_ci_u32_e32 v4, vcc_lo, v9, v4, vcc_lo
	v_mov_b32_e32 v8, v0
	s_lshl_b64 s[6:7], s[18:19], 7
	s_delay_alu instid0(VALU_DEP_3) | instskip(NEXT) | instid1(VALU_DEP_4)
	v_add_co_u32 v5, vcc_lo, v10, v5
	v_add_co_ci_u32_e32 v6, vcc_lo, v11, v6, vcc_lo
	v_add_co_u32 v3, vcc_lo, s8, v3
	v_add_co_ci_u32_e32 v4, vcc_lo, s9, v4, vcc_lo
	s_delay_alu instid0(VALU_DEP_4) | instskip(NEXT) | instid1(VALU_DEP_4)
	v_add_co_u32 v5, vcc_lo, s0, v5
	v_add_co_ci_u32_e32 v6, vcc_lo, s1, v6, vcc_lo
	s_mov_b32 s1, 0
	.p2align	6
.LBB41_3:                               ; =>This Inner Loop Header: Depth=1
	global_load_b32 v9, v[3:4], off
	global_load_b32 v10, v[5:6], off
	v_add_nc_u32_e32 v8, 32, v8
	v_add_co_u32 v3, vcc_lo, v3, s4
	v_add_co_ci_u32_e32 v4, vcc_lo, s5, v4, vcc_lo
	v_add_co_u32 v5, vcc_lo, v5, s6
	v_add_co_ci_u32_e32 v6, vcc_lo, s7, v6, vcc_lo
	s_waitcnt vmcnt(0)
	v_fmac_f32_e32 v7, v9, v10
	v_cmp_le_i32_e64 s0, s12, v8
	s_delay_alu instid0(VALU_DEP_1) | instskip(NEXT) | instid1(SALU_CYCLE_1)
	s_or_b32 s1, s0, s1
	s_and_not1_b32 exec_lo, exec_lo, s1
	s_cbranch_execnz .LBB41_3
; %bb.4:
	s_or_b32 exec_lo, exec_lo, s1
.LBB41_5:
	s_delay_alu instid0(SALU_CYCLE_1)
	s_or_b32 exec_lo, exec_lo, s13
	v_mbcnt_lo_u32_b32 v3, -1, 0
	s_barrier
	buffer_gl0_inv
	v_cmp_gt_u32_e32 vcc_lo, 16, v3
	v_cndmask_b32_e64 v4, 0, 1, vcc_lo
	v_cmp_gt_u32_e32 vcc_lo, 24, v3
	s_delay_alu instid0(VALU_DEP_2) | instskip(SKIP_2) | instid1(VALU_DEP_3)
	v_lshlrev_b32_e32 v4, 4, v4
	v_cndmask_b32_e64 v5, 0, 1, vcc_lo
	v_cmp_gt_u32_e32 vcc_lo, 28, v3
	v_add_lshl_u32 v4, v4, v3, 2
	v_cndmask_b32_e64 v6, 0, 1, vcc_lo
	v_cmp_gt_u32_e32 vcc_lo, 30, v3
	ds_bpermute_b32 v4, v4, v7
	v_lshlrev_b32_e32 v5, 3, v5
	v_lshlrev_b32_e32 v6, 2, v6
	s_delay_alu instid0(VALU_DEP_1)
	v_add_lshl_u32 v6, v6, v3, 2
	s_waitcnt lgkmcnt(0)
	v_add_f32_e32 v4, v7, v4
	v_add_lshl_u32 v5, v5, v3, 2
	ds_bpermute_b32 v5, v5, v4
	s_waitcnt lgkmcnt(0)
	v_add_f32_e32 v4, v4, v5
	ds_bpermute_b32 v5, v6, v4
	v_cndmask_b32_e64 v6, 0, 1, vcc_lo
	v_cmp_ne_u32_e32 vcc_lo, 31, v3
	s_delay_alu instid0(VALU_DEP_2) | instskip(NEXT) | instid1(VALU_DEP_1)
	v_lshlrev_b32_e32 v6, 1, v6
	v_add_lshl_u32 v6, v6, v3, 2
	s_waitcnt lgkmcnt(0)
	v_add_f32_e32 v4, v4, v5
	ds_bpermute_b32 v5, v6, v4
	v_add_co_ci_u32_e32 v6, vcc_lo, 0, v3, vcc_lo
	v_cmp_eq_u32_e32 vcc_lo, 0, v0
	s_waitcnt lgkmcnt(0)
	s_delay_alu instid0(VALU_DEP_2)
	v_dual_add_f32 v3, v4, v5 :: v_dual_lshlrev_b32 v4, 2, v6
	ds_bpermute_b32 v4, v4, v3
	s_and_b32 exec_lo, exec_lo, vcc_lo
	s_cbranch_execz .LBB41_7
; %bb.6:
	v_lshlrev_b64 v[0:1], 2, v[1:2]
	s_waitcnt lgkmcnt(0)
	v_add_f32_e32 v2, v3, v4
	s_delay_alu instid0(VALU_DEP_2) | instskip(NEXT) | instid1(VALU_DEP_3)
	v_add_co_u32 v0, vcc_lo, s2, v0
	v_add_co_ci_u32_e32 v1, vcc_lo, s3, v1, vcc_lo
	global_store_b32 v[0:1], v2, off
.LBB41_7:
	s_nop 0
	s_sendmsg sendmsg(MSG_DEALLOC_VGPRS)
	s_endpgm
	.section	.rodata,"a",@progbits
	.p2align	6, 0x0
	.amdhsa_kernel _ZL28rocblas_dot_batched_4_kernelIiLi32ELi4ELb0EffPKfEviT5_lT_lS2_lS3_liPT4_
		.amdhsa_group_segment_fixed_size 0
		.amdhsa_private_segment_fixed_size 0
		.amdhsa_kernarg_size 88
		.amdhsa_user_sgpr_count 15
		.amdhsa_user_sgpr_dispatch_ptr 0
		.amdhsa_user_sgpr_queue_ptr 0
		.amdhsa_user_sgpr_kernarg_segment_ptr 1
		.amdhsa_user_sgpr_dispatch_id 0
		.amdhsa_user_sgpr_private_segment_size 0
		.amdhsa_wavefront_size32 1
		.amdhsa_uses_dynamic_stack 0
		.amdhsa_enable_private_segment 0
		.amdhsa_system_sgpr_workgroup_id_x 1
		.amdhsa_system_sgpr_workgroup_id_y 0
		.amdhsa_system_sgpr_workgroup_id_z 0
		.amdhsa_system_sgpr_workgroup_info 0
		.amdhsa_system_vgpr_workitem_id 1
		.amdhsa_next_free_vgpr 14
		.amdhsa_next_free_sgpr 20
		.amdhsa_reserve_vcc 1
		.amdhsa_float_round_mode_32 0
		.amdhsa_float_round_mode_16_64 0
		.amdhsa_float_denorm_mode_32 3
		.amdhsa_float_denorm_mode_16_64 3
		.amdhsa_dx10_clamp 1
		.amdhsa_ieee_mode 1
		.amdhsa_fp16_overflow 0
		.amdhsa_workgroup_processor_mode 1
		.amdhsa_memory_ordered 1
		.amdhsa_forward_progress 0
		.amdhsa_shared_vgpr_count 0
		.amdhsa_exception_fp_ieee_invalid_op 0
		.amdhsa_exception_fp_denorm_src 0
		.amdhsa_exception_fp_ieee_div_zero 0
		.amdhsa_exception_fp_ieee_overflow 0
		.amdhsa_exception_fp_ieee_underflow 0
		.amdhsa_exception_fp_ieee_inexact 0
		.amdhsa_exception_int_div_zero 0
	.end_amdhsa_kernel
	.section	.text._ZL28rocblas_dot_batched_4_kernelIiLi32ELi4ELb0EffPKfEviT5_lT_lS2_lS3_liPT4_,"axG",@progbits,_ZL28rocblas_dot_batched_4_kernelIiLi32ELi4ELb0EffPKfEviT5_lT_lS2_lS3_liPT4_,comdat
.Lfunc_end41:
	.size	_ZL28rocblas_dot_batched_4_kernelIiLi32ELi4ELb0EffPKfEviT5_lT_lS2_lS3_liPT4_, .Lfunc_end41-_ZL28rocblas_dot_batched_4_kernelIiLi32ELi4ELb0EffPKfEviT5_lT_lS2_lS3_liPT4_
                                        ; -- End function
	.section	.AMDGPU.csdata,"",@progbits
; Kernel info:
; codeLenInByte = 740
; NumSgprs: 22
; NumVgprs: 14
; ScratchSize: 0
; MemoryBound: 0
; FloatMode: 240
; IeeeMode: 1
; LDSByteSize: 0 bytes/workgroup (compile time only)
; SGPRBlocks: 2
; VGPRBlocks: 1
; NumSGPRsForWavesPerEU: 22
; NumVGPRsForWavesPerEU: 14
; Occupancy: 16
; WaveLimiterHint : 0
; COMPUTE_PGM_RSRC2:SCRATCH_EN: 0
; COMPUTE_PGM_RSRC2:USER_SGPR: 15
; COMPUTE_PGM_RSRC2:TRAP_HANDLER: 0
; COMPUTE_PGM_RSRC2:TGID_X_EN: 1
; COMPUTE_PGM_RSRC2:TGID_Y_EN: 0
; COMPUTE_PGM_RSRC2:TGID_Z_EN: 0
; COMPUTE_PGM_RSRC2:TIDIG_COMP_CNT: 1
	.section	.text._ZL28rocblas_dot_batched_4_kernelIiLi64ELi4ELb0EffPKfEviT5_lT_lS2_lS3_liPT4_,"axG",@progbits,_ZL28rocblas_dot_batched_4_kernelIiLi64ELi4ELb0EffPKfEviT5_lT_lS2_lS3_liPT4_,comdat
	.globl	_ZL28rocblas_dot_batched_4_kernelIiLi64ELi4ELb0EffPKfEviT5_lT_lS2_lS3_liPT4_ ; -- Begin function _ZL28rocblas_dot_batched_4_kernelIiLi64ELi4ELb0EffPKfEviT5_lT_lS2_lS3_liPT4_
	.p2align	8
	.type	_ZL28rocblas_dot_batched_4_kernelIiLi64ELi4ELb0EffPKfEviT5_lT_lS2_lS3_liPT4_,@function
_ZL28rocblas_dot_batched_4_kernelIiLi64ELi4ELb0EffPKfEviT5_lT_lS2_lS3_liPT4_: ; @_ZL28rocblas_dot_batched_4_kernelIiLi64ELi4ELb0EffPKfEviT5_lT_lS2_lS3_liPT4_
; %bb.0:
	s_load_b32 s2, s[0:1], 0x48
	v_bfe_u32 v1, v0, 10, 10
	s_delay_alu instid0(VALU_DEP_1) | instskip(SKIP_1) | instid1(VALU_DEP_1)
	v_lshl_add_u32 v1, s15, 2, v1
	s_waitcnt lgkmcnt(0)
	v_cmp_gt_u32_e32 vcc_lo, s2, v1
	s_and_saveexec_b32 s2, vcc_lo
	s_cbranch_execz .LBB42_7
; %bb.1:
	s_clause 0x1
	s_load_b32 s12, s[0:1], 0x0
	s_load_b64 s[2:3], s[0:1], 0x50
	v_mov_b32_e32 v2, 0
	v_and_b32_e32 v0, 0x3ff, v0
	s_mov_b32 s13, exec_lo
	s_delay_alu instid0(VALU_DEP_2) | instskip(SKIP_1) | instid1(VALU_DEP_2)
	v_mov_b32_e32 v7, v2
	s_waitcnt lgkmcnt(0)
	v_cmpx_gt_i32_e64 s12, v0
	s_cbranch_execz .LBB42_5
; %bb.2:
	s_clause 0x5
	s_load_b128 s[4:7], s[0:1], 0x20
	s_load_b64 s[14:15], s[0:1], 0x40
	s_load_b32 s16, s[0:1], 0x18
	s_load_b32 s18, s[0:1], 0x38
	s_load_b128 s[8:11], s[0:1], 0x8
	s_load_b64 s[0:1], s[0:1], 0x30
	s_waitcnt lgkmcnt(0)
	v_mad_u64_u32 v[3:4], null, s4, v1, 0
	v_mad_u64_u32 v[5:6], null, s14, v1, 0
	v_mad_i64_i32 v[8:9], null, s16, v0, 0
	s_ashr_i32 s17, s16, 31
	s_ashr_i32 s19, s18, 31
	s_delay_alu instid0(VALU_DEP_2) | instskip(SKIP_1) | instid1(VALU_DEP_3)
	v_mad_u64_u32 v[10:11], null, s5, v1, v[4:5]
	v_mov_b32_e32 v7, 0
	v_lshlrev_b64 v[8:9], 2, v[8:9]
	s_lshl_b64 s[4:5], s[10:11], 2
	s_delay_alu instid0(SALU_CYCLE_1) | instskip(SKIP_1) | instid1(VALU_DEP_3)
	s_add_u32 s8, s8, s4
	s_addc_u32 s9, s9, s5
	v_mov_b32_e32 v4, v10
	v_mad_u64_u32 v[11:12], null, s15, v1, v[6:7]
	v_mad_i64_i32 v[12:13], null, s18, v0, 0
	s_delay_alu instid0(VALU_DEP_3) | instskip(SKIP_3) | instid1(VALU_DEP_3)
	v_lshlrev_b64 v[3:4], 2, v[3:4]
	s_lshl_b64 s[0:1], s[0:1], 2
	s_lshl_b64 s[4:5], s[16:17], 8
	s_add_u32 s0, s6, s0
	v_mov_b32_e32 v6, v11
	s_addc_u32 s1, s7, s1
	s_delay_alu instid0(VALU_DEP_3) | instskip(SKIP_1) | instid1(VALU_DEP_3)
	v_lshlrev_b64 v[10:11], 2, v[12:13]
	v_add_co_u32 v3, vcc_lo, v8, v3
	v_lshlrev_b64 v[5:6], 2, v[5:6]
	v_add_co_ci_u32_e32 v4, vcc_lo, v9, v4, vcc_lo
	v_mov_b32_e32 v8, v0
	s_lshl_b64 s[6:7], s[18:19], 8
	s_delay_alu instid0(VALU_DEP_3) | instskip(NEXT) | instid1(VALU_DEP_4)
	v_add_co_u32 v5, vcc_lo, v10, v5
	v_add_co_ci_u32_e32 v6, vcc_lo, v11, v6, vcc_lo
	v_add_co_u32 v3, vcc_lo, s8, v3
	v_add_co_ci_u32_e32 v4, vcc_lo, s9, v4, vcc_lo
	s_delay_alu instid0(VALU_DEP_4) | instskip(NEXT) | instid1(VALU_DEP_4)
	v_add_co_u32 v5, vcc_lo, s0, v5
	v_add_co_ci_u32_e32 v6, vcc_lo, s1, v6, vcc_lo
	s_mov_b32 s1, 0
	.p2align	6
.LBB42_3:                               ; =>This Inner Loop Header: Depth=1
	global_load_b32 v9, v[3:4], off
	global_load_b32 v10, v[5:6], off
	v_add_nc_u32_e32 v8, 64, v8
	v_add_co_u32 v3, vcc_lo, v3, s4
	v_add_co_ci_u32_e32 v4, vcc_lo, s5, v4, vcc_lo
	v_add_co_u32 v5, vcc_lo, v5, s6
	v_add_co_ci_u32_e32 v6, vcc_lo, s7, v6, vcc_lo
	s_waitcnt vmcnt(0)
	v_fmac_f32_e32 v7, v9, v10
	v_cmp_le_i32_e64 s0, s12, v8
	s_delay_alu instid0(VALU_DEP_1) | instskip(NEXT) | instid1(SALU_CYCLE_1)
	s_or_b32 s1, s0, s1
	s_and_not1_b32 exec_lo, exec_lo, s1
	s_cbranch_execnz .LBB42_3
; %bb.4:
	s_or_b32 exec_lo, exec_lo, s1
.LBB42_5:
	s_delay_alu instid0(SALU_CYCLE_1)
	s_or_b32 exec_lo, exec_lo, s13
	v_mbcnt_lo_u32_b32 v3, -1, 0
	s_barrier
	buffer_gl0_inv
	v_lshlrev_b32_e32 v4, 2, v3
	v_cmp_gt_u32_e32 vcc_lo, 16, v3
	ds_bpermute_b32 v4, v4, v7
	v_cndmask_b32_e64 v5, 0, 1, vcc_lo
	v_cmp_gt_u32_e32 vcc_lo, 24, v3
	s_delay_alu instid0(VALU_DEP_2) | instskip(SKIP_2) | instid1(VALU_DEP_2)
	v_lshlrev_b32_e32 v5, 4, v5
	v_cndmask_b32_e64 v6, 0, 1, vcc_lo
	v_cmp_gt_u32_e32 vcc_lo, 28, v3
	v_lshlrev_b32_e32 v6, 3, v6
	s_delay_alu instid0(VALU_DEP_1)
	v_add_lshl_u32 v6, v6, v3, 2
	s_waitcnt lgkmcnt(0)
	v_add_f32_e32 v4, v7, v4
	v_add_lshl_u32 v5, v5, v3, 2
	ds_bpermute_b32 v5, v5, v4
	s_waitcnt lgkmcnt(0)
	v_add_f32_e32 v4, v4, v5
	ds_bpermute_b32 v5, v6, v4
	v_cndmask_b32_e64 v6, 0, 1, vcc_lo
	v_cmp_gt_u32_e32 vcc_lo, 30, v3
	s_delay_alu instid0(VALU_DEP_2) | instskip(NEXT) | instid1(VALU_DEP_1)
	v_lshlrev_b32_e32 v6, 2, v6
	v_add_lshl_u32 v6, v6, v3, 2
	s_waitcnt lgkmcnt(0)
	v_add_f32_e32 v4, v4, v5
	ds_bpermute_b32 v5, v6, v4
	v_cndmask_b32_e64 v6, 0, 1, vcc_lo
	v_cmp_ne_u32_e32 vcc_lo, 31, v3
	s_delay_alu instid0(VALU_DEP_2) | instskip(NEXT) | instid1(VALU_DEP_1)
	v_lshlrev_b32_e32 v6, 1, v6
	v_add_lshl_u32 v6, v6, v3, 2
	s_waitcnt lgkmcnt(0)
	v_add_f32_e32 v4, v4, v5
	ds_bpermute_b32 v5, v6, v4
	v_add_co_ci_u32_e32 v6, vcc_lo, 0, v3, vcc_lo
	v_cmp_eq_u32_e32 vcc_lo, 0, v0
	s_waitcnt lgkmcnt(0)
	s_delay_alu instid0(VALU_DEP_2)
	v_dual_add_f32 v3, v4, v5 :: v_dual_lshlrev_b32 v4, 2, v6
	ds_bpermute_b32 v4, v4, v3
	s_and_b32 exec_lo, exec_lo, vcc_lo
	s_cbranch_execz .LBB42_7
; %bb.6:
	v_lshlrev_b64 v[0:1], 2, v[1:2]
	s_waitcnt lgkmcnt(0)
	v_add_f32_e32 v2, v3, v4
	s_delay_alu instid0(VALU_DEP_2) | instskip(NEXT) | instid1(VALU_DEP_3)
	v_add_co_u32 v0, vcc_lo, s2, v0
	v_add_co_ci_u32_e32 v1, vcc_lo, s3, v1, vcc_lo
	global_store_b32 v[0:1], v2, off
.LBB42_7:
	s_nop 0
	s_sendmsg sendmsg(MSG_DEALLOC_VGPRS)
	s_endpgm
	.section	.rodata,"a",@progbits
	.p2align	6, 0x0
	.amdhsa_kernel _ZL28rocblas_dot_batched_4_kernelIiLi64ELi4ELb0EffPKfEviT5_lT_lS2_lS3_liPT4_
		.amdhsa_group_segment_fixed_size 0
		.amdhsa_private_segment_fixed_size 0
		.amdhsa_kernarg_size 88
		.amdhsa_user_sgpr_count 15
		.amdhsa_user_sgpr_dispatch_ptr 0
		.amdhsa_user_sgpr_queue_ptr 0
		.amdhsa_user_sgpr_kernarg_segment_ptr 1
		.amdhsa_user_sgpr_dispatch_id 0
		.amdhsa_user_sgpr_private_segment_size 0
		.amdhsa_wavefront_size32 1
		.amdhsa_uses_dynamic_stack 0
		.amdhsa_enable_private_segment 0
		.amdhsa_system_sgpr_workgroup_id_x 1
		.amdhsa_system_sgpr_workgroup_id_y 0
		.amdhsa_system_sgpr_workgroup_id_z 0
		.amdhsa_system_sgpr_workgroup_info 0
		.amdhsa_system_vgpr_workitem_id 1
		.amdhsa_next_free_vgpr 14
		.amdhsa_next_free_sgpr 20
		.amdhsa_reserve_vcc 1
		.amdhsa_float_round_mode_32 0
		.amdhsa_float_round_mode_16_64 0
		.amdhsa_float_denorm_mode_32 3
		.amdhsa_float_denorm_mode_16_64 3
		.amdhsa_dx10_clamp 1
		.amdhsa_ieee_mode 1
		.amdhsa_fp16_overflow 0
		.amdhsa_workgroup_processor_mode 1
		.amdhsa_memory_ordered 1
		.amdhsa_forward_progress 0
		.amdhsa_shared_vgpr_count 0
		.amdhsa_exception_fp_ieee_invalid_op 0
		.amdhsa_exception_fp_denorm_src 0
		.amdhsa_exception_fp_ieee_div_zero 0
		.amdhsa_exception_fp_ieee_overflow 0
		.amdhsa_exception_fp_ieee_underflow 0
		.amdhsa_exception_fp_ieee_inexact 0
		.amdhsa_exception_int_div_zero 0
	.end_amdhsa_kernel
	.section	.text._ZL28rocblas_dot_batched_4_kernelIiLi64ELi4ELb0EffPKfEviT5_lT_lS2_lS3_liPT4_,"axG",@progbits,_ZL28rocblas_dot_batched_4_kernelIiLi64ELi4ELb0EffPKfEviT5_lT_lS2_lS3_liPT4_,comdat
.Lfunc_end42:
	.size	_ZL28rocblas_dot_batched_4_kernelIiLi64ELi4ELb0EffPKfEviT5_lT_lS2_lS3_liPT4_, .Lfunc_end42-_ZL28rocblas_dot_batched_4_kernelIiLi64ELi4ELb0EffPKfEviT5_lT_lS2_lS3_liPT4_
                                        ; -- End function
	.section	.AMDGPU.csdata,"",@progbits
; Kernel info:
; codeLenInByte = 764
; NumSgprs: 22
; NumVgprs: 14
; ScratchSize: 0
; MemoryBound: 0
; FloatMode: 240
; IeeeMode: 1
; LDSByteSize: 0 bytes/workgroup (compile time only)
; SGPRBlocks: 2
; VGPRBlocks: 1
; NumSGPRsForWavesPerEU: 22
; NumVGPRsForWavesPerEU: 14
; Occupancy: 16
; WaveLimiterHint : 0
; COMPUTE_PGM_RSRC2:SCRATCH_EN: 0
; COMPUTE_PGM_RSRC2:USER_SGPR: 15
; COMPUTE_PGM_RSRC2:TRAP_HANDLER: 0
; COMPUTE_PGM_RSRC2:TGID_X_EN: 1
; COMPUTE_PGM_RSRC2:TGID_Y_EN: 0
; COMPUTE_PGM_RSRC2:TGID_Z_EN: 0
; COMPUTE_PGM_RSRC2:TIDIG_COMP_CNT: 1
	.section	.text._ZL26rocblas_dot_kernel_inc1by2ILb1ELi1024ELi32ELb0EfPKffEviT4_llS2_lliPT5_PT3_,"axG",@progbits,_ZL26rocblas_dot_kernel_inc1by2ILb1ELi1024ELi32ELb0EfPKffEviT4_llS2_lliPT5_PT3_,comdat
	.globl	_ZL26rocblas_dot_kernel_inc1by2ILb1ELi1024ELi32ELb0EfPKffEviT4_llS2_lliPT5_PT3_ ; -- Begin function _ZL26rocblas_dot_kernel_inc1by2ILb1ELi1024ELi32ELb0EfPKffEviT4_llS2_lliPT5_PT3_
	.p2align	8
	.type	_ZL26rocblas_dot_kernel_inc1by2ILb1ELi1024ELi32ELb0EfPKffEviT4_llS2_lliPT5_PT3_,@function
_ZL26rocblas_dot_kernel_inc1by2ILb1ELi1024ELi32ELb0EfPKffEviT4_llS2_lliPT5_PT3_: ; @_ZL26rocblas_dot_kernel_inc1by2ILb1ELi1024ELi32ELb0EfPKffEviT4_llS2_lliPT5_PT3_
; %bb.0:
	s_mov_b32 s2, s15
	s_clause 0x5
	s_load_b128 s[8:11], s[0:1], 0x10
	s_load_b128 s[4:7], s[0:1], 0x28
	s_load_b32 s17, s[0:1], 0x0
	s_load_b64 s[12:13], s[0:1], 0x48
	s_load_b64 s[14:15], s[0:1], 0x8
	;; [unrolled: 1-line block ×3, first 2 shown]
	v_dual_mov_b32 v5, 0 :: v_dual_lshlrev_b32 v6, 1, v0
	s_mov_b32 s3, 0
	s_waitcnt lgkmcnt(0)
	s_mul_i32 s11, s2, s11
	s_mul_hi_u32 s18, s2, s10
	s_mul_i32 s7, s2, s7
	s_mul_hi_u32 s19, s2, s6
	s_add_i32 s16, s17, -1
	s_add_i32 s11, s18, s11
	s_mul_i32 s10, s2, s10
	s_add_i32 s7, s19, s7
	s_mul_i32 s6, s2, s6
	s_mov_b32 s18, exec_lo
	v_cmpx_gt_i32_e64 s16, v6
	s_cbranch_execz .LBB43_4
; %bb.1:
	s_lshl_b64 s[22:23], s[4:5], 2
	s_lshl_b64 s[20:21], s[6:7], 2
	v_lshlrev_b32_e32 v1, 3, v0
	s_add_u32 s19, s0, s22
	s_addc_u32 s22, s1, s23
	s_add_u32 s19, s19, s20
	s_addc_u32 s20, s22, s21
	v_add_co_u32 v2, s19, s19, v1
	s_delay_alu instid0(VALU_DEP_1)
	v_add_co_ci_u32_e64 v3, null, s20, 0, s19
	s_lshl_b64 s[20:21], s[8:9], 2
	s_lshl_b64 s[22:23], s[10:11], 2
	s_add_u32 s19, s14, s20
	s_addc_u32 s20, s15, s21
	s_add_u32 s19, s19, s22
	s_addc_u32 s20, s20, s23
	v_add_co_u32 v4, s19, s19, v1
	s_delay_alu instid0(VALU_DEP_1) | instskip(SKIP_2) | instid1(VALU_DEP_4)
	v_add_co_ci_u32_e64 v7, null, s20, 0, s19
	v_add_co_u32 v1, vcc_lo, v2, 4
	v_add_co_ci_u32_e32 v2, vcc_lo, 0, v3, vcc_lo
	v_add_co_u32 v3, vcc_lo, v4, 4
	v_mov_b32_e32 v5, 0
	v_add_co_ci_u32_e32 v4, vcc_lo, 0, v7, vcc_lo
	s_mov_b32 s19, s3
	s_mov_b32 s20, s3
	.p2align	6
.LBB43_2:                               ; =>This Inner Loop Header: Depth=1
	global_load_b64 v[7:8], v[1:2], off offset:-4
	global_load_b64 v[9:10], v[3:4], off offset:-4
	v_add_co_u32 v1, vcc_lo, 0x2000, v1
	v_add_nc_u32_e32 v6, 0x800, v6
	v_add_co_ci_u32_e32 v2, vcc_lo, 0, v2, vcc_lo
	v_add_co_u32 v3, vcc_lo, 0x2000, v3
	v_add_co_ci_u32_e32 v4, vcc_lo, 0, v4, vcc_lo
	s_add_i32 s21, s20, 1
	s_cmp_gt_u32 s20, 30
	s_cselect_b32 s20, -1, 0
	s_waitcnt vmcnt(0)
	v_fmac_f32_e32 v5, v7, v9
	v_cmp_le_i32_e32 vcc_lo, s16, v6
	s_delay_alu instid0(VALU_DEP_2) | instskip(SKIP_1) | instid1(SALU_CYCLE_1)
	v_fmac_f32_e32 v5, v8, v10
	s_or_b32 s20, s20, vcc_lo
	s_and_b32 s20, exec_lo, s20
	s_delay_alu instid0(SALU_CYCLE_1)
	s_or_b32 s19, s20, s19
	s_mov_b32 s20, s21
	s_and_not1_b32 exec_lo, exec_lo, s19
	s_cbranch_execnz .LBB43_2
; %bb.3:
	s_or_b32 exec_lo, exec_lo, s19
.LBB43_4:
	s_delay_alu instid0(SALU_CYCLE_1) | instskip(SKIP_3) | instid1(SALU_CYCLE_1)
	s_or_b32 exec_lo, exec_lo, s18
	v_cmp_eq_u32_e32 vcc_lo, s16, v6
	s_bitcmp1_b32 s17, 0
	s_cselect_b32 s17, -1, 0
	s_and_b32 s17, s17, vcc_lo
	s_delay_alu instid0(SALU_CYCLE_1)
	s_and_saveexec_b32 s18, s17
	s_cbranch_execz .LBB43_6
; %bb.5:
	s_lshl_b64 s[10:11], s[10:11], 2
	s_mov_b32 s17, 0
	s_add_u32 s10, s14, s10
	s_addc_u32 s11, s15, s11
	s_lshl_b64 s[8:9], s[8:9], 2
	s_delay_alu instid0(SALU_CYCLE_1) | instskip(SKIP_2) | instid1(SALU_CYCLE_1)
	s_add_u32 s8, s10, s8
	s_addc_u32 s9, s11, s9
	s_lshl_b64 s[6:7], s[6:7], 2
	s_add_u32 s6, s0, s6
	s_addc_u32 s7, s1, s7
	s_lshl_b64 s[0:1], s[4:5], 2
	s_delay_alu instid0(SALU_CYCLE_1) | instskip(SKIP_2) | instid1(SALU_CYCLE_1)
	s_add_u32 s6, s6, s0
	s_addc_u32 s7, s7, s1
	s_lshl_b64 s[0:1], s[16:17], 2
	s_add_u32 s4, s8, s0
	s_addc_u32 s5, s9, s1
	s_add_u32 s0, s6, s0
	s_addc_u32 s1, s7, s1
	s_load_b32 s0, s[0:1], 0x0
	s_load_b32 s1, s[4:5], 0x0
	s_waitcnt lgkmcnt(0)
	v_fmac_f32_e64 v5, s0, s1
.LBB43_6:
	s_or_b32 exec_lo, exec_lo, s18
	v_and_b32_e32 v7, 31, v0
	v_cmp_gt_u32_e32 vcc_lo, 32, v0
	s_delay_alu instid0(VALU_DEP_2)
	v_lshlrev_b32_e32 v1, 2, v7
	s_and_saveexec_b32 s0, vcc_lo
	s_cbranch_execz .LBB43_8
; %bb.7:
	v_mov_b32_e32 v2, 0
	ds_store_b32 v1, v2
.LBB43_8:
	s_or_b32 exec_lo, exec_lo, s0
	v_mbcnt_lo_u32_b32 v6, -1, 0
	s_mov_b32 s1, exec_lo
	s_waitcnt lgkmcnt(0)
	s_barrier
	buffer_gl0_inv
	v_cmp_gt_u32_e64 s0, 16, v6
	s_delay_alu instid0(VALU_DEP_1) | instskip(SKIP_1) | instid1(VALU_DEP_2)
	v_cndmask_b32_e64 v2, 0, 1, s0
	v_cmp_gt_u32_e64 s0, 24, v6
	v_lshlrev_b32_e32 v2, 4, v2
	s_delay_alu instid0(VALU_DEP_2) | instskip(SKIP_1) | instid1(VALU_DEP_3)
	v_cndmask_b32_e64 v3, 0, 1, s0
	v_cmp_gt_u32_e64 s0, 28, v6
	v_add_lshl_u32 v2, v2, v6, 2
	ds_bpermute_b32 v4, v2, v5
	s_waitcnt lgkmcnt(0)
	v_add_f32_e32 v5, v5, v4
	v_lshlrev_b32_e32 v3, 3, v3
	v_cndmask_b32_e64 v4, 0, 1, s0
	v_cmp_gt_u32_e64 s0, 30, v6
	s_delay_alu instid0(VALU_DEP_3) | instskip(NEXT) | instid1(VALU_DEP_3)
	v_add_lshl_u32 v3, v3, v6, 2
	v_lshlrev_b32_e32 v4, 2, v4
	ds_bpermute_b32 v8, v3, v5
	v_add_lshl_u32 v4, v4, v6, 2
	s_waitcnt lgkmcnt(0)
	v_add_f32_e32 v8, v5, v8
	v_cndmask_b32_e64 v5, 0, 1, s0
	v_cmp_ne_u32_e64 s0, 31, v6
	ds_bpermute_b32 v9, v4, v8
	v_lshlrev_b32_e32 v5, 1, v5
	s_delay_alu instid0(VALU_DEP_1) | instskip(SKIP_1) | instid1(VALU_DEP_1)
	v_add_lshl_u32 v5, v5, v6, 2
	v_add_co_ci_u32_e64 v6, s0, 0, v6, s0
	v_lshlrev_b32_e32 v6, 2, v6
	s_waitcnt lgkmcnt(0)
	v_add_f32_e32 v8, v8, v9
	ds_bpermute_b32 v9, v5, v8
	s_waitcnt lgkmcnt(0)
	v_add_f32_e32 v8, v8, v9
	ds_bpermute_b32 v9, v6, v8
	v_cmpx_eq_u32_e32 0, v7
	s_cbranch_execz .LBB43_10
; %bb.9:
	v_lshrrev_b32_e32 v7, 3, v0
	s_waitcnt lgkmcnt(0)
	s_delay_alu instid0(VALU_DEP_1)
	v_dual_add_f32 v8, v8, v9 :: v_dual_and_b32 v7, 0x7c, v7
	ds_store_b32 v7, v8
.LBB43_10:
	s_or_b32 exec_lo, exec_lo, s1
	v_mov_b32_e32 v7, 0
	s_waitcnt lgkmcnt(0)
	s_barrier
	buffer_gl0_inv
	s_and_saveexec_b32 s0, vcc_lo
	s_cbranch_execz .LBB43_12
; %bb.11:
	ds_load_b32 v7, v1
.LBB43_12:
	s_or_b32 exec_lo, exec_lo, s0
	s_and_saveexec_b32 s0, vcc_lo
	s_cbranch_execz .LBB43_14
; %bb.13:
	s_waitcnt lgkmcnt(0)
	ds_bpermute_b32 v1, v2, v7
	s_waitcnt lgkmcnt(0)
	v_add_f32_e32 v1, v7, v1
	ds_bpermute_b32 v2, v3, v1
	s_waitcnt lgkmcnt(0)
	v_add_f32_e32 v1, v1, v2
	;; [unrolled: 3-line block ×5, first 2 shown]
.LBB43_14:
	s_or_b32 exec_lo, exec_lo, s0
	s_delay_alu instid0(SALU_CYCLE_1)
	s_mov_b32 s0, exec_lo
	v_cmpx_eq_u32_e32 0, v0
	s_cbranch_execz .LBB43_16
; %bb.15:
	s_lshl_b64 s[0:1], s[2:3], 2
	v_mov_b32_e32 v0, 0
	s_add_u32 s0, s12, s0
	s_addc_u32 s1, s13, s1
	s_waitcnt lgkmcnt(0)
	global_store_b32 v0, v7, s[0:1]
.LBB43_16:
	s_nop 0
	s_sendmsg sendmsg(MSG_DEALLOC_VGPRS)
	s_endpgm
	.section	.rodata,"a",@progbits
	.p2align	6, 0x0
	.amdhsa_kernel _ZL26rocblas_dot_kernel_inc1by2ILb1ELi1024ELi32ELb0EfPKffEviT4_llS2_lliPT5_PT3_
		.amdhsa_group_segment_fixed_size 128
		.amdhsa_private_segment_fixed_size 0
		.amdhsa_kernarg_size 80
		.amdhsa_user_sgpr_count 14
		.amdhsa_user_sgpr_dispatch_ptr 0
		.amdhsa_user_sgpr_queue_ptr 0
		.amdhsa_user_sgpr_kernarg_segment_ptr 1
		.amdhsa_user_sgpr_dispatch_id 0
		.amdhsa_user_sgpr_private_segment_size 0
		.amdhsa_wavefront_size32 1
		.amdhsa_uses_dynamic_stack 0
		.amdhsa_enable_private_segment 0
		.amdhsa_system_sgpr_workgroup_id_x 1
		.amdhsa_system_sgpr_workgroup_id_y 0
		.amdhsa_system_sgpr_workgroup_id_z 1
		.amdhsa_system_sgpr_workgroup_info 0
		.amdhsa_system_vgpr_workitem_id 0
		.amdhsa_next_free_vgpr 11
		.amdhsa_next_free_sgpr 24
		.amdhsa_reserve_vcc 1
		.amdhsa_float_round_mode_32 0
		.amdhsa_float_round_mode_16_64 0
		.amdhsa_float_denorm_mode_32 3
		.amdhsa_float_denorm_mode_16_64 3
		.amdhsa_dx10_clamp 1
		.amdhsa_ieee_mode 1
		.amdhsa_fp16_overflow 0
		.amdhsa_workgroup_processor_mode 1
		.amdhsa_memory_ordered 1
		.amdhsa_forward_progress 0
		.amdhsa_shared_vgpr_count 0
		.amdhsa_exception_fp_ieee_invalid_op 0
		.amdhsa_exception_fp_denorm_src 0
		.amdhsa_exception_fp_ieee_div_zero 0
		.amdhsa_exception_fp_ieee_overflow 0
		.amdhsa_exception_fp_ieee_underflow 0
		.amdhsa_exception_fp_ieee_inexact 0
		.amdhsa_exception_int_div_zero 0
	.end_amdhsa_kernel
	.section	.text._ZL26rocblas_dot_kernel_inc1by2ILb1ELi1024ELi32ELb0EfPKffEviT4_llS2_lliPT5_PT3_,"axG",@progbits,_ZL26rocblas_dot_kernel_inc1by2ILb1ELi1024ELi32ELb0EfPKffEviT4_llS2_lliPT5_PT3_,comdat
.Lfunc_end43:
	.size	_ZL26rocblas_dot_kernel_inc1by2ILb1ELi1024ELi32ELb0EfPKffEviT4_llS2_lliPT5_PT3_, .Lfunc_end43-_ZL26rocblas_dot_kernel_inc1by2ILb1ELi1024ELi32ELb0EfPKffEviT4_llS2_lliPT5_PT3_
                                        ; -- End function
	.section	.AMDGPU.csdata,"",@progbits
; Kernel info:
; codeLenInByte = 1044
; NumSgprs: 26
; NumVgprs: 11
; ScratchSize: 0
; MemoryBound: 0
; FloatMode: 240
; IeeeMode: 1
; LDSByteSize: 128 bytes/workgroup (compile time only)
; SGPRBlocks: 3
; VGPRBlocks: 1
; NumSGPRsForWavesPerEU: 26
; NumVGPRsForWavesPerEU: 11
; Occupancy: 16
; WaveLimiterHint : 0
; COMPUTE_PGM_RSRC2:SCRATCH_EN: 0
; COMPUTE_PGM_RSRC2:USER_SGPR: 14
; COMPUTE_PGM_RSRC2:TRAP_HANDLER: 0
; COMPUTE_PGM_RSRC2:TGID_X_EN: 1
; COMPUTE_PGM_RSRC2:TGID_Y_EN: 0
; COMPUTE_PGM_RSRC2:TGID_Z_EN: 1
; COMPUTE_PGM_RSRC2:TIDIG_COMP_CNT: 0
	.section	.text._ZL18rocblas_dot_kernelIiLb1ELi1024ELi32ELb0EfPKffEviT5_lT_lS2_lS3_liPT6_PT4_,"axG",@progbits,_ZL18rocblas_dot_kernelIiLb1ELi1024ELi32ELb0EfPKffEviT5_lT_lS2_lS3_liPT6_PT4_,comdat
	.globl	_ZL18rocblas_dot_kernelIiLb1ELi1024ELi32ELb0EfPKffEviT5_lT_lS2_lS3_liPT6_PT4_ ; -- Begin function _ZL18rocblas_dot_kernelIiLb1ELi1024ELi32ELb0EfPKffEviT5_lT_lS2_lS3_liPT6_PT4_
	.p2align	8
	.type	_ZL18rocblas_dot_kernelIiLb1ELi1024ELi32ELb0EfPKffEviT5_lT_lS2_lS3_liPT6_PT4_,@function
_ZL18rocblas_dot_kernelIiLb1ELi1024ELi32ELb0EfPKffEviT5_lT_lS2_lS3_liPT6_PT4_: ; @_ZL18rocblas_dot_kernelIiLb1ELi1024ELi32ELb0EfPKffEviT5_lT_lS2_lS3_liPT6_PT4_
; %bb.0:
	s_clause 0x1
	s_load_b32 s10, s[0:1], 0x0
	s_load_b64 s[2:3], s[0:1], 0x58
	v_mov_b32_e32 v5, 0
	s_mov_b32 s8, s15
	s_mov_b32 s9, 0
	s_mov_b32 s11, exec_lo
	s_waitcnt lgkmcnt(0)
	v_cmpx_gt_i32_e64 s10, v0
	s_cbranch_execz .LBB44_4
; %bb.1:
	s_clause 0x6
	s_load_b32 s20, s[0:1], 0x60
	s_load_b128 s[4:7], s[0:1], 0x20
	s_load_b32 s22, s[0:1], 0x18
	s_load_b128 s[12:15], s[0:1], 0x8
	s_load_b64 s[16:17], s[0:1], 0x40
	s_load_b32 s23, s[0:1], 0x38
	s_load_b64 s[18:19], s[0:1], 0x30
	v_mov_b32_e32 v5, 0
	s_waitcnt lgkmcnt(0)
	s_lshl_b32 s1, s20, 10
	s_mul_i32 s0, s5, s8
	v_mad_i64_i32 v[1:2], null, s22, v0, 0
	s_mul_hi_u32 s5, s4, s8
	s_mul_i32 s4, s4, s8
	v_mad_i64_i32 v[3:4], null, s23, v0, 0
	s_add_i32 s5, s5, s0
	s_lshl_b64 s[14:15], s[14:15], 2
	s_delay_alu instid0(VALU_DEP_2)
	v_lshlrev_b64 v[1:2], 2, v[1:2]
	s_lshl_b64 s[4:5], s[4:5], 2
	s_add_u32 s0, s12, s14
	s_addc_u32 s12, s13, s15
	s_mul_i32 s17, s17, s8
	s_mul_hi_u32 s24, s16, s8
	s_add_u32 s0, s0, s4
	s_mul_i32 s16, s16, s8
	s_mul_hi_i32 s21, s22, s1
	s_mul_i32 s20, s22, s1
	s_addc_u32 s12, s12, s5
	s_add_i32 s17, s24, s17
	v_add_co_u32 v1, vcc_lo, s0, v1
	s_lshl_b64 s[14:15], s[18:19], 2
	v_lshlrev_b64 v[3:4], 2, v[3:4]
	s_lshl_b64 s[4:5], s[20:21], 2
	v_add_co_ci_u32_e32 v2, vcc_lo, s12, v2, vcc_lo
	s_lshl_b64 s[12:13], s[16:17], 2
	s_add_u32 s0, s6, s14
	s_addc_u32 s6, s7, s15
	s_add_u32 s0, s0, s12
	s_addc_u32 s6, s6, s13
	v_add_co_u32 v3, vcc_lo, s0, v3
	v_or_b32_e32 v6, s1, v0
	v_add_co_ci_u32_e32 v4, vcc_lo, s6, v4, vcc_lo
	s_mul_hi_i32 s7, s23, s1
	s_mul_i32 s6, s23, s1
	s_mov_b32 s12, s9
	s_lshl_b64 s[6:7], s[6:7], 2
	s_mov_b32 s13, s9
	.p2align	6
.LBB44_2:                               ; =>This Inner Loop Header: Depth=1
	global_load_b32 v7, v[3:4], off
	global_load_b32 v8, v[1:2], off
	v_add_co_u32 v1, s0, v1, s4
	s_delay_alu instid0(VALU_DEP_1)
	v_add_co_ci_u32_e64 v2, s0, s5, v2, s0
	s_add_i32 s14, s13, 1
	v_cmp_le_i32_e32 vcc_lo, s10, v6
	v_add_co_u32 v3, s0, v3, s6
	s_cmp_gt_u32 s13, 30
	v_add_co_ci_u32_e64 v4, s0, s7, v4, s0
	s_cselect_b32 s0, -1, 0
	v_add_nc_u32_e32 v6, s1, v6
	s_or_b32 s0, s0, vcc_lo
	s_mov_b32 s13, s14
	s_and_b32 s0, exec_lo, s0
	s_delay_alu instid0(SALU_CYCLE_1)
	s_or_b32 s12, s0, s12
	s_waitcnt vmcnt(0)
	v_fmac_f32_e32 v5, v7, v8
	s_and_not1_b32 exec_lo, exec_lo, s12
	s_cbranch_execnz .LBB44_2
; %bb.3:
	s_or_b32 exec_lo, exec_lo, s12
.LBB44_4:
	s_delay_alu instid0(SALU_CYCLE_1) | instskip(SKIP_2) | instid1(VALU_DEP_2)
	s_or_b32 exec_lo, exec_lo, s11
	v_and_b32_e32 v7, 31, v0
	v_cmp_gt_u32_e32 vcc_lo, 32, v0
	v_lshlrev_b32_e32 v1, 2, v7
	s_and_saveexec_b32 s0, vcc_lo
	s_cbranch_execz .LBB44_6
; %bb.5:
	v_mov_b32_e32 v2, 0
	ds_store_b32 v1, v2
.LBB44_6:
	s_or_b32 exec_lo, exec_lo, s0
	v_mbcnt_lo_u32_b32 v6, -1, 0
	s_mov_b32 s1, exec_lo
	s_waitcnt lgkmcnt(0)
	s_barrier
	buffer_gl0_inv
	v_cmp_gt_u32_e64 s0, 16, v6
	s_delay_alu instid0(VALU_DEP_1) | instskip(SKIP_1) | instid1(VALU_DEP_2)
	v_cndmask_b32_e64 v2, 0, 1, s0
	v_cmp_gt_u32_e64 s0, 24, v6
	v_lshlrev_b32_e32 v2, 4, v2
	s_delay_alu instid0(VALU_DEP_2) | instskip(SKIP_1) | instid1(VALU_DEP_3)
	v_cndmask_b32_e64 v3, 0, 1, s0
	v_cmp_gt_u32_e64 s0, 28, v6
	v_add_lshl_u32 v2, v2, v6, 2
	ds_bpermute_b32 v4, v2, v5
	s_waitcnt lgkmcnt(0)
	v_add_f32_e32 v5, v5, v4
	v_lshlrev_b32_e32 v3, 3, v3
	v_cndmask_b32_e64 v4, 0, 1, s0
	v_cmp_gt_u32_e64 s0, 30, v6
	s_delay_alu instid0(VALU_DEP_3) | instskip(NEXT) | instid1(VALU_DEP_3)
	v_add_lshl_u32 v3, v3, v6, 2
	v_lshlrev_b32_e32 v4, 2, v4
	ds_bpermute_b32 v8, v3, v5
	v_add_lshl_u32 v4, v4, v6, 2
	s_waitcnt lgkmcnt(0)
	v_add_f32_e32 v8, v5, v8
	v_cndmask_b32_e64 v5, 0, 1, s0
	v_cmp_ne_u32_e64 s0, 31, v6
	ds_bpermute_b32 v9, v4, v8
	v_lshlrev_b32_e32 v5, 1, v5
	s_delay_alu instid0(VALU_DEP_1) | instskip(SKIP_1) | instid1(VALU_DEP_1)
	v_add_lshl_u32 v5, v5, v6, 2
	v_add_co_ci_u32_e64 v6, s0, 0, v6, s0
	v_lshlrev_b32_e32 v6, 2, v6
	s_waitcnt lgkmcnt(0)
	v_add_f32_e32 v8, v8, v9
	ds_bpermute_b32 v9, v5, v8
	s_waitcnt lgkmcnt(0)
	v_add_f32_e32 v8, v8, v9
	ds_bpermute_b32 v9, v6, v8
	v_cmpx_eq_u32_e32 0, v7
	s_cbranch_execz .LBB44_8
; %bb.7:
	v_lshrrev_b32_e32 v7, 3, v0
	s_waitcnt lgkmcnt(0)
	s_delay_alu instid0(VALU_DEP_1)
	v_dual_add_f32 v8, v8, v9 :: v_dual_and_b32 v7, 0x7c, v7
	ds_store_b32 v7, v8
.LBB44_8:
	s_or_b32 exec_lo, exec_lo, s1
	v_mov_b32_e32 v7, 0
	s_waitcnt lgkmcnt(0)
	s_barrier
	buffer_gl0_inv
	s_and_saveexec_b32 s0, vcc_lo
	s_cbranch_execz .LBB44_10
; %bb.9:
	ds_load_b32 v7, v1
.LBB44_10:
	s_or_b32 exec_lo, exec_lo, s0
	s_and_saveexec_b32 s0, vcc_lo
	s_cbranch_execz .LBB44_12
; %bb.11:
	s_waitcnt lgkmcnt(0)
	ds_bpermute_b32 v1, v2, v7
	s_waitcnt lgkmcnt(0)
	v_add_f32_e32 v1, v7, v1
	ds_bpermute_b32 v2, v3, v1
	s_waitcnt lgkmcnt(0)
	v_add_f32_e32 v1, v1, v2
	;; [unrolled: 3-line block ×5, first 2 shown]
.LBB44_12:
	s_or_b32 exec_lo, exec_lo, s0
	s_delay_alu instid0(SALU_CYCLE_1)
	s_mov_b32 s0, exec_lo
	v_cmpx_eq_u32_e32 0, v0
	s_cbranch_execz .LBB44_14
; %bb.13:
	s_lshl_b64 s[0:1], s[8:9], 2
	v_mov_b32_e32 v0, 0
	s_add_u32 s0, s2, s0
	s_addc_u32 s1, s3, s1
	s_waitcnt lgkmcnt(0)
	global_store_b32 v0, v7, s[0:1]
.LBB44_14:
	s_nop 0
	s_sendmsg sendmsg(MSG_DEALLOC_VGPRS)
	s_endpgm
	.section	.rodata,"a",@progbits
	.p2align	6, 0x0
	.amdhsa_kernel _ZL18rocblas_dot_kernelIiLb1ELi1024ELi32ELb0EfPKffEviT5_lT_lS2_lS3_liPT6_PT4_
		.amdhsa_group_segment_fixed_size 128
		.amdhsa_private_segment_fixed_size 0
		.amdhsa_kernarg_size 352
		.amdhsa_user_sgpr_count 14
		.amdhsa_user_sgpr_dispatch_ptr 0
		.amdhsa_user_sgpr_queue_ptr 0
		.amdhsa_user_sgpr_kernarg_segment_ptr 1
		.amdhsa_user_sgpr_dispatch_id 0
		.amdhsa_user_sgpr_private_segment_size 0
		.amdhsa_wavefront_size32 1
		.amdhsa_uses_dynamic_stack 0
		.amdhsa_enable_private_segment 0
		.amdhsa_system_sgpr_workgroup_id_x 1
		.amdhsa_system_sgpr_workgroup_id_y 0
		.amdhsa_system_sgpr_workgroup_id_z 1
		.amdhsa_system_sgpr_workgroup_info 0
		.amdhsa_system_vgpr_workitem_id 0
		.amdhsa_next_free_vgpr 10
		.amdhsa_next_free_sgpr 25
		.amdhsa_reserve_vcc 1
		.amdhsa_float_round_mode_32 0
		.amdhsa_float_round_mode_16_64 0
		.amdhsa_float_denorm_mode_32 3
		.amdhsa_float_denorm_mode_16_64 3
		.amdhsa_dx10_clamp 1
		.amdhsa_ieee_mode 1
		.amdhsa_fp16_overflow 0
		.amdhsa_workgroup_processor_mode 1
		.amdhsa_memory_ordered 1
		.amdhsa_forward_progress 0
		.amdhsa_shared_vgpr_count 0
		.amdhsa_exception_fp_ieee_invalid_op 0
		.amdhsa_exception_fp_denorm_src 0
		.amdhsa_exception_fp_ieee_div_zero 0
		.amdhsa_exception_fp_ieee_overflow 0
		.amdhsa_exception_fp_ieee_underflow 0
		.amdhsa_exception_fp_ieee_inexact 0
		.amdhsa_exception_int_div_zero 0
	.end_amdhsa_kernel
	.section	.text._ZL18rocblas_dot_kernelIiLb1ELi1024ELi32ELb0EfPKffEviT5_lT_lS2_lS3_liPT6_PT4_,"axG",@progbits,_ZL18rocblas_dot_kernelIiLb1ELi1024ELi32ELb0EfPKffEviT5_lT_lS2_lS3_liPT6_PT4_,comdat
.Lfunc_end44:
	.size	_ZL18rocblas_dot_kernelIiLb1ELi1024ELi32ELb0EfPKffEviT5_lT_lS2_lS3_liPT6_PT4_, .Lfunc_end44-_ZL18rocblas_dot_kernelIiLb1ELi1024ELi32ELb0EfPKffEviT5_lT_lS2_lS3_liPT6_PT4_
                                        ; -- End function
	.section	.AMDGPU.csdata,"",@progbits
; Kernel info:
; codeLenInByte = 940
; NumSgprs: 27
; NumVgprs: 10
; ScratchSize: 0
; MemoryBound: 0
; FloatMode: 240
; IeeeMode: 1
; LDSByteSize: 128 bytes/workgroup (compile time only)
; SGPRBlocks: 3
; VGPRBlocks: 1
; NumSGPRsForWavesPerEU: 27
; NumVGPRsForWavesPerEU: 10
; Occupancy: 16
; WaveLimiterHint : 0
; COMPUTE_PGM_RSRC2:SCRATCH_EN: 0
; COMPUTE_PGM_RSRC2:USER_SGPR: 14
; COMPUTE_PGM_RSRC2:TRAP_HANDLER: 0
; COMPUTE_PGM_RSRC2:TGID_X_EN: 1
; COMPUTE_PGM_RSRC2:TGID_Y_EN: 0
; COMPUTE_PGM_RSRC2:TGID_Z_EN: 1
; COMPUTE_PGM_RSRC2:TIDIG_COMP_CNT: 0
	.section	.text._ZL24rocblas_dot_kernel_magsqIiLb1ELi1024ELi32ELb0EfPKffEviT5_lT_liPT6_PT4_,"axG",@progbits,_ZL24rocblas_dot_kernel_magsqIiLb1ELi1024ELi32ELb0EfPKffEviT5_lT_liPT6_PT4_,comdat
	.globl	_ZL24rocblas_dot_kernel_magsqIiLb1ELi1024ELi32ELb0EfPKffEviT5_lT_liPT6_PT4_ ; -- Begin function _ZL24rocblas_dot_kernel_magsqIiLb1ELi1024ELi32ELb0EfPKffEviT5_lT_liPT6_PT4_
	.p2align	8
	.type	_ZL24rocblas_dot_kernel_magsqIiLb1ELi1024ELi32ELb0EfPKffEviT5_lT_liPT6_PT4_,@function
_ZL24rocblas_dot_kernel_magsqIiLb1ELi1024ELi32ELb0EfPKffEviT5_lT_liPT6_PT4_: ; @_ZL24rocblas_dot_kernel_magsqIiLb1ELi1024ELi32ELb0EfPKffEviT5_lT_liPT6_PT4_
; %bb.0:
	s_clause 0x1
	s_load_b32 s8, s[0:1], 0x0
	s_load_b64 s[2:3], s[0:1], 0x38
	v_mov_b32_e32 v3, 0
	s_mov_b32 s4, s15
	s_mov_b32 s5, 0
	s_mov_b32 s9, exec_lo
	s_waitcnt lgkmcnt(0)
	v_cmpx_gt_i32_e64 s8, v0
	s_cbranch_execz .LBB45_4
; %bb.1:
	s_clause 0x3
	s_load_b32 s10, s[0:1], 0x40
	s_load_b64 s[6:7], s[0:1], 0x20
	s_load_b32 s16, s[0:1], 0x18
	s_load_b128 s[12:15], s[0:1], 0x8
	v_mov_b32_e32 v3, 0
	s_waitcnt lgkmcnt(0)
	s_lshl_b32 s1, s10, 10
	s_mul_i32 s0, s7, s4
	v_mad_i64_i32 v[1:2], null, s16, v0, 0
	s_mul_hi_u32 s7, s6, s4
	s_mul_i32 s6, s6, s4
	s_add_i32 s7, s7, s0
	s_lshl_b64 s[10:11], s[14:15], 2
	s_lshl_b64 s[6:7], s[6:7], 2
	s_add_u32 s0, s12, s10
	s_delay_alu instid0(VALU_DEP_1)
	v_lshlrev_b64 v[1:2], 2, v[1:2]
	s_addc_u32 s10, s13, s11
	s_add_u32 s0, s0, s6
	s_addc_u32 s6, s10, s7
	v_or_b32_e32 v4, s1, v0
	s_mul_hi_i32 s15, s16, s1
	v_add_co_u32 v1, vcc_lo, s0, v1
	v_add_co_ci_u32_e32 v2, vcc_lo, s6, v2, vcc_lo
	s_mul_i32 s14, s16, s1
	s_mov_b32 s10, s5
	s_lshl_b64 s[6:7], s[14:15], 2
	s_mov_b32 s11, s5
	.p2align	6
.LBB45_2:                               ; =>This Inner Loop Header: Depth=1
	global_load_b32 v5, v[1:2], off
	s_add_i32 s12, s11, 1
	v_cmp_le_i32_e32 vcc_lo, s8, v4
	v_add_co_u32 v1, s0, v1, s6
	s_cmp_gt_u32 s11, 30
	v_add_co_ci_u32_e64 v2, s0, s7, v2, s0
	s_cselect_b32 s0, -1, 0
	v_add_nc_u32_e32 v4, s1, v4
	s_or_b32 s0, s0, vcc_lo
	s_mov_b32 s11, s12
	s_and_b32 s0, exec_lo, s0
	s_delay_alu instid0(SALU_CYCLE_1)
	s_or_b32 s10, s0, s10
	s_waitcnt vmcnt(0)
	v_fmac_f32_e32 v3, v5, v5
	s_and_not1_b32 exec_lo, exec_lo, s10
	s_cbranch_execnz .LBB45_2
; %bb.3:
	s_or_b32 exec_lo, exec_lo, s10
.LBB45_4:
	s_delay_alu instid0(SALU_CYCLE_1) | instskip(SKIP_2) | instid1(VALU_DEP_2)
	s_or_b32 exec_lo, exec_lo, s9
	v_and_b32_e32 v7, 31, v0
	v_cmp_gt_u32_e32 vcc_lo, 32, v0
	v_lshlrev_b32_e32 v1, 2, v7
	s_and_saveexec_b32 s0, vcc_lo
	s_cbranch_execz .LBB45_6
; %bb.5:
	v_mov_b32_e32 v2, 0
	ds_store_b32 v1, v2
.LBB45_6:
	s_or_b32 exec_lo, exec_lo, s0
	v_mbcnt_lo_u32_b32 v6, -1, 0
	s_mov_b32 s1, exec_lo
	s_waitcnt lgkmcnt(0)
	s_barrier
	buffer_gl0_inv
	v_cmp_gt_u32_e64 s0, 16, v6
	s_delay_alu instid0(VALU_DEP_1) | instskip(SKIP_1) | instid1(VALU_DEP_2)
	v_cndmask_b32_e64 v2, 0, 1, s0
	v_cmp_gt_u32_e64 s0, 24, v6
	v_lshlrev_b32_e32 v2, 4, v2
	s_delay_alu instid0(VALU_DEP_2) | instskip(SKIP_1) | instid1(VALU_DEP_3)
	v_cndmask_b32_e64 v4, 0, 1, s0
	v_cmp_gt_u32_e64 s0, 28, v6
	v_add_lshl_u32 v2, v2, v6, 2
	s_delay_alu instid0(VALU_DEP_3)
	v_lshlrev_b32_e32 v4, 3, v4
	ds_bpermute_b32 v5, v2, v3
	v_add_lshl_u32 v4, v4, v6, 2
	s_waitcnt lgkmcnt(0)
	v_add_f32_e32 v5, v3, v5
	v_cndmask_b32_e64 v3, 0, 1, s0
	v_cmp_gt_u32_e64 s0, 30, v6
	ds_bpermute_b32 v8, v4, v5
	s_waitcnt lgkmcnt(0)
	v_dual_add_f32 v8, v5, v8 :: v_dual_lshlrev_b32 v3, 2, v3
	s_delay_alu instid0(VALU_DEP_1) | instskip(SKIP_4) | instid1(VALU_DEP_1)
	v_add_lshl_u32 v3, v3, v6, 2
	v_cndmask_b32_e64 v5, 0, 1, s0
	v_cmp_ne_u32_e64 s0, 31, v6
	ds_bpermute_b32 v9, v3, v8
	v_lshlrev_b32_e32 v5, 1, v5
	v_add_lshl_u32 v5, v5, v6, 2
	v_add_co_ci_u32_e64 v6, s0, 0, v6, s0
	s_delay_alu instid0(VALU_DEP_1)
	v_lshlrev_b32_e32 v6, 2, v6
	s_waitcnt lgkmcnt(0)
	v_add_f32_e32 v8, v8, v9
	ds_bpermute_b32 v9, v5, v8
	s_waitcnt lgkmcnt(0)
	v_add_f32_e32 v8, v8, v9
	ds_bpermute_b32 v9, v6, v8
	v_cmpx_eq_u32_e32 0, v7
	s_cbranch_execz .LBB45_8
; %bb.7:
	v_lshrrev_b32_e32 v7, 3, v0
	s_waitcnt lgkmcnt(0)
	s_delay_alu instid0(VALU_DEP_1)
	v_dual_add_f32 v8, v8, v9 :: v_dual_and_b32 v7, 0x7c, v7
	ds_store_b32 v7, v8
.LBB45_8:
	s_or_b32 exec_lo, exec_lo, s1
	v_mov_b32_e32 v7, 0
	s_waitcnt lgkmcnt(0)
	s_barrier
	buffer_gl0_inv
	s_and_saveexec_b32 s0, vcc_lo
	s_cbranch_execz .LBB45_10
; %bb.9:
	ds_load_b32 v7, v1
.LBB45_10:
	s_or_b32 exec_lo, exec_lo, s0
	s_and_saveexec_b32 s0, vcc_lo
	s_cbranch_execz .LBB45_12
; %bb.11:
	s_waitcnt lgkmcnt(0)
	ds_bpermute_b32 v1, v2, v7
	s_waitcnt lgkmcnt(0)
	v_add_f32_e32 v1, v7, v1
	ds_bpermute_b32 v2, v4, v1
	s_waitcnt lgkmcnt(0)
	v_add_f32_e32 v1, v1, v2
	;; [unrolled: 3-line block ×5, first 2 shown]
.LBB45_12:
	s_or_b32 exec_lo, exec_lo, s0
	s_delay_alu instid0(SALU_CYCLE_1)
	s_mov_b32 s0, exec_lo
	v_cmpx_eq_u32_e32 0, v0
	s_cbranch_execz .LBB45_14
; %bb.13:
	s_lshl_b64 s[0:1], s[4:5], 2
	v_mov_b32_e32 v0, 0
	s_add_u32 s0, s2, s0
	s_addc_u32 s1, s3, s1
	s_waitcnt lgkmcnt(0)
	global_store_b32 v0, v7, s[0:1]
.LBB45_14:
	s_nop 0
	s_sendmsg sendmsg(MSG_DEALLOC_VGPRS)
	s_endpgm
	.section	.rodata,"a",@progbits
	.p2align	6, 0x0
	.amdhsa_kernel _ZL24rocblas_dot_kernel_magsqIiLb1ELi1024ELi32ELb0EfPKffEviT5_lT_liPT6_PT4_
		.amdhsa_group_segment_fixed_size 128
		.amdhsa_private_segment_fixed_size 0
		.amdhsa_kernarg_size 320
		.amdhsa_user_sgpr_count 14
		.amdhsa_user_sgpr_dispatch_ptr 0
		.amdhsa_user_sgpr_queue_ptr 0
		.amdhsa_user_sgpr_kernarg_segment_ptr 1
		.amdhsa_user_sgpr_dispatch_id 0
		.amdhsa_user_sgpr_private_segment_size 0
		.amdhsa_wavefront_size32 1
		.amdhsa_uses_dynamic_stack 0
		.amdhsa_enable_private_segment 0
		.amdhsa_system_sgpr_workgroup_id_x 1
		.amdhsa_system_sgpr_workgroup_id_y 0
		.amdhsa_system_sgpr_workgroup_id_z 1
		.amdhsa_system_sgpr_workgroup_info 0
		.amdhsa_system_vgpr_workitem_id 0
		.amdhsa_next_free_vgpr 10
		.amdhsa_next_free_sgpr 17
		.amdhsa_reserve_vcc 1
		.amdhsa_float_round_mode_32 0
		.amdhsa_float_round_mode_16_64 0
		.amdhsa_float_denorm_mode_32 3
		.amdhsa_float_denorm_mode_16_64 3
		.amdhsa_dx10_clamp 1
		.amdhsa_ieee_mode 1
		.amdhsa_fp16_overflow 0
		.amdhsa_workgroup_processor_mode 1
		.amdhsa_memory_ordered 1
		.amdhsa_forward_progress 0
		.amdhsa_shared_vgpr_count 0
		.amdhsa_exception_fp_ieee_invalid_op 0
		.amdhsa_exception_fp_denorm_src 0
		.amdhsa_exception_fp_ieee_div_zero 0
		.amdhsa_exception_fp_ieee_overflow 0
		.amdhsa_exception_fp_ieee_underflow 0
		.amdhsa_exception_fp_ieee_inexact 0
		.amdhsa_exception_int_div_zero 0
	.end_amdhsa_kernel
	.section	.text._ZL24rocblas_dot_kernel_magsqIiLb1ELi1024ELi32ELb0EfPKffEviT5_lT_liPT6_PT4_,"axG",@progbits,_ZL24rocblas_dot_kernel_magsqIiLb1ELi1024ELi32ELb0EfPKffEviT5_lT_liPT6_PT4_,comdat
.Lfunc_end45:
	.size	_ZL24rocblas_dot_kernel_magsqIiLb1ELi1024ELi32ELb0EfPKffEviT5_lT_liPT6_PT4_, .Lfunc_end45-_ZL24rocblas_dot_kernel_magsqIiLb1ELi1024ELi32ELb0EfPKffEviT5_lT_liPT6_PT4_
                                        ; -- End function
	.section	.AMDGPU.csdata,"",@progbits
; Kernel info:
; codeLenInByte = 812
; NumSgprs: 19
; NumVgprs: 10
; ScratchSize: 0
; MemoryBound: 0
; FloatMode: 240
; IeeeMode: 1
; LDSByteSize: 128 bytes/workgroup (compile time only)
; SGPRBlocks: 2
; VGPRBlocks: 1
; NumSGPRsForWavesPerEU: 19
; NumVGPRsForWavesPerEU: 10
; Occupancy: 16
; WaveLimiterHint : 0
; COMPUTE_PGM_RSRC2:SCRATCH_EN: 0
; COMPUTE_PGM_RSRC2:USER_SGPR: 14
; COMPUTE_PGM_RSRC2:TRAP_HANDLER: 0
; COMPUTE_PGM_RSRC2:TGID_X_EN: 1
; COMPUTE_PGM_RSRC2:TGID_Y_EN: 0
; COMPUTE_PGM_RSRC2:TGID_Z_EN: 1
; COMPUTE_PGM_RSRC2:TIDIG_COMP_CNT: 0
	.section	.text._ZL38rocblas_dot_kernel_gfx942_float_doubleIiLi1024EfPKffEviT2_lT_lS2_lS3_lPT3_PT1_,"axG",@progbits,_ZL38rocblas_dot_kernel_gfx942_float_doubleIiLi1024EfPKffEviT2_lT_lS2_lS3_lPT3_PT1_,comdat
	.globl	_ZL38rocblas_dot_kernel_gfx942_float_doubleIiLi1024EfPKffEviT2_lT_lS2_lS3_lPT3_PT1_ ; -- Begin function _ZL38rocblas_dot_kernel_gfx942_float_doubleIiLi1024EfPKffEviT2_lT_lS2_lS3_lPT3_PT1_
	.p2align	8
	.type	_ZL38rocblas_dot_kernel_gfx942_float_doubleIiLi1024EfPKffEviT2_lT_lS2_lS3_lPT3_PT1_,@function
_ZL38rocblas_dot_kernel_gfx942_float_doubleIiLi1024EfPKffEviT2_lT_lS2_lS3_lPT3_PT1_: ; @_ZL38rocblas_dot_kernel_gfx942_float_doubleIiLi1024EfPKffEviT2_lT_lS2_lS3_lPT3_PT1_
; %bb.0:
	s_endpgm
	.section	.rodata,"a",@progbits
	.p2align	6, 0x0
	.amdhsa_kernel _ZL38rocblas_dot_kernel_gfx942_float_doubleIiLi1024EfPKffEviT2_lT_lS2_lS3_lPT3_PT1_
		.amdhsa_group_segment_fixed_size 0
		.amdhsa_private_segment_fixed_size 0
		.amdhsa_kernarg_size 88
		.amdhsa_user_sgpr_count 15
		.amdhsa_user_sgpr_dispatch_ptr 0
		.amdhsa_user_sgpr_queue_ptr 0
		.amdhsa_user_sgpr_kernarg_segment_ptr 1
		.amdhsa_user_sgpr_dispatch_id 0
		.amdhsa_user_sgpr_private_segment_size 0
		.amdhsa_wavefront_size32 1
		.amdhsa_uses_dynamic_stack 0
		.amdhsa_enable_private_segment 0
		.amdhsa_system_sgpr_workgroup_id_x 1
		.amdhsa_system_sgpr_workgroup_id_y 0
		.amdhsa_system_sgpr_workgroup_id_z 0
		.amdhsa_system_sgpr_workgroup_info 0
		.amdhsa_system_vgpr_workitem_id 0
		.amdhsa_next_free_vgpr 1
		.amdhsa_next_free_sgpr 1
		.amdhsa_reserve_vcc 0
		.amdhsa_float_round_mode_32 0
		.amdhsa_float_round_mode_16_64 0
		.amdhsa_float_denorm_mode_32 3
		.amdhsa_float_denorm_mode_16_64 3
		.amdhsa_dx10_clamp 1
		.amdhsa_ieee_mode 1
		.amdhsa_fp16_overflow 0
		.amdhsa_workgroup_processor_mode 1
		.amdhsa_memory_ordered 1
		.amdhsa_forward_progress 0
		.amdhsa_shared_vgpr_count 0
		.amdhsa_exception_fp_ieee_invalid_op 0
		.amdhsa_exception_fp_denorm_src 0
		.amdhsa_exception_fp_ieee_div_zero 0
		.amdhsa_exception_fp_ieee_overflow 0
		.amdhsa_exception_fp_ieee_underflow 0
		.amdhsa_exception_fp_ieee_inexact 0
		.amdhsa_exception_int_div_zero 0
	.end_amdhsa_kernel
	.section	.text._ZL38rocblas_dot_kernel_gfx942_float_doubleIiLi1024EfPKffEviT2_lT_lS2_lS3_lPT3_PT1_,"axG",@progbits,_ZL38rocblas_dot_kernel_gfx942_float_doubleIiLi1024EfPKffEviT2_lT_lS2_lS3_lPT3_PT1_,comdat
.Lfunc_end46:
	.size	_ZL38rocblas_dot_kernel_gfx942_float_doubleIiLi1024EfPKffEviT2_lT_lS2_lS3_lPT3_PT1_, .Lfunc_end46-_ZL38rocblas_dot_kernel_gfx942_float_doubleIiLi1024EfPKffEviT2_lT_lS2_lS3_lPT3_PT1_
                                        ; -- End function
	.section	.AMDGPU.csdata,"",@progbits
; Kernel info:
; codeLenInByte = 4
; NumSgprs: 0
; NumVgprs: 0
; ScratchSize: 0
; MemoryBound: 0
; FloatMode: 240
; IeeeMode: 1
; LDSByteSize: 0 bytes/workgroup (compile time only)
; SGPRBlocks: 0
; VGPRBlocks: 0
; NumSGPRsForWavesPerEU: 1
; NumVGPRsForWavesPerEU: 1
; Occupancy: 16
; WaveLimiterHint : 0
; COMPUTE_PGM_RSRC2:SCRATCH_EN: 0
; COMPUTE_PGM_RSRC2:USER_SGPR: 15
; COMPUTE_PGM_RSRC2:TRAP_HANDLER: 0
; COMPUTE_PGM_RSRC2:TGID_X_EN: 1
; COMPUTE_PGM_RSRC2:TGID_Y_EN: 0
; COMPUTE_PGM_RSRC2:TGID_Z_EN: 0
; COMPUTE_PGM_RSRC2:TIDIG_COMP_CNT: 0
	.section	.text._ZL23rocblas_dot_kernel_inc1ILb0ELi512ELi4ELb0EfPKffEviT4_llS2_lliPT5_PT3_,"axG",@progbits,_ZL23rocblas_dot_kernel_inc1ILb0ELi512ELi4ELb0EfPKffEviT4_llS2_lliPT5_PT3_,comdat
	.globl	_ZL23rocblas_dot_kernel_inc1ILb0ELi512ELi4ELb0EfPKffEviT4_llS2_lliPT5_PT3_ ; -- Begin function _ZL23rocblas_dot_kernel_inc1ILb0ELi512ELi4ELb0EfPKffEviT4_llS2_lliPT5_PT3_
	.p2align	8
	.type	_ZL23rocblas_dot_kernel_inc1ILb0ELi512ELi4ELb0EfPKffEviT4_llS2_lliPT5_PT3_,@function
_ZL23rocblas_dot_kernel_inc1ILb0ELi512ELi4ELb0EfPKffEviT4_llS2_lliPT5_PT3_: ; @_ZL23rocblas_dot_kernel_inc1ILb0ELi512ELi4ELb0EfPKffEviT4_llS2_lliPT5_PT3_
; %bb.0:
	s_clause 0x2
	s_load_b32 s12, s[0:1], 0x50
	s_load_b32 s13, s[0:1], 0x0
	s_load_b128 s[4:7], s[0:1], 0x40
	v_lshl_or_b32 v1, s14, 9, v0
	v_mov_b32_e32 v4, 0
	s_mov_b32 s2, s15
	s_mov_b32 s3, 0
	s_mov_b32 s15, exec_lo
	s_waitcnt lgkmcnt(0)
	v_cmpx_gt_i32_e64 s13, v1
	s_cbranch_execz .LBB47_4
; %bb.1:
	s_clause 0x3
	s_load_b128 s[8:11], s[0:1], 0x10
	s_load_b128 s[20:23], s[0:1], 0x28
	s_load_b64 s[16:17], s[0:1], 0x8
	s_load_b64 s[18:19], s[0:1], 0x20
	v_ashrrev_i32_e32 v2, 31, v1
	s_delay_alu instid0(VALU_DEP_1)
	v_lshlrev_b64 v[2:3], 2, v[1:2]
	s_waitcnt lgkmcnt(0)
	s_mul_i32 s1, s2, s11
	s_mul_hi_u32 s11, s2, s10
	s_mul_i32 s0, s2, s10
	s_add_i32 s1, s11, s1
	s_mul_i32 s11, s2, s23
	s_lshl_b64 s[0:1], s[0:1], 2
	s_mul_hi_u32 s23, s2, s22
	s_add_u32 s0, s16, s0
	s_addc_u32 s16, s17, s1
	s_lshl_b64 s[8:9], s[8:9], 2
	s_mul_i32 s10, s2, s22
	s_add_u32 s1, s0, s8
	s_addc_u32 s16, s16, s9
	s_add_i32 s11, s23, s11
	s_delay_alu instid0(SALU_CYCLE_1) | instskip(NEXT) | instid1(SALU_CYCLE_1)
	s_lshl_b64 s[8:9], s[10:11], 2
	s_add_u32 s0, s18, s8
	s_addc_u32 s10, s19, s9
	s_lshl_b64 s[8:9], s[20:21], 2
	s_mov_b32 s19, s3
	s_add_u32 s17, s0, s8
	s_addc_u32 s18, s10, s9
	s_lshl_b32 s8, s12, 9
	s_delay_alu instid0(SALU_CYCLE_1) | instskip(SKIP_1) | instid1(SALU_CYCLE_1)
	v_dual_mov_b32 v4, 0 :: v_dual_add_nc_u32 v1, s8, v1
	s_ashr_i32 s9, s8, 31
	s_lshl_b64 s[10:11], s[8:9], 2
	s_mov_b32 s9, s3
	.p2align	6
.LBB47_2:                               ; =>This Inner Loop Header: Depth=1
	v_add_co_u32 v5, vcc_lo, s17, v2
	v_add_co_ci_u32_e32 v6, vcc_lo, s18, v3, vcc_lo
	v_add_co_u32 v7, vcc_lo, s1, v2
	v_add_co_ci_u32_e32 v8, vcc_lo, s16, v3, vcc_lo
	s_add_i32 s20, s19, 1
	global_load_b32 v5, v[5:6], off
	global_load_b32 v6, v[7:8], off
	v_cmp_le_i32_e32 vcc_lo, s13, v1
	v_add_co_u32 v2, s0, v2, s10
	s_cmp_gt_u32 s19, 2
	v_add_co_ci_u32_e64 v3, s0, s11, v3, s0
	s_cselect_b32 s0, -1, 0
	v_add_nc_u32_e32 v1, s8, v1
	s_or_b32 s0, s0, vcc_lo
	s_mov_b32 s19, s20
	s_and_b32 s0, exec_lo, s0
	s_delay_alu instid0(SALU_CYCLE_1)
	s_or_b32 s9, s0, s9
	s_waitcnt vmcnt(0)
	v_fmac_f32_e32 v4, v5, v6
	s_and_not1_b32 exec_lo, exec_lo, s9
	s_cbranch_execnz .LBB47_2
; %bb.3:
	s_or_b32 exec_lo, exec_lo, s9
.LBB47_4:
	s_delay_alu instid0(SALU_CYCLE_1) | instskip(SKIP_2) | instid1(VALU_DEP_2)
	s_or_b32 exec_lo, exec_lo, s15
	v_and_b32_e32 v2, 31, v0
	v_cmp_gt_u32_e32 vcc_lo, 32, v0
	v_lshlrev_b32_e32 v1, 2, v2
	s_and_saveexec_b32 s0, vcc_lo
	s_cbranch_execz .LBB47_6
; %bb.5:
	v_mov_b32_e32 v3, 0
	ds_store_b32 v1, v3
.LBB47_6:
	s_or_b32 exec_lo, exec_lo, s0
	v_mbcnt_lo_u32_b32 v6, -1, 0
	s_mov_b32 s1, exec_lo
	s_waitcnt lgkmcnt(0)
	s_barrier
	buffer_gl0_inv
	v_cmp_gt_u32_e64 s0, 16, v6
	s_delay_alu instid0(VALU_DEP_1) | instskip(SKIP_1) | instid1(VALU_DEP_2)
	v_cndmask_b32_e64 v3, 0, 1, s0
	v_cmp_gt_u32_e64 s0, 24, v6
	v_lshlrev_b32_e32 v3, 4, v3
	s_delay_alu instid0(VALU_DEP_1) | instskip(SKIP_3) | instid1(VALU_DEP_2)
	v_add_lshl_u32 v3, v3, v6, 2
	ds_bpermute_b32 v5, v3, v4
	v_cndmask_b32_e64 v3, 0, 1, s0
	v_cmp_gt_u32_e64 s0, 28, v6
	v_lshlrev_b32_e32 v3, 3, v3
	s_delay_alu instid0(VALU_DEP_1) | instskip(SKIP_4) | instid1(VALU_DEP_2)
	v_add_lshl_u32 v3, v3, v6, 2
	s_waitcnt lgkmcnt(0)
	v_add_f32_e32 v5, v4, v5
	v_cndmask_b32_e64 v4, 0, 1, s0
	v_cmp_gt_u32_e64 s0, 30, v6
	v_lshlrev_b32_e32 v4, 2, v4
	ds_bpermute_b32 v7, v3, v5
	v_add_lshl_u32 v4, v4, v6, 2
	s_waitcnt lgkmcnt(0)
	v_add_f32_e32 v7, v5, v7
	v_cndmask_b32_e64 v5, 0, 1, s0
	v_cmp_ne_u32_e64 s0, 31, v6
	s_delay_alu instid0(VALU_DEP_2) | instskip(NEXT) | instid1(VALU_DEP_1)
	v_lshlrev_b32_e32 v5, 1, v5
	v_add_lshl_u32 v5, v5, v6, 2
	s_delay_alu instid0(VALU_DEP_3) | instskip(NEXT) | instid1(VALU_DEP_1)
	v_add_co_ci_u32_e64 v6, s0, 0, v6, s0
	v_lshlrev_b32_e32 v6, 2, v6
	ds_bpermute_b32 v8, v4, v7
	s_waitcnt lgkmcnt(0)
	v_add_f32_e32 v7, v7, v8
	ds_bpermute_b32 v8, v5, v7
	s_waitcnt lgkmcnt(0)
	v_add_f32_e32 v7, v7, v8
	ds_bpermute_b32 v8, v6, v7
	v_cmpx_eq_u32_e32 0, v2
	s_cbranch_execz .LBB47_8
; %bb.7:
	v_lshrrev_b32_e32 v2, 3, v0
	s_waitcnt lgkmcnt(0)
	s_delay_alu instid0(VALU_DEP_1)
	v_dual_add_f32 v7, v7, v8 :: v_dual_and_b32 v2, 60, v2
	ds_store_b32 v2, v7
.LBB47_8:
	s_or_b32 exec_lo, exec_lo, s1
	v_mov_b32_e32 v2, 0
	s_mov_b32 s1, exec_lo
	s_waitcnt lgkmcnt(0)
	s_barrier
	buffer_gl0_inv
	v_cmpx_gt_u32_e32 16, v0
	s_cbranch_execz .LBB47_10
; %bb.9:
	ds_load_b32 v2, v1
.LBB47_10:
	s_or_b32 exec_lo, exec_lo, s1
	s_and_saveexec_b32 s0, vcc_lo
	s_cbranch_execz .LBB47_12
; %bb.11:
	s_waitcnt lgkmcnt(0)
	ds_bpermute_b32 v1, v3, v2
	s_waitcnt lgkmcnt(0)
	v_add_f32_e32 v1, v2, v1
	ds_bpermute_b32 v2, v4, v1
	s_waitcnt lgkmcnt(0)
	v_add_f32_e32 v1, v1, v2
	;; [unrolled: 3-line block ×4, first 2 shown]
.LBB47_12:
	s_or_b32 exec_lo, exec_lo, s0
	s_delay_alu instid0(SALU_CYCLE_1)
	s_mov_b32 s0, exec_lo
	v_cmpx_eq_u32_e32 0, v0
	s_cbranch_execz .LBB47_18
; %bb.13:
	s_cmp_lg_u32 s12, 1
	s_cbranch_scc0 .LBB47_15
; %bb.14:
	s_mul_hi_u32 s1, s12, s2
	s_mul_i32 s0, s12, s2
	s_mov_b32 s15, 0
	s_lshl_b64 s[0:1], s[0:1], 2
	s_delay_alu instid0(SALU_CYCLE_1) | instskip(SKIP_2) | instid1(SALU_CYCLE_1)
	s_add_u32 s4, s4, s0
	s_addc_u32 s5, s5, s1
	s_lshl_b64 s[0:1], s[14:15], 2
	s_add_u32 s0, s4, s0
	s_addc_u32 s1, s5, s1
	s_cbranch_execz .LBB47_16
	s_branch .LBB47_17
.LBB47_15:
                                        ; implicit-def: $sgpr0_sgpr1
.LBB47_16:
	s_lshl_b64 s[0:1], s[2:3], 2
	s_delay_alu instid0(SALU_CYCLE_1)
	s_add_u32 s0, s6, s0
	s_addc_u32 s1, s7, s1
.LBB47_17:
	v_mov_b32_e32 v0, 0
	s_waitcnt lgkmcnt(0)
	global_store_b32 v0, v2, s[0:1]
.LBB47_18:
	s_nop 0
	s_sendmsg sendmsg(MSG_DEALLOC_VGPRS)
	s_endpgm
	.section	.rodata,"a",@progbits
	.p2align	6, 0x0
	.amdhsa_kernel _ZL23rocblas_dot_kernel_inc1ILb0ELi512ELi4ELb0EfPKffEviT4_llS2_lliPT5_PT3_
		.amdhsa_group_segment_fixed_size 128
		.amdhsa_private_segment_fixed_size 0
		.amdhsa_kernarg_size 336
		.amdhsa_user_sgpr_count 14
		.amdhsa_user_sgpr_dispatch_ptr 0
		.amdhsa_user_sgpr_queue_ptr 0
		.amdhsa_user_sgpr_kernarg_segment_ptr 1
		.amdhsa_user_sgpr_dispatch_id 0
		.amdhsa_user_sgpr_private_segment_size 0
		.amdhsa_wavefront_size32 1
		.amdhsa_uses_dynamic_stack 0
		.amdhsa_enable_private_segment 0
		.amdhsa_system_sgpr_workgroup_id_x 1
		.amdhsa_system_sgpr_workgroup_id_y 0
		.amdhsa_system_sgpr_workgroup_id_z 1
		.amdhsa_system_sgpr_workgroup_info 0
		.amdhsa_system_vgpr_workitem_id 0
		.amdhsa_next_free_vgpr 9
		.amdhsa_next_free_sgpr 24
		.amdhsa_reserve_vcc 1
		.amdhsa_float_round_mode_32 0
		.amdhsa_float_round_mode_16_64 0
		.amdhsa_float_denorm_mode_32 3
		.amdhsa_float_denorm_mode_16_64 3
		.amdhsa_dx10_clamp 1
		.amdhsa_ieee_mode 1
		.amdhsa_fp16_overflow 0
		.amdhsa_workgroup_processor_mode 1
		.amdhsa_memory_ordered 1
		.amdhsa_forward_progress 0
		.amdhsa_shared_vgpr_count 0
		.amdhsa_exception_fp_ieee_invalid_op 0
		.amdhsa_exception_fp_denorm_src 0
		.amdhsa_exception_fp_ieee_div_zero 0
		.amdhsa_exception_fp_ieee_overflow 0
		.amdhsa_exception_fp_ieee_underflow 0
		.amdhsa_exception_fp_ieee_inexact 0
		.amdhsa_exception_int_div_zero 0
	.end_amdhsa_kernel
	.section	.text._ZL23rocblas_dot_kernel_inc1ILb0ELi512ELi4ELb0EfPKffEviT4_llS2_lliPT5_PT3_,"axG",@progbits,_ZL23rocblas_dot_kernel_inc1ILb0ELi512ELi4ELb0EfPKffEviT4_llS2_lliPT5_PT3_,comdat
.Lfunc_end47:
	.size	_ZL23rocblas_dot_kernel_inc1ILb0ELi512ELi4ELb0EfPKffEviT4_llS2_lliPT5_PT3_, .Lfunc_end47-_ZL23rocblas_dot_kernel_inc1ILb0ELi512ELi4ELb0EfPKffEviT4_llS2_lliPT5_PT3_
                                        ; -- End function
	.section	.AMDGPU.csdata,"",@progbits
; Kernel info:
; codeLenInByte = 932
; NumSgprs: 26
; NumVgprs: 9
; ScratchSize: 0
; MemoryBound: 0
; FloatMode: 240
; IeeeMode: 1
; LDSByteSize: 128 bytes/workgroup (compile time only)
; SGPRBlocks: 3
; VGPRBlocks: 1
; NumSGPRsForWavesPerEU: 26
; NumVGPRsForWavesPerEU: 9
; Occupancy: 16
; WaveLimiterHint : 0
; COMPUTE_PGM_RSRC2:SCRATCH_EN: 0
; COMPUTE_PGM_RSRC2:USER_SGPR: 14
; COMPUTE_PGM_RSRC2:TRAP_HANDLER: 0
; COMPUTE_PGM_RSRC2:TGID_X_EN: 1
; COMPUTE_PGM_RSRC2:TGID_Y_EN: 0
; COMPUTE_PGM_RSRC2:TGID_Z_EN: 1
; COMPUTE_PGM_RSRC2:TIDIG_COMP_CNT: 0
	.section	.text._ZL18rocblas_dot_kernelIiLb0ELi512ELi4ELb0EfPKffEviT5_lT_lS2_lS3_liPT6_PT4_,"axG",@progbits,_ZL18rocblas_dot_kernelIiLb0ELi512ELi4ELb0EfPKffEviT5_lT_lS2_lS3_liPT6_PT4_,comdat
	.globl	_ZL18rocblas_dot_kernelIiLb0ELi512ELi4ELb0EfPKffEviT5_lT_lS2_lS3_liPT6_PT4_ ; -- Begin function _ZL18rocblas_dot_kernelIiLb0ELi512ELi4ELb0EfPKffEviT5_lT_lS2_lS3_liPT6_PT4_
	.p2align	8
	.type	_ZL18rocblas_dot_kernelIiLb0ELi512ELi4ELb0EfPKffEviT5_lT_lS2_lS3_liPT6_PT4_,@function
_ZL18rocblas_dot_kernelIiLb0ELi512ELi4ELb0EfPKffEviT5_lT_lS2_lS3_liPT6_PT4_: ; @_ZL18rocblas_dot_kernelIiLb0ELi512ELi4ELb0EfPKffEviT5_lT_lS2_lS3_liPT6_PT4_
; %bb.0:
	s_clause 0x2
	s_load_b32 s12, s[0:1], 0x60
	s_load_b32 s13, s[0:1], 0x0
	s_load_b128 s[4:7], s[0:1], 0x50
	v_lshl_or_b32 v1, s14, 9, v0
	v_mov_b32_e32 v6, 0
	s_mov_b32 s2, s15
	s_mov_b32 s3, 0
	s_mov_b32 s15, exec_lo
	s_waitcnt lgkmcnt(0)
	v_cmpx_gt_i32_e64 s13, v1
	s_cbranch_execz .LBB48_4
; %bb.1:
	s_clause 0x5
	s_load_b32 s17, s[0:1], 0x18
	s_load_b128 s[8:11], s[0:1], 0x20
	s_load_b128 s[20:23], s[0:1], 0x8
	s_load_b32 s26, s[0:1], 0x38
	s_load_b64 s[18:19], s[0:1], 0x40
	s_load_b64 s[0:1], s[0:1], 0x30
	s_lshl_b32 s16, s12, 9
	s_delay_alu instid0(SALU_CYCLE_1)
	v_add_nc_u32_e32 v5, s16, v1
	s_waitcnt lgkmcnt(0)
	v_mad_i64_i32 v[2:3], null, s17, v1, 0
	s_mul_i32 s9, s9, s2
	s_mul_hi_u32 s27, s8, s2
	v_mad_i64_i32 v[6:7], null, s26, v1, 0
	s_mul_i32 s8, s8, s2
	s_add_i32 s9, s27, s9
	s_lshl_b64 s[22:23], s[22:23], 2
	s_lshl_b64 s[8:9], s[8:9], 2
	s_add_u32 s20, s20, s22
	s_mul_hi_i32 s25, s17, s16
	s_mul_i32 s24, s17, s16
	s_mul_i32 s17, s19, s2
	s_mul_hi_u32 s19, s18, s2
	s_addc_u32 s21, s21, s23
	v_lshlrev_b64 v[1:2], 2, v[2:3]
	s_add_u32 s20, s20, s8
	s_mul_i32 s18, s18, s2
	s_addc_u32 s21, s21, s9
	s_add_i32 s19, s19, s17
	v_lshlrev_b64 v[3:4], 2, v[6:7]
	v_mov_b32_e32 v6, 0
	s_lshl_b64 s[0:1], s[0:1], 2
	s_lshl_b64 s[8:9], s[24:25], 2
	;; [unrolled: 1-line block ×3, first 2 shown]
	s_add_u32 s0, s10, s0
	v_add_co_u32 v1, vcc_lo, s20, v1
	s_addc_u32 s1, s11, s1
	s_add_u32 s0, s0, s18
	v_add_co_ci_u32_e32 v2, vcc_lo, s21, v2, vcc_lo
	s_addc_u32 s1, s1, s19
	v_add_co_u32 v3, vcc_lo, s0, v3
	v_add_co_ci_u32_e32 v4, vcc_lo, s1, v4, vcc_lo
	s_mul_hi_i32 s1, s26, s16
	s_mul_i32 s0, s26, s16
	s_mov_b32 s17, s3
	s_lshl_b64 s[10:11], s[0:1], 2
	s_mov_b32 s1, s3
	.p2align	6
.LBB48_2:                               ; =>This Inner Loop Header: Depth=1
	global_load_b32 v7, v[3:4], off
	global_load_b32 v8, v[1:2], off
	v_add_co_u32 v1, s0, v1, s8
	s_delay_alu instid0(VALU_DEP_1)
	v_add_co_ci_u32_e64 v2, s0, s9, v2, s0
	s_add_i32 s18, s17, 1
	v_cmp_le_i32_e32 vcc_lo, s13, v5
	v_add_co_u32 v3, s0, v3, s10
	s_cmp_gt_u32 s17, 2
	v_add_co_ci_u32_e64 v4, s0, s11, v4, s0
	s_cselect_b32 s0, -1, 0
	v_add_nc_u32_e32 v5, s16, v5
	s_or_b32 s0, s0, vcc_lo
	s_mov_b32 s17, s18
	s_and_b32 s0, exec_lo, s0
	s_delay_alu instid0(SALU_CYCLE_1)
	s_or_b32 s1, s0, s1
	s_waitcnt vmcnt(0)
	v_fmac_f32_e32 v6, v7, v8
	s_and_not1_b32 exec_lo, exec_lo, s1
	s_cbranch_execnz .LBB48_2
; %bb.3:
	s_or_b32 exec_lo, exec_lo, s1
.LBB48_4:
	s_delay_alu instid0(SALU_CYCLE_1) | instskip(SKIP_2) | instid1(VALU_DEP_2)
	s_or_b32 exec_lo, exec_lo, s15
	v_and_b32_e32 v2, 31, v0
	v_cmp_gt_u32_e32 vcc_lo, 32, v0
	v_lshlrev_b32_e32 v1, 2, v2
	s_and_saveexec_b32 s0, vcc_lo
	s_cbranch_execz .LBB48_6
; %bb.5:
	v_mov_b32_e32 v3, 0
	ds_store_b32 v1, v3
.LBB48_6:
	s_or_b32 exec_lo, exec_lo, s0
	v_mbcnt_lo_u32_b32 v7, -1, 0
	s_mov_b32 s1, exec_lo
	s_waitcnt lgkmcnt(0)
	s_barrier
	buffer_gl0_inv
	v_cmp_gt_u32_e64 s0, 16, v7
	s_delay_alu instid0(VALU_DEP_1) | instskip(SKIP_1) | instid1(VALU_DEP_2)
	v_cndmask_b32_e64 v3, 0, 1, s0
	v_cmp_gt_u32_e64 s0, 24, v7
	v_lshlrev_b32_e32 v3, 4, v3
	s_delay_alu instid0(VALU_DEP_1) | instskip(SKIP_3) | instid1(VALU_DEP_2)
	v_add_lshl_u32 v3, v3, v7, 2
	ds_bpermute_b32 v4, v3, v6
	v_cndmask_b32_e64 v3, 0, 1, s0
	v_cmp_gt_u32_e64 s0, 28, v7
	v_lshlrev_b32_e32 v3, 3, v3
	s_delay_alu instid0(VALU_DEP_1)
	v_add_lshl_u32 v3, v3, v7, 2
	s_waitcnt lgkmcnt(0)
	v_add_f32_e32 v5, v6, v4
	v_cndmask_b32_e64 v4, 0, 1, s0
	v_cmp_gt_u32_e64 s0, 30, v7
	ds_bpermute_b32 v6, v3, v5
	v_lshlrev_b32_e32 v4, 2, v4
	s_delay_alu instid0(VALU_DEP_1)
	v_add_lshl_u32 v4, v4, v7, 2
	s_waitcnt lgkmcnt(0)
	v_add_f32_e32 v6, v5, v6
	v_cndmask_b32_e64 v5, 0, 1, s0
	v_cmp_ne_u32_e64 s0, 31, v7
	ds_bpermute_b32 v8, v4, v6
	v_lshlrev_b32_e32 v5, 1, v5
	v_add_co_ci_u32_e64 v9, s0, 0, v7, s0
	s_delay_alu instid0(VALU_DEP_2)
	v_add_lshl_u32 v5, v5, v7, 2
	s_waitcnt lgkmcnt(0)
	v_add_f32_e32 v6, v6, v8
	ds_bpermute_b32 v8, v5, v6
	s_waitcnt lgkmcnt(0)
	v_dual_add_f32 v7, v6, v8 :: v_dual_lshlrev_b32 v6, 2, v9
	ds_bpermute_b32 v8, v6, v7
	v_cmpx_eq_u32_e32 0, v2
	s_cbranch_execz .LBB48_8
; %bb.7:
	v_lshrrev_b32_e32 v2, 3, v0
	s_waitcnt lgkmcnt(0)
	s_delay_alu instid0(VALU_DEP_1)
	v_dual_add_f32 v7, v7, v8 :: v_dual_and_b32 v2, 60, v2
	ds_store_b32 v2, v7
.LBB48_8:
	s_or_b32 exec_lo, exec_lo, s1
	v_mov_b32_e32 v2, 0
	s_mov_b32 s1, exec_lo
	s_waitcnt lgkmcnt(0)
	s_barrier
	buffer_gl0_inv
	v_cmpx_gt_u32_e32 16, v0
	s_cbranch_execz .LBB48_10
; %bb.9:
	ds_load_b32 v2, v1
.LBB48_10:
	s_or_b32 exec_lo, exec_lo, s1
	s_and_saveexec_b32 s0, vcc_lo
	s_cbranch_execz .LBB48_12
; %bb.11:
	s_waitcnt lgkmcnt(0)
	ds_bpermute_b32 v1, v3, v2
	s_waitcnt lgkmcnt(0)
	v_add_f32_e32 v1, v2, v1
	ds_bpermute_b32 v2, v4, v1
	s_waitcnt lgkmcnt(0)
	v_add_f32_e32 v1, v1, v2
	;; [unrolled: 3-line block ×4, first 2 shown]
.LBB48_12:
	s_or_b32 exec_lo, exec_lo, s0
	s_delay_alu instid0(SALU_CYCLE_1)
	s_mov_b32 s0, exec_lo
	v_cmpx_eq_u32_e32 0, v0
	s_cbranch_execz .LBB48_18
; %bb.13:
	s_cmp_lg_u32 s12, 1
	s_cbranch_scc0 .LBB48_15
; %bb.14:
	s_mul_hi_u32 s1, s12, s2
	s_mul_i32 s0, s12, s2
	s_mov_b32 s15, 0
	s_lshl_b64 s[0:1], s[0:1], 2
	s_delay_alu instid0(SALU_CYCLE_1) | instskip(SKIP_2) | instid1(SALU_CYCLE_1)
	s_add_u32 s4, s4, s0
	s_addc_u32 s5, s5, s1
	s_lshl_b64 s[0:1], s[14:15], 2
	s_add_u32 s0, s4, s0
	s_addc_u32 s1, s5, s1
	s_cbranch_execz .LBB48_16
	s_branch .LBB48_17
.LBB48_15:
                                        ; implicit-def: $sgpr0_sgpr1
.LBB48_16:
	s_lshl_b64 s[0:1], s[2:3], 2
	s_delay_alu instid0(SALU_CYCLE_1)
	s_add_u32 s0, s6, s0
	s_addc_u32 s1, s7, s1
.LBB48_17:
	v_mov_b32_e32 v0, 0
	s_waitcnt lgkmcnt(0)
	global_store_b32 v0, v2, s[0:1]
.LBB48_18:
	s_nop 0
	s_sendmsg sendmsg(MSG_DEALLOC_VGPRS)
	s_endpgm
	.section	.rodata,"a",@progbits
	.p2align	6, 0x0
	.amdhsa_kernel _ZL18rocblas_dot_kernelIiLb0ELi512ELi4ELb0EfPKffEviT5_lT_lS2_lS3_liPT6_PT4_
		.amdhsa_group_segment_fixed_size 128
		.amdhsa_private_segment_fixed_size 0
		.amdhsa_kernarg_size 352
		.amdhsa_user_sgpr_count 14
		.amdhsa_user_sgpr_dispatch_ptr 0
		.amdhsa_user_sgpr_queue_ptr 0
		.amdhsa_user_sgpr_kernarg_segment_ptr 1
		.amdhsa_user_sgpr_dispatch_id 0
		.amdhsa_user_sgpr_private_segment_size 0
		.amdhsa_wavefront_size32 1
		.amdhsa_uses_dynamic_stack 0
		.amdhsa_enable_private_segment 0
		.amdhsa_system_sgpr_workgroup_id_x 1
		.amdhsa_system_sgpr_workgroup_id_y 0
		.amdhsa_system_sgpr_workgroup_id_z 1
		.amdhsa_system_sgpr_workgroup_info 0
		.amdhsa_system_vgpr_workitem_id 0
		.amdhsa_next_free_vgpr 10
		.amdhsa_next_free_sgpr 28
		.amdhsa_reserve_vcc 1
		.amdhsa_float_round_mode_32 0
		.amdhsa_float_round_mode_16_64 0
		.amdhsa_float_denorm_mode_32 3
		.amdhsa_float_denorm_mode_16_64 3
		.amdhsa_dx10_clamp 1
		.amdhsa_ieee_mode 1
		.amdhsa_fp16_overflow 0
		.amdhsa_workgroup_processor_mode 1
		.amdhsa_memory_ordered 1
		.amdhsa_forward_progress 0
		.amdhsa_shared_vgpr_count 0
		.amdhsa_exception_fp_ieee_invalid_op 0
		.amdhsa_exception_fp_denorm_src 0
		.amdhsa_exception_fp_ieee_div_zero 0
		.amdhsa_exception_fp_ieee_overflow 0
		.amdhsa_exception_fp_ieee_underflow 0
		.amdhsa_exception_fp_ieee_inexact 0
		.amdhsa_exception_int_div_zero 0
	.end_amdhsa_kernel
	.section	.text._ZL18rocblas_dot_kernelIiLb0ELi512ELi4ELb0EfPKffEviT5_lT_lS2_lS3_liPT6_PT4_,"axG",@progbits,_ZL18rocblas_dot_kernelIiLb0ELi512ELi4ELb0EfPKffEviT5_lT_lS2_lS3_liPT6_PT4_,comdat
.Lfunc_end48:
	.size	_ZL18rocblas_dot_kernelIiLb0ELi512ELi4ELb0EfPKffEviT5_lT_lS2_lS3_liPT6_PT4_, .Lfunc_end48-_ZL18rocblas_dot_kernelIiLb0ELi512ELi4ELb0EfPKffEviT5_lT_lS2_lS3_liPT6_PT4_
                                        ; -- End function
	.section	.AMDGPU.csdata,"",@progbits
; Kernel info:
; codeLenInByte = 996
; NumSgprs: 30
; NumVgprs: 10
; ScratchSize: 0
; MemoryBound: 0
; FloatMode: 240
; IeeeMode: 1
; LDSByteSize: 128 bytes/workgroup (compile time only)
; SGPRBlocks: 3
; VGPRBlocks: 1
; NumSGPRsForWavesPerEU: 30
; NumVGPRsForWavesPerEU: 10
; Occupancy: 16
; WaveLimiterHint : 0
; COMPUTE_PGM_RSRC2:SCRATCH_EN: 0
; COMPUTE_PGM_RSRC2:USER_SGPR: 14
; COMPUTE_PGM_RSRC2:TRAP_HANDLER: 0
; COMPUTE_PGM_RSRC2:TGID_X_EN: 1
; COMPUTE_PGM_RSRC2:TGID_Y_EN: 0
; COMPUTE_PGM_RSRC2:TGID_Z_EN: 1
; COMPUTE_PGM_RSRC2:TIDIG_COMP_CNT: 0
	.section	.text._ZL24rocblas_dot_kernel_magsqIiLb0ELi512ELi4ELb0EfPKffEviT5_lT_liPT6_PT4_,"axG",@progbits,_ZL24rocblas_dot_kernel_magsqIiLb0ELi512ELi4ELb0EfPKffEviT5_lT_liPT6_PT4_,comdat
	.globl	_ZL24rocblas_dot_kernel_magsqIiLb0ELi512ELi4ELb0EfPKffEviT5_lT_liPT6_PT4_ ; -- Begin function _ZL24rocblas_dot_kernel_magsqIiLb0ELi512ELi4ELb0EfPKffEviT5_lT_liPT6_PT4_
	.p2align	8
	.type	_ZL24rocblas_dot_kernel_magsqIiLb0ELi512ELi4ELb0EfPKffEviT5_lT_liPT6_PT4_,@function
_ZL24rocblas_dot_kernel_magsqIiLb0ELi512ELi4ELb0EfPKffEviT5_lT_liPT6_PT4_: ; @_ZL24rocblas_dot_kernel_magsqIiLb0ELi512ELi4ELb0EfPKffEviT5_lT_liPT6_PT4_
; %bb.0:
	s_clause 0x2
	s_load_b32 s11, s[0:1], 0x0
	s_load_b128 s[4:7], s[0:1], 0x30
	s_load_b32 s10, s[0:1], 0x40
	v_lshl_or_b32 v1, s14, 9, v0
	v_mov_b32_e32 v3, 0
	s_mov_b32 s2, s15
	s_mov_b32 s3, 0
	s_mov_b32 s12, exec_lo
	s_waitcnt lgkmcnt(0)
	v_cmpx_gt_i32_e64 s11, v1
	s_cbranch_execz .LBB49_4
; %bb.1:
	s_clause 0x2
	s_load_b32 s13, s[0:1], 0x18
	s_load_b64 s[8:9], s[0:1], 0x20
	s_load_b128 s[16:19], s[0:1], 0x8
	s_lshl_b32 s1, s10, 9
	s_mov_b32 s15, s3
	v_add_nc_u32_e32 v4, s1, v1
	s_waitcnt lgkmcnt(0)
	v_mad_i64_i32 v[2:3], null, s13, v1, 0
	s_mul_i32 s0, s9, s2
	s_mul_hi_u32 s9, s8, s2
	s_mul_i32 s8, s8, s2
	s_add_i32 s9, s9, s0
	s_lshl_b64 s[18:19], s[18:19], 2
	s_lshl_b64 s[8:9], s[8:9], 2
	s_delay_alu instid0(VALU_DEP_1)
	v_lshlrev_b64 v[1:2], 2, v[2:3]
	v_mov_b32_e32 v3, 0
	s_add_u32 s0, s16, s18
	s_mul_hi_i32 s21, s13, s1
	s_mul_i32 s20, s13, s1
	s_addc_u32 s13, s17, s19
	s_add_u32 s0, s0, s8
	s_addc_u32 s8, s13, s9
	v_add_co_u32 v1, vcc_lo, s0, v1
	v_add_co_ci_u32_e32 v2, vcc_lo, s8, v2, vcc_lo
	s_lshl_b64 s[8:9], s[20:21], 2
	s_mov_b32 s13, s3
	.p2align	6
.LBB49_2:                               ; =>This Inner Loop Header: Depth=1
	global_load_b32 v5, v[1:2], off
	s_add_i32 s16, s15, 1
	v_cmp_le_i32_e32 vcc_lo, s11, v4
	v_add_co_u32 v1, s0, v1, s8
	s_cmp_gt_u32 s15, 2
	v_add_co_ci_u32_e64 v2, s0, s9, v2, s0
	s_cselect_b32 s0, -1, 0
	v_add_nc_u32_e32 v4, s1, v4
	s_or_b32 s0, s0, vcc_lo
	s_mov_b32 s15, s16
	s_and_b32 s0, exec_lo, s0
	s_delay_alu instid0(SALU_CYCLE_1)
	s_or_b32 s13, s0, s13
	s_waitcnt vmcnt(0)
	v_fmac_f32_e32 v3, v5, v5
	s_and_not1_b32 exec_lo, exec_lo, s13
	s_cbranch_execnz .LBB49_2
; %bb.3:
	s_or_b32 exec_lo, exec_lo, s13
.LBB49_4:
	s_delay_alu instid0(SALU_CYCLE_1) | instskip(SKIP_2) | instid1(VALU_DEP_2)
	s_or_b32 exec_lo, exec_lo, s12
	v_and_b32_e32 v2, 31, v0
	v_cmp_gt_u32_e32 vcc_lo, 32, v0
	v_lshlrev_b32_e32 v1, 2, v2
	s_and_saveexec_b32 s0, vcc_lo
	s_cbranch_execz .LBB49_6
; %bb.5:
	v_mov_b32_e32 v4, 0
	ds_store_b32 v1, v4
.LBB49_6:
	s_or_b32 exec_lo, exec_lo, s0
	v_mbcnt_lo_u32_b32 v6, -1, 0
	s_mov_b32 s1, exec_lo
	s_waitcnt lgkmcnt(0)
	s_barrier
	buffer_gl0_inv
	v_cmp_gt_u32_e64 s0, 16, v6
	s_delay_alu instid0(VALU_DEP_1) | instskip(SKIP_1) | instid1(VALU_DEP_2)
	v_cndmask_b32_e64 v4, 0, 1, s0
	v_cmp_gt_u32_e64 s0, 24, v6
	v_lshlrev_b32_e32 v4, 4, v4
	s_delay_alu instid0(VALU_DEP_1) | instskip(SKIP_4) | instid1(VALU_DEP_2)
	v_add_lshl_u32 v4, v4, v6, 2
	ds_bpermute_b32 v5, v4, v3
	v_cndmask_b32_e64 v4, 0, 1, s0
	v_cmp_gt_u32_e64 s0, 28, v6
	s_waitcnt lgkmcnt(0)
	v_dual_add_f32 v5, v3, v5 :: v_dual_lshlrev_b32 v4, 3, v4
	s_delay_alu instid0(VALU_DEP_2) | instskip(SKIP_1) | instid1(VALU_DEP_3)
	v_cndmask_b32_e64 v3, 0, 1, s0
	v_cmp_gt_u32_e64 s0, 30, v6
	v_add_lshl_u32 v4, v4, v6, 2
	s_delay_alu instid0(VALU_DEP_3)
	v_lshlrev_b32_e32 v3, 2, v3
	ds_bpermute_b32 v7, v4, v5
	v_add_lshl_u32 v3, v3, v6, 2
	s_waitcnt lgkmcnt(0)
	v_add_f32_e32 v7, v5, v7
	v_cndmask_b32_e64 v5, 0, 1, s0
	v_cmp_ne_u32_e64 s0, 31, v6
	ds_bpermute_b32 v8, v3, v7
	v_lshlrev_b32_e32 v5, 1, v5
	s_delay_alu instid0(VALU_DEP_1) | instskip(SKIP_2) | instid1(VALU_DEP_1)
	v_add_lshl_u32 v5, v5, v6, 2
	v_add_co_ci_u32_e64 v6, s0, 0, v6, s0
	s_waitcnt lgkmcnt(0)
	v_dual_add_f32 v7, v7, v8 :: v_dual_lshlrev_b32 v6, 2, v6
	ds_bpermute_b32 v8, v5, v7
	s_waitcnt lgkmcnt(0)
	v_add_f32_e32 v7, v7, v8
	ds_bpermute_b32 v8, v6, v7
	v_cmpx_eq_u32_e32 0, v2
	s_cbranch_execz .LBB49_8
; %bb.7:
	v_lshrrev_b32_e32 v2, 3, v0
	s_waitcnt lgkmcnt(0)
	s_delay_alu instid0(VALU_DEP_1)
	v_dual_add_f32 v7, v7, v8 :: v_dual_and_b32 v2, 60, v2
	ds_store_b32 v2, v7
.LBB49_8:
	s_or_b32 exec_lo, exec_lo, s1
	v_mov_b32_e32 v2, 0
	s_mov_b32 s1, exec_lo
	s_waitcnt lgkmcnt(0)
	s_barrier
	buffer_gl0_inv
	v_cmpx_gt_u32_e32 16, v0
	s_cbranch_execz .LBB49_10
; %bb.9:
	ds_load_b32 v2, v1
.LBB49_10:
	s_or_b32 exec_lo, exec_lo, s1
	s_and_saveexec_b32 s0, vcc_lo
	s_cbranch_execz .LBB49_12
; %bb.11:
	s_waitcnt lgkmcnt(0)
	ds_bpermute_b32 v1, v4, v2
	s_waitcnt lgkmcnt(0)
	v_add_f32_e32 v1, v2, v1
	ds_bpermute_b32 v2, v3, v1
	s_waitcnt lgkmcnt(0)
	v_add_f32_e32 v1, v1, v2
	;; [unrolled: 3-line block ×4, first 2 shown]
.LBB49_12:
	s_or_b32 exec_lo, exec_lo, s0
	s_delay_alu instid0(SALU_CYCLE_1)
	s_mov_b32 s0, exec_lo
	v_cmpx_eq_u32_e32 0, v0
	s_cbranch_execz .LBB49_18
; %bb.13:
	s_cmp_lg_u32 s10, 1
	s_cbranch_scc0 .LBB49_15
; %bb.14:
	s_mul_hi_u32 s1, s10, s2
	s_mul_i32 s0, s10, s2
	s_mov_b32 s15, 0
	s_lshl_b64 s[0:1], s[0:1], 2
	s_delay_alu instid0(SALU_CYCLE_1) | instskip(SKIP_2) | instid1(SALU_CYCLE_1)
	s_add_u32 s4, s4, s0
	s_addc_u32 s5, s5, s1
	s_lshl_b64 s[0:1], s[14:15], 2
	s_add_u32 s0, s4, s0
	s_addc_u32 s1, s5, s1
	s_cbranch_execz .LBB49_16
	s_branch .LBB49_17
.LBB49_15:
                                        ; implicit-def: $sgpr0_sgpr1
.LBB49_16:
	s_lshl_b64 s[0:1], s[2:3], 2
	s_delay_alu instid0(SALU_CYCLE_1)
	s_add_u32 s0, s6, s0
	s_addc_u32 s1, s7, s1
.LBB49_17:
	v_mov_b32_e32 v0, 0
	s_waitcnt lgkmcnt(0)
	global_store_b32 v0, v2, s[0:1]
.LBB49_18:
	s_nop 0
	s_sendmsg sendmsg(MSG_DEALLOC_VGPRS)
	s_endpgm
	.section	.rodata,"a",@progbits
	.p2align	6, 0x0
	.amdhsa_kernel _ZL24rocblas_dot_kernel_magsqIiLb0ELi512ELi4ELb0EfPKffEviT5_lT_liPT6_PT4_
		.amdhsa_group_segment_fixed_size 128
		.amdhsa_private_segment_fixed_size 0
		.amdhsa_kernarg_size 320
		.amdhsa_user_sgpr_count 14
		.amdhsa_user_sgpr_dispatch_ptr 0
		.amdhsa_user_sgpr_queue_ptr 0
		.amdhsa_user_sgpr_kernarg_segment_ptr 1
		.amdhsa_user_sgpr_dispatch_id 0
		.amdhsa_user_sgpr_private_segment_size 0
		.amdhsa_wavefront_size32 1
		.amdhsa_uses_dynamic_stack 0
		.amdhsa_enable_private_segment 0
		.amdhsa_system_sgpr_workgroup_id_x 1
		.amdhsa_system_sgpr_workgroup_id_y 0
		.amdhsa_system_sgpr_workgroup_id_z 1
		.amdhsa_system_sgpr_workgroup_info 0
		.amdhsa_system_vgpr_workitem_id 0
		.amdhsa_next_free_vgpr 9
		.amdhsa_next_free_sgpr 22
		.amdhsa_reserve_vcc 1
		.amdhsa_float_round_mode_32 0
		.amdhsa_float_round_mode_16_64 0
		.amdhsa_float_denorm_mode_32 3
		.amdhsa_float_denorm_mode_16_64 3
		.amdhsa_dx10_clamp 1
		.amdhsa_ieee_mode 1
		.amdhsa_fp16_overflow 0
		.amdhsa_workgroup_processor_mode 1
		.amdhsa_memory_ordered 1
		.amdhsa_forward_progress 0
		.amdhsa_shared_vgpr_count 0
		.amdhsa_exception_fp_ieee_invalid_op 0
		.amdhsa_exception_fp_denorm_src 0
		.amdhsa_exception_fp_ieee_div_zero 0
		.amdhsa_exception_fp_ieee_overflow 0
		.amdhsa_exception_fp_ieee_underflow 0
		.amdhsa_exception_fp_ieee_inexact 0
		.amdhsa_exception_int_div_zero 0
	.end_amdhsa_kernel
	.section	.text._ZL24rocblas_dot_kernel_magsqIiLb0ELi512ELi4ELb0EfPKffEviT5_lT_liPT6_PT4_,"axG",@progbits,_ZL24rocblas_dot_kernel_magsqIiLb0ELi512ELi4ELb0EfPKffEviT5_lT_liPT6_PT4_,comdat
.Lfunc_end49:
	.size	_ZL24rocblas_dot_kernel_magsqIiLb0ELi512ELi4ELb0EfPKffEviT5_lT_liPT6_PT4_, .Lfunc_end49-_ZL24rocblas_dot_kernel_magsqIiLb0ELi512ELi4ELb0EfPKffEviT5_lT_liPT6_PT4_
                                        ; -- End function
	.section	.AMDGPU.csdata,"",@progbits
; Kernel info:
; codeLenInByte = 864
; NumSgprs: 24
; NumVgprs: 9
; ScratchSize: 0
; MemoryBound: 0
; FloatMode: 240
; IeeeMode: 1
; LDSByteSize: 128 bytes/workgroup (compile time only)
; SGPRBlocks: 2
; VGPRBlocks: 1
; NumSGPRsForWavesPerEU: 24
; NumVGPRsForWavesPerEU: 9
; Occupancy: 16
; WaveLimiterHint : 0
; COMPUTE_PGM_RSRC2:SCRATCH_EN: 0
; COMPUTE_PGM_RSRC2:USER_SGPR: 14
; COMPUTE_PGM_RSRC2:TRAP_HANDLER: 0
; COMPUTE_PGM_RSRC2:TGID_X_EN: 1
; COMPUTE_PGM_RSRC2:TGID_Y_EN: 0
; COMPUTE_PGM_RSRC2:TGID_Z_EN: 1
; COMPUTE_PGM_RSRC2:TIDIG_COMP_CNT: 0
	.section	.text._ZL28rocblas_dot_batched_4_kernelIlLi32ELi4ELb0EffPKfEviT5_lT_lS2_lS3_liPT4_,"axG",@progbits,_ZL28rocblas_dot_batched_4_kernelIlLi32ELi4ELb0EffPKfEviT5_lT_lS2_lS3_liPT4_,comdat
	.globl	_ZL28rocblas_dot_batched_4_kernelIlLi32ELi4ELb0EffPKfEviT5_lT_lS2_lS3_liPT4_ ; -- Begin function _ZL28rocblas_dot_batched_4_kernelIlLi32ELi4ELb0EffPKfEviT5_lT_lS2_lS3_liPT4_
	.p2align	8
	.type	_ZL28rocblas_dot_batched_4_kernelIlLi32ELi4ELb0EffPKfEviT5_lT_lS2_lS3_liPT4_,@function
_ZL28rocblas_dot_batched_4_kernelIlLi32ELi4ELb0EffPKfEviT5_lT_lS2_lS3_liPT4_: ; @_ZL28rocblas_dot_batched_4_kernelIlLi32ELi4ELb0EffPKfEviT5_lT_lS2_lS3_liPT4_
; %bb.0:
	s_load_b32 s2, s[0:1], 0x48
	v_bfe_u32 v1, v0, 10, 10
	s_delay_alu instid0(VALU_DEP_1) | instskip(SKIP_1) | instid1(VALU_DEP_1)
	v_lshl_add_u32 v1, s15, 2, v1
	s_waitcnt lgkmcnt(0)
	v_cmp_gt_u32_e32 vcc_lo, s2, v1
	s_and_saveexec_b32 s2, vcc_lo
	s_cbranch_execz .LBB50_7
; %bb.1:
	s_clause 0x1
	s_load_b32 s16, s[0:1], 0x0
	s_load_b64 s[2:3], s[0:1], 0x50
	v_mov_b32_e32 v2, 0
	v_and_b32_e32 v0, 0x3ff, v0
	s_mov_b32 s17, exec_lo
	s_delay_alu instid0(VALU_DEP_2) | instskip(SKIP_1) | instid1(VALU_DEP_2)
	v_mov_b32_e32 v7, v2
	s_waitcnt lgkmcnt(0)
	v_cmpx_gt_i32_e64 s16, v0
	s_cbranch_execz .LBB50_5
; %bb.2:
	s_clause 0x3
	s_load_b128 s[12:15], s[0:1], 0x10
	s_load_b256 s[4:11], s[0:1], 0x20
	s_load_b64 s[18:19], s[0:1], 0x40
	s_load_b64 s[0:1], s[0:1], 0x8
	s_waitcnt lgkmcnt(0)
	v_mad_u64_u32 v[3:4], null, s14, v0, 0
	v_mad_u64_u32 v[5:6], null, s4, v1, 0
	;; [unrolled: 1-line block ×4, first 2 shown]
	s_lshl_b64 s[12:13], s[12:13], 2
	s_delay_alu instid0(VALU_DEP_3) | instskip(SKIP_4) | instid1(VALU_DEP_2)
	v_mad_u64_u32 v[12:13], null, s15, v0, v[4:5]
	v_mov_b32_e32 v7, 0
	s_add_u32 s12, s0, s12
	s_addc_u32 s13, s1, s13
	s_lshl_b64 s[0:1], s[8:9], 2
	v_mov_b32_e32 v4, v12
	v_mad_u64_u32 v[13:14], null, s5, v1, v[6:7]
	v_mad_u64_u32 v[14:15], null, s11, v0, v[9:10]
	;; [unrolled: 1-line block ×3, first 2 shown]
	s_delay_alu instid0(VALU_DEP_4) | instskip(SKIP_1) | instid1(VALU_DEP_4)
	v_lshlrev_b64 v[3:4], 2, v[3:4]
	s_lshl_b64 s[4:5], s[14:15], 7
	v_mov_b32_e32 v6, v13
	s_add_u32 s0, s6, s0
	s_delay_alu instid0(VALU_DEP_4) | instskip(SKIP_1) | instid1(VALU_DEP_4)
	v_mov_b32_e32 v9, v14
	s_addc_u32 s1, s7, s1
	v_mov_b32_e32 v11, v15
	v_lshlrev_b64 v[5:6], 2, v[5:6]
	s_lshl_b64 s[6:7], s[10:11], 7
	v_lshlrev_b64 v[8:9], 2, v[8:9]
	s_delay_alu instid0(VALU_DEP_3) | instskip(NEXT) | instid1(VALU_DEP_3)
	v_lshlrev_b64 v[10:11], 2, v[10:11]
	v_add_co_u32 v3, vcc_lo, v3, v5
	s_delay_alu instid0(VALU_DEP_4) | instskip(NEXT) | instid1(VALU_DEP_3)
	v_add_co_ci_u32_e32 v4, vcc_lo, v4, v6, vcc_lo
	v_add_co_u32 v5, vcc_lo, v8, v10
	v_mov_b32_e32 v8, v0
	v_add_co_ci_u32_e32 v6, vcc_lo, v9, v11, vcc_lo
	v_add_co_u32 v3, vcc_lo, s12, v3
	v_add_co_ci_u32_e32 v4, vcc_lo, s13, v4, vcc_lo
	v_add_co_u32 v5, vcc_lo, s0, v5
	s_delay_alu instid0(VALU_DEP_4)
	v_add_co_ci_u32_e32 v6, vcc_lo, s1, v6, vcc_lo
	s_mov_b32 s1, 0
	.p2align	6
.LBB50_3:                               ; =>This Inner Loop Header: Depth=1
	global_load_b32 v9, v[3:4], off
	global_load_b32 v10, v[5:6], off
	v_add_nc_u32_e32 v8, 32, v8
	v_add_co_u32 v3, vcc_lo, v3, s4
	v_add_co_ci_u32_e32 v4, vcc_lo, s5, v4, vcc_lo
	v_add_co_u32 v5, vcc_lo, v5, s6
	v_add_co_ci_u32_e32 v6, vcc_lo, s7, v6, vcc_lo
	s_waitcnt vmcnt(0)
	v_fmac_f32_e32 v7, v9, v10
	v_cmp_le_i32_e64 s0, s16, v8
	s_delay_alu instid0(VALU_DEP_1) | instskip(NEXT) | instid1(SALU_CYCLE_1)
	s_or_b32 s1, s0, s1
	s_and_not1_b32 exec_lo, exec_lo, s1
	s_cbranch_execnz .LBB50_3
; %bb.4:
	s_or_b32 exec_lo, exec_lo, s1
.LBB50_5:
	s_delay_alu instid0(SALU_CYCLE_1)
	s_or_b32 exec_lo, exec_lo, s17
	v_mbcnt_lo_u32_b32 v3, -1, 0
	s_barrier
	buffer_gl0_inv
	v_cmp_gt_u32_e32 vcc_lo, 16, v3
	v_cndmask_b32_e64 v4, 0, 1, vcc_lo
	v_cmp_gt_u32_e32 vcc_lo, 24, v3
	s_delay_alu instid0(VALU_DEP_2) | instskip(SKIP_2) | instid1(VALU_DEP_3)
	v_lshlrev_b32_e32 v4, 4, v4
	v_cndmask_b32_e64 v5, 0, 1, vcc_lo
	v_cmp_gt_u32_e32 vcc_lo, 28, v3
	v_add_lshl_u32 v4, v4, v3, 2
	v_cndmask_b32_e64 v6, 0, 1, vcc_lo
	v_cmp_gt_u32_e32 vcc_lo, 30, v3
	ds_bpermute_b32 v4, v4, v7
	v_lshlrev_b32_e32 v5, 3, v5
	v_lshlrev_b32_e32 v6, 2, v6
	s_delay_alu instid0(VALU_DEP_1)
	v_add_lshl_u32 v6, v6, v3, 2
	s_waitcnt lgkmcnt(0)
	v_add_f32_e32 v4, v7, v4
	v_add_lshl_u32 v5, v5, v3, 2
	ds_bpermute_b32 v5, v5, v4
	s_waitcnt lgkmcnt(0)
	v_add_f32_e32 v4, v4, v5
	ds_bpermute_b32 v5, v6, v4
	v_cndmask_b32_e64 v6, 0, 1, vcc_lo
	v_cmp_ne_u32_e32 vcc_lo, 31, v3
	s_delay_alu instid0(VALU_DEP_2) | instskip(NEXT) | instid1(VALU_DEP_1)
	v_lshlrev_b32_e32 v6, 1, v6
	v_add_lshl_u32 v6, v6, v3, 2
	s_waitcnt lgkmcnt(0)
	v_add_f32_e32 v4, v4, v5
	ds_bpermute_b32 v5, v6, v4
	v_add_co_ci_u32_e32 v6, vcc_lo, 0, v3, vcc_lo
	v_cmp_eq_u32_e32 vcc_lo, 0, v0
	s_waitcnt lgkmcnt(0)
	s_delay_alu instid0(VALU_DEP_2)
	v_dual_add_f32 v3, v4, v5 :: v_dual_lshlrev_b32 v4, 2, v6
	ds_bpermute_b32 v4, v4, v3
	s_and_b32 exec_lo, exec_lo, vcc_lo
	s_cbranch_execz .LBB50_7
; %bb.6:
	v_lshlrev_b64 v[0:1], 2, v[1:2]
	s_waitcnt lgkmcnt(0)
	v_add_f32_e32 v2, v3, v4
	s_delay_alu instid0(VALU_DEP_2) | instskip(NEXT) | instid1(VALU_DEP_3)
	v_add_co_u32 v0, vcc_lo, s2, v0
	v_add_co_ci_u32_e32 v1, vcc_lo, s3, v1, vcc_lo
	global_store_b32 v[0:1], v2, off
.LBB50_7:
	s_nop 0
	s_sendmsg sendmsg(MSG_DEALLOC_VGPRS)
	s_endpgm
	.section	.rodata,"a",@progbits
	.p2align	6, 0x0
	.amdhsa_kernel _ZL28rocblas_dot_batched_4_kernelIlLi32ELi4ELb0EffPKfEviT5_lT_lS2_lS3_liPT4_
		.amdhsa_group_segment_fixed_size 0
		.amdhsa_private_segment_fixed_size 0
		.amdhsa_kernarg_size 88
		.amdhsa_user_sgpr_count 15
		.amdhsa_user_sgpr_dispatch_ptr 0
		.amdhsa_user_sgpr_queue_ptr 0
		.amdhsa_user_sgpr_kernarg_segment_ptr 1
		.amdhsa_user_sgpr_dispatch_id 0
		.amdhsa_user_sgpr_private_segment_size 0
		.amdhsa_wavefront_size32 1
		.amdhsa_uses_dynamic_stack 0
		.amdhsa_enable_private_segment 0
		.amdhsa_system_sgpr_workgroup_id_x 1
		.amdhsa_system_sgpr_workgroup_id_y 0
		.amdhsa_system_sgpr_workgroup_id_z 0
		.amdhsa_system_sgpr_workgroup_info 0
		.amdhsa_system_vgpr_workitem_id 1
		.amdhsa_next_free_vgpr 17
		.amdhsa_next_free_sgpr 20
		.amdhsa_reserve_vcc 1
		.amdhsa_float_round_mode_32 0
		.amdhsa_float_round_mode_16_64 0
		.amdhsa_float_denorm_mode_32 3
		.amdhsa_float_denorm_mode_16_64 3
		.amdhsa_dx10_clamp 1
		.amdhsa_ieee_mode 1
		.amdhsa_fp16_overflow 0
		.amdhsa_workgroup_processor_mode 1
		.amdhsa_memory_ordered 1
		.amdhsa_forward_progress 0
		.amdhsa_shared_vgpr_count 0
		.amdhsa_exception_fp_ieee_invalid_op 0
		.amdhsa_exception_fp_denorm_src 0
		.amdhsa_exception_fp_ieee_div_zero 0
		.amdhsa_exception_fp_ieee_overflow 0
		.amdhsa_exception_fp_ieee_underflow 0
		.amdhsa_exception_fp_ieee_inexact 0
		.amdhsa_exception_int_div_zero 0
	.end_amdhsa_kernel
	.section	.text._ZL28rocblas_dot_batched_4_kernelIlLi32ELi4ELb0EffPKfEviT5_lT_lS2_lS3_liPT4_,"axG",@progbits,_ZL28rocblas_dot_batched_4_kernelIlLi32ELi4ELb0EffPKfEviT5_lT_lS2_lS3_liPT4_,comdat
.Lfunc_end50:
	.size	_ZL28rocblas_dot_batched_4_kernelIlLi32ELi4ELb0EffPKfEviT5_lT_lS2_lS3_liPT4_, .Lfunc_end50-_ZL28rocblas_dot_batched_4_kernelIlLi32ELi4ELb0EffPKfEviT5_lT_lS2_lS3_liPT4_
                                        ; -- End function
	.section	.AMDGPU.csdata,"",@progbits
; Kernel info:
; codeLenInByte = 740
; NumSgprs: 22
; NumVgprs: 17
; ScratchSize: 0
; MemoryBound: 0
; FloatMode: 240
; IeeeMode: 1
; LDSByteSize: 0 bytes/workgroup (compile time only)
; SGPRBlocks: 2
; VGPRBlocks: 2
; NumSGPRsForWavesPerEU: 22
; NumVGPRsForWavesPerEU: 17
; Occupancy: 16
; WaveLimiterHint : 0
; COMPUTE_PGM_RSRC2:SCRATCH_EN: 0
; COMPUTE_PGM_RSRC2:USER_SGPR: 15
; COMPUTE_PGM_RSRC2:TRAP_HANDLER: 0
; COMPUTE_PGM_RSRC2:TGID_X_EN: 1
; COMPUTE_PGM_RSRC2:TGID_Y_EN: 0
; COMPUTE_PGM_RSRC2:TGID_Z_EN: 0
; COMPUTE_PGM_RSRC2:TIDIG_COMP_CNT: 1
	.section	.text._ZL28rocblas_dot_batched_4_kernelIlLi64ELi4ELb0EffPKfEviT5_lT_lS2_lS3_liPT4_,"axG",@progbits,_ZL28rocblas_dot_batched_4_kernelIlLi64ELi4ELb0EffPKfEviT5_lT_lS2_lS3_liPT4_,comdat
	.globl	_ZL28rocblas_dot_batched_4_kernelIlLi64ELi4ELb0EffPKfEviT5_lT_lS2_lS3_liPT4_ ; -- Begin function _ZL28rocblas_dot_batched_4_kernelIlLi64ELi4ELb0EffPKfEviT5_lT_lS2_lS3_liPT4_
	.p2align	8
	.type	_ZL28rocblas_dot_batched_4_kernelIlLi64ELi4ELb0EffPKfEviT5_lT_lS2_lS3_liPT4_,@function
_ZL28rocblas_dot_batched_4_kernelIlLi64ELi4ELb0EffPKfEviT5_lT_lS2_lS3_liPT4_: ; @_ZL28rocblas_dot_batched_4_kernelIlLi64ELi4ELb0EffPKfEviT5_lT_lS2_lS3_liPT4_
; %bb.0:
	s_load_b32 s2, s[0:1], 0x48
	v_bfe_u32 v1, v0, 10, 10
	s_delay_alu instid0(VALU_DEP_1) | instskip(SKIP_1) | instid1(VALU_DEP_1)
	v_lshl_add_u32 v1, s15, 2, v1
	s_waitcnt lgkmcnt(0)
	v_cmp_gt_u32_e32 vcc_lo, s2, v1
	s_and_saveexec_b32 s2, vcc_lo
	s_cbranch_execz .LBB51_7
; %bb.1:
	s_clause 0x1
	s_load_b32 s16, s[0:1], 0x0
	s_load_b64 s[2:3], s[0:1], 0x50
	v_mov_b32_e32 v2, 0
	v_and_b32_e32 v0, 0x3ff, v0
	s_mov_b32 s17, exec_lo
	s_delay_alu instid0(VALU_DEP_2) | instskip(SKIP_1) | instid1(VALU_DEP_2)
	v_mov_b32_e32 v7, v2
	s_waitcnt lgkmcnt(0)
	v_cmpx_gt_i32_e64 s16, v0
	s_cbranch_execz .LBB51_5
; %bb.2:
	s_clause 0x3
	s_load_b128 s[12:15], s[0:1], 0x10
	s_load_b256 s[4:11], s[0:1], 0x20
	s_load_b64 s[18:19], s[0:1], 0x40
	s_load_b64 s[0:1], s[0:1], 0x8
	s_waitcnt lgkmcnt(0)
	v_mad_u64_u32 v[3:4], null, s14, v0, 0
	v_mad_u64_u32 v[5:6], null, s4, v1, 0
	;; [unrolled: 1-line block ×4, first 2 shown]
	s_lshl_b64 s[12:13], s[12:13], 2
	s_delay_alu instid0(VALU_DEP_3) | instskip(SKIP_4) | instid1(VALU_DEP_2)
	v_mad_u64_u32 v[12:13], null, s15, v0, v[4:5]
	v_mov_b32_e32 v7, 0
	s_add_u32 s12, s0, s12
	s_addc_u32 s13, s1, s13
	s_lshl_b64 s[0:1], s[8:9], 2
	v_mov_b32_e32 v4, v12
	v_mad_u64_u32 v[13:14], null, s5, v1, v[6:7]
	v_mad_u64_u32 v[14:15], null, s11, v0, v[9:10]
	;; [unrolled: 1-line block ×3, first 2 shown]
	s_delay_alu instid0(VALU_DEP_4) | instskip(SKIP_1) | instid1(VALU_DEP_4)
	v_lshlrev_b64 v[3:4], 2, v[3:4]
	s_lshl_b64 s[4:5], s[14:15], 8
	v_mov_b32_e32 v6, v13
	s_add_u32 s0, s6, s0
	s_delay_alu instid0(VALU_DEP_4) | instskip(SKIP_1) | instid1(VALU_DEP_4)
	v_mov_b32_e32 v9, v14
	s_addc_u32 s1, s7, s1
	v_mov_b32_e32 v11, v15
	v_lshlrev_b64 v[5:6], 2, v[5:6]
	s_lshl_b64 s[6:7], s[10:11], 8
	v_lshlrev_b64 v[8:9], 2, v[8:9]
	s_delay_alu instid0(VALU_DEP_3) | instskip(NEXT) | instid1(VALU_DEP_3)
	v_lshlrev_b64 v[10:11], 2, v[10:11]
	v_add_co_u32 v3, vcc_lo, v3, v5
	s_delay_alu instid0(VALU_DEP_4) | instskip(NEXT) | instid1(VALU_DEP_3)
	v_add_co_ci_u32_e32 v4, vcc_lo, v4, v6, vcc_lo
	v_add_co_u32 v5, vcc_lo, v8, v10
	v_mov_b32_e32 v8, v0
	v_add_co_ci_u32_e32 v6, vcc_lo, v9, v11, vcc_lo
	v_add_co_u32 v3, vcc_lo, s12, v3
	v_add_co_ci_u32_e32 v4, vcc_lo, s13, v4, vcc_lo
	v_add_co_u32 v5, vcc_lo, s0, v5
	s_delay_alu instid0(VALU_DEP_4)
	v_add_co_ci_u32_e32 v6, vcc_lo, s1, v6, vcc_lo
	s_mov_b32 s1, 0
	.p2align	6
.LBB51_3:                               ; =>This Inner Loop Header: Depth=1
	global_load_b32 v9, v[3:4], off
	global_load_b32 v10, v[5:6], off
	v_add_nc_u32_e32 v8, 64, v8
	v_add_co_u32 v3, vcc_lo, v3, s4
	v_add_co_ci_u32_e32 v4, vcc_lo, s5, v4, vcc_lo
	v_add_co_u32 v5, vcc_lo, v5, s6
	v_add_co_ci_u32_e32 v6, vcc_lo, s7, v6, vcc_lo
	s_waitcnt vmcnt(0)
	v_fmac_f32_e32 v7, v9, v10
	v_cmp_le_i32_e64 s0, s16, v8
	s_delay_alu instid0(VALU_DEP_1) | instskip(NEXT) | instid1(SALU_CYCLE_1)
	s_or_b32 s1, s0, s1
	s_and_not1_b32 exec_lo, exec_lo, s1
	s_cbranch_execnz .LBB51_3
; %bb.4:
	s_or_b32 exec_lo, exec_lo, s1
.LBB51_5:
	s_delay_alu instid0(SALU_CYCLE_1)
	s_or_b32 exec_lo, exec_lo, s17
	v_mbcnt_lo_u32_b32 v3, -1, 0
	s_barrier
	buffer_gl0_inv
	v_lshlrev_b32_e32 v4, 2, v3
	v_cmp_gt_u32_e32 vcc_lo, 16, v3
	ds_bpermute_b32 v4, v4, v7
	v_cndmask_b32_e64 v5, 0, 1, vcc_lo
	v_cmp_gt_u32_e32 vcc_lo, 24, v3
	s_delay_alu instid0(VALU_DEP_2) | instskip(SKIP_2) | instid1(VALU_DEP_2)
	v_lshlrev_b32_e32 v5, 4, v5
	v_cndmask_b32_e64 v6, 0, 1, vcc_lo
	v_cmp_gt_u32_e32 vcc_lo, 28, v3
	v_lshlrev_b32_e32 v6, 3, v6
	s_delay_alu instid0(VALU_DEP_1)
	v_add_lshl_u32 v6, v6, v3, 2
	s_waitcnt lgkmcnt(0)
	v_add_f32_e32 v4, v7, v4
	v_add_lshl_u32 v5, v5, v3, 2
	ds_bpermute_b32 v5, v5, v4
	s_waitcnt lgkmcnt(0)
	v_add_f32_e32 v4, v4, v5
	ds_bpermute_b32 v5, v6, v4
	v_cndmask_b32_e64 v6, 0, 1, vcc_lo
	v_cmp_gt_u32_e32 vcc_lo, 30, v3
	s_delay_alu instid0(VALU_DEP_2) | instskip(NEXT) | instid1(VALU_DEP_1)
	v_lshlrev_b32_e32 v6, 2, v6
	v_add_lshl_u32 v6, v6, v3, 2
	s_waitcnt lgkmcnt(0)
	v_add_f32_e32 v4, v4, v5
	ds_bpermute_b32 v5, v6, v4
	v_cndmask_b32_e64 v6, 0, 1, vcc_lo
	v_cmp_ne_u32_e32 vcc_lo, 31, v3
	s_delay_alu instid0(VALU_DEP_2) | instskip(NEXT) | instid1(VALU_DEP_1)
	v_lshlrev_b32_e32 v6, 1, v6
	v_add_lshl_u32 v6, v6, v3, 2
	s_waitcnt lgkmcnt(0)
	v_add_f32_e32 v4, v4, v5
	ds_bpermute_b32 v5, v6, v4
	v_add_co_ci_u32_e32 v6, vcc_lo, 0, v3, vcc_lo
	v_cmp_eq_u32_e32 vcc_lo, 0, v0
	s_waitcnt lgkmcnt(0)
	s_delay_alu instid0(VALU_DEP_2)
	v_dual_add_f32 v3, v4, v5 :: v_dual_lshlrev_b32 v4, 2, v6
	ds_bpermute_b32 v4, v4, v3
	s_and_b32 exec_lo, exec_lo, vcc_lo
	s_cbranch_execz .LBB51_7
; %bb.6:
	v_lshlrev_b64 v[0:1], 2, v[1:2]
	s_waitcnt lgkmcnt(0)
	v_add_f32_e32 v2, v3, v4
	s_delay_alu instid0(VALU_DEP_2) | instskip(NEXT) | instid1(VALU_DEP_3)
	v_add_co_u32 v0, vcc_lo, s2, v0
	v_add_co_ci_u32_e32 v1, vcc_lo, s3, v1, vcc_lo
	global_store_b32 v[0:1], v2, off
.LBB51_7:
	s_nop 0
	s_sendmsg sendmsg(MSG_DEALLOC_VGPRS)
	s_endpgm
	.section	.rodata,"a",@progbits
	.p2align	6, 0x0
	.amdhsa_kernel _ZL28rocblas_dot_batched_4_kernelIlLi64ELi4ELb0EffPKfEviT5_lT_lS2_lS3_liPT4_
		.amdhsa_group_segment_fixed_size 0
		.amdhsa_private_segment_fixed_size 0
		.amdhsa_kernarg_size 88
		.amdhsa_user_sgpr_count 15
		.amdhsa_user_sgpr_dispatch_ptr 0
		.amdhsa_user_sgpr_queue_ptr 0
		.amdhsa_user_sgpr_kernarg_segment_ptr 1
		.amdhsa_user_sgpr_dispatch_id 0
		.amdhsa_user_sgpr_private_segment_size 0
		.amdhsa_wavefront_size32 1
		.amdhsa_uses_dynamic_stack 0
		.amdhsa_enable_private_segment 0
		.amdhsa_system_sgpr_workgroup_id_x 1
		.amdhsa_system_sgpr_workgroup_id_y 0
		.amdhsa_system_sgpr_workgroup_id_z 0
		.amdhsa_system_sgpr_workgroup_info 0
		.amdhsa_system_vgpr_workitem_id 1
		.amdhsa_next_free_vgpr 17
		.amdhsa_next_free_sgpr 20
		.amdhsa_reserve_vcc 1
		.amdhsa_float_round_mode_32 0
		.amdhsa_float_round_mode_16_64 0
		.amdhsa_float_denorm_mode_32 3
		.amdhsa_float_denorm_mode_16_64 3
		.amdhsa_dx10_clamp 1
		.amdhsa_ieee_mode 1
		.amdhsa_fp16_overflow 0
		.amdhsa_workgroup_processor_mode 1
		.amdhsa_memory_ordered 1
		.amdhsa_forward_progress 0
		.amdhsa_shared_vgpr_count 0
		.amdhsa_exception_fp_ieee_invalid_op 0
		.amdhsa_exception_fp_denorm_src 0
		.amdhsa_exception_fp_ieee_div_zero 0
		.amdhsa_exception_fp_ieee_overflow 0
		.amdhsa_exception_fp_ieee_underflow 0
		.amdhsa_exception_fp_ieee_inexact 0
		.amdhsa_exception_int_div_zero 0
	.end_amdhsa_kernel
	.section	.text._ZL28rocblas_dot_batched_4_kernelIlLi64ELi4ELb0EffPKfEviT5_lT_lS2_lS3_liPT4_,"axG",@progbits,_ZL28rocblas_dot_batched_4_kernelIlLi64ELi4ELb0EffPKfEviT5_lT_lS2_lS3_liPT4_,comdat
.Lfunc_end51:
	.size	_ZL28rocblas_dot_batched_4_kernelIlLi64ELi4ELb0EffPKfEviT5_lT_lS2_lS3_liPT4_, .Lfunc_end51-_ZL28rocblas_dot_batched_4_kernelIlLi64ELi4ELb0EffPKfEviT5_lT_lS2_lS3_liPT4_
                                        ; -- End function
	.section	.AMDGPU.csdata,"",@progbits
; Kernel info:
; codeLenInByte = 764
; NumSgprs: 22
; NumVgprs: 17
; ScratchSize: 0
; MemoryBound: 0
; FloatMode: 240
; IeeeMode: 1
; LDSByteSize: 0 bytes/workgroup (compile time only)
; SGPRBlocks: 2
; VGPRBlocks: 2
; NumSGPRsForWavesPerEU: 22
; NumVGPRsForWavesPerEU: 17
; Occupancy: 16
; WaveLimiterHint : 0
; COMPUTE_PGM_RSRC2:SCRATCH_EN: 0
; COMPUTE_PGM_RSRC2:USER_SGPR: 15
; COMPUTE_PGM_RSRC2:TRAP_HANDLER: 0
; COMPUTE_PGM_RSRC2:TGID_X_EN: 1
; COMPUTE_PGM_RSRC2:TGID_Y_EN: 0
; COMPUTE_PGM_RSRC2:TGID_Z_EN: 0
; COMPUTE_PGM_RSRC2:TIDIG_COMP_CNT: 1
	.section	.text._ZL18rocblas_dot_kernelIlLb1ELi1024ELi32ELb0EfPKffEviT5_lT_lS2_lS3_liPT6_PT4_,"axG",@progbits,_ZL18rocblas_dot_kernelIlLb1ELi1024ELi32ELb0EfPKffEviT5_lT_lS2_lS3_liPT6_PT4_,comdat
	.globl	_ZL18rocblas_dot_kernelIlLb1ELi1024ELi32ELb0EfPKffEviT5_lT_lS2_lS3_liPT6_PT4_ ; -- Begin function _ZL18rocblas_dot_kernelIlLb1ELi1024ELi32ELb0EfPKffEviT5_lT_lS2_lS3_liPT6_PT4_
	.p2align	8
	.type	_ZL18rocblas_dot_kernelIlLb1ELi1024ELi32ELb0EfPKffEviT5_lT_lS2_lS3_liPT6_PT4_,@function
_ZL18rocblas_dot_kernelIlLb1ELi1024ELi32ELb0EfPKffEviT5_lT_lS2_lS3_liPT6_PT4_: ; @_ZL18rocblas_dot_kernelIlLb1ELi1024ELi32ELb0EfPKffEviT5_lT_lS2_lS3_liPT6_PT4_
; %bb.0:
	s_clause 0x1
	s_load_b32 s18, s[0:1], 0x0
	s_load_b64 s[2:3], s[0:1], 0x58
	v_mov_b32_e32 v6, 0
	s_mov_b32 s16, s15
	s_mov_b32 s17, 0
	s_mov_b32 s19, exec_lo
	s_waitcnt lgkmcnt(0)
	v_cmpx_gt_i32_e64 s18, v0
	s_cbranch_execz .LBB52_4
; %bb.1:
	s_clause 0x4
	s_load_b32 s24, s[0:1], 0x60
	s_load_b256 s[4:11], s[0:1], 0x20
	s_load_b128 s[12:15], s[0:1], 0x10
	s_load_b64 s[20:21], s[0:1], 0x40
	s_load_b64 s[22:23], s[0:1], 0x8
	s_waitcnt lgkmcnt(0)
	s_lshl_b32 s1, s24, 10
	v_mad_u64_u32 v[3:4], null, s10, v0, 0
	v_mad_u64_u32 v[1:2], null, s14, v0, 0
	v_or_b32_e32 v5, s1, v0
	s_mul_i32 s0, s5, s16
	s_mul_hi_u32 s5, s4, s16
	s_mul_i32 s4, s4, s16
	s_add_i32 s5, s5, s0
	s_lshl_b64 s[12:13], s[12:13], 2
	s_delay_alu instid0(VALU_DEP_2)
	v_mad_u64_u32 v[6:7], null, s15, v0, v[2:3]
	v_mad_u64_u32 v[7:8], null, s11, v0, v[4:5]
	s_lshl_b64 s[4:5], s[4:5], 2
	s_add_u32 s12, s22, s12
	s_addc_u32 s13, s23, s13
	s_add_u32 s22, s12, s4
	s_delay_alu instid0(VALU_DEP_2)
	v_mov_b32_e32 v2, v6
	s_addc_u32 s23, s13, s5
	s_ashr_i32 s4, s1, 31
	s_mul_hi_u32 s0, s14, s1
	s_mul_i32 s5, s14, s4
	v_mov_b32_e32 v4, v7
	s_mul_i32 s21, s21, s16
	s_mul_hi_u32 s25, s20, s16
	s_mul_i32 s26, s15, s1
	s_add_i32 s0, s0, s5
	v_lshlrev_b64 v[1:2], 2, v[1:2]
	s_mul_i32 s20, s20, s16
	s_mul_i32 s24, s14, s1
	s_add_i32 s21, s25, s21
	s_add_i32 s25, s0, s26
	s_lshl_b64 s[8:9], s[8:9], 2
	v_lshlrev_b64 v[3:4], 2, v[3:4]
	s_lshl_b64 s[12:13], s[20:21], 2
	s_mul_i32 s0, s10, s4
	s_lshl_b64 s[4:5], s[24:25], 2
	s_add_u32 s6, s6, s8
	s_addc_u32 s7, s7, s9
	v_add_co_u32 v1, vcc_lo, s22, v1
	s_add_u32 s6, s6, s12
	v_add_co_ci_u32_e32 v2, vcc_lo, s23, v2, vcc_lo
	s_mul_hi_u32 s8, s10, s1
	s_addc_u32 s7, s7, s13
	v_add_co_u32 v3, vcc_lo, s6, v3
	s_add_i32 s0, s8, s0
	s_mul_i32 s8, s11, s1
	v_add_co_ci_u32_e32 v4, vcc_lo, s7, v4, vcc_lo
	v_mov_b32_e32 v6, 0
	s_add_i32 s7, s0, s8
	s_mul_i32 s6, s10, s1
	s_mov_b32 s8, s17
	s_lshl_b64 s[6:7], s[6:7], 2
	s_mov_b32 s9, s17
	.p2align	6
.LBB52_2:                               ; =>This Inner Loop Header: Depth=1
	global_load_b32 v7, v[3:4], off
	global_load_b32 v8, v[1:2], off
	v_add_co_u32 v1, s0, v1, s4
	s_delay_alu instid0(VALU_DEP_1)
	v_add_co_ci_u32_e64 v2, s0, s5, v2, s0
	s_add_i32 s10, s9, 1
	v_cmp_le_i32_e32 vcc_lo, s18, v5
	v_add_co_u32 v3, s0, v3, s6
	s_cmp_gt_u32 s9, 30
	v_add_co_ci_u32_e64 v4, s0, s7, v4, s0
	s_cselect_b32 s0, -1, 0
	v_add_nc_u32_e32 v5, s1, v5
	s_or_b32 s0, s0, vcc_lo
	s_mov_b32 s9, s10
	s_and_b32 s0, exec_lo, s0
	s_delay_alu instid0(SALU_CYCLE_1)
	s_or_b32 s8, s0, s8
	s_waitcnt vmcnt(0)
	v_fmac_f32_e32 v6, v7, v8
	s_and_not1_b32 exec_lo, exec_lo, s8
	s_cbranch_execnz .LBB52_2
; %bb.3:
	s_or_b32 exec_lo, exec_lo, s8
.LBB52_4:
	s_delay_alu instid0(SALU_CYCLE_1) | instskip(SKIP_2) | instid1(VALU_DEP_2)
	s_or_b32 exec_lo, exec_lo, s19
	v_and_b32_e32 v7, 31, v0
	v_cmp_gt_u32_e32 vcc_lo, 32, v0
	v_lshlrev_b32_e32 v1, 2, v7
	s_and_saveexec_b32 s0, vcc_lo
	s_cbranch_execz .LBB52_6
; %bb.5:
	v_mov_b32_e32 v2, 0
	ds_store_b32 v1, v2
.LBB52_6:
	s_or_b32 exec_lo, exec_lo, s0
	v_mbcnt_lo_u32_b32 v8, -1, 0
	s_mov_b32 s1, exec_lo
	s_waitcnt lgkmcnt(0)
	s_barrier
	buffer_gl0_inv
	v_cmp_gt_u32_e64 s0, 16, v8
	s_delay_alu instid0(VALU_DEP_1) | instskip(SKIP_1) | instid1(VALU_DEP_2)
	v_cndmask_b32_e64 v2, 0, 1, s0
	v_cmp_gt_u32_e64 s0, 24, v8
	v_lshlrev_b32_e32 v2, 4, v2
	s_delay_alu instid0(VALU_DEP_2) | instskip(SKIP_1) | instid1(VALU_DEP_3)
	v_cndmask_b32_e64 v3, 0, 1, s0
	v_cmp_gt_u32_e64 s0, 28, v8
	v_add_lshl_u32 v2, v2, v8, 2
	ds_bpermute_b32 v4, v2, v6
	s_waitcnt lgkmcnt(0)
	v_add_f32_e32 v5, v6, v4
	v_lshlrev_b32_e32 v3, 3, v3
	v_cndmask_b32_e64 v4, 0, 1, s0
	v_cmp_gt_u32_e64 s0, 30, v8
	s_delay_alu instid0(VALU_DEP_3) | instskip(NEXT) | instid1(VALU_DEP_3)
	v_add_lshl_u32 v3, v3, v8, 2
	v_lshlrev_b32_e32 v4, 2, v4
	ds_bpermute_b32 v6, v3, v5
	v_add_lshl_u32 v4, v4, v8, 2
	s_waitcnt lgkmcnt(0)
	v_add_f32_e32 v6, v5, v6
	v_cndmask_b32_e64 v5, 0, 1, s0
	v_cmp_ne_u32_e64 s0, 31, v8
	ds_bpermute_b32 v9, v4, v6
	v_lshlrev_b32_e32 v5, 1, v5
	v_add_co_ci_u32_e64 v10, s0, 0, v8, s0
	s_delay_alu instid0(VALU_DEP_2)
	v_add_lshl_u32 v5, v5, v8, 2
	s_waitcnt lgkmcnt(0)
	v_add_f32_e32 v6, v6, v9
	ds_bpermute_b32 v9, v5, v6
	s_waitcnt lgkmcnt(0)
	v_add_f32_e32 v8, v6, v9
	v_lshlrev_b32_e32 v6, 2, v10
	ds_bpermute_b32 v9, v6, v8
	v_cmpx_eq_u32_e32 0, v7
	s_cbranch_execz .LBB52_8
; %bb.7:
	v_lshrrev_b32_e32 v7, 3, v0
	s_waitcnt lgkmcnt(0)
	s_delay_alu instid0(VALU_DEP_1)
	v_dual_add_f32 v8, v8, v9 :: v_dual_and_b32 v7, 0x7c, v7
	ds_store_b32 v7, v8
.LBB52_8:
	s_or_b32 exec_lo, exec_lo, s1
	v_mov_b32_e32 v7, 0
	s_waitcnt lgkmcnt(0)
	s_barrier
	buffer_gl0_inv
	s_and_saveexec_b32 s0, vcc_lo
	s_cbranch_execz .LBB52_10
; %bb.9:
	ds_load_b32 v7, v1
.LBB52_10:
	s_or_b32 exec_lo, exec_lo, s0
	s_and_saveexec_b32 s0, vcc_lo
	s_cbranch_execz .LBB52_12
; %bb.11:
	s_waitcnt lgkmcnt(0)
	ds_bpermute_b32 v1, v2, v7
	s_waitcnt lgkmcnt(0)
	v_add_f32_e32 v1, v7, v1
	ds_bpermute_b32 v2, v3, v1
	s_waitcnt lgkmcnt(0)
	v_add_f32_e32 v1, v1, v2
	;; [unrolled: 3-line block ×5, first 2 shown]
.LBB52_12:
	s_or_b32 exec_lo, exec_lo, s0
	s_delay_alu instid0(SALU_CYCLE_1)
	s_mov_b32 s0, exec_lo
	v_cmpx_eq_u32_e32 0, v0
	s_cbranch_execz .LBB52_14
; %bb.13:
	s_lshl_b64 s[0:1], s[16:17], 2
	v_mov_b32_e32 v0, 0
	s_add_u32 s0, s2, s0
	s_addc_u32 s1, s3, s1
	s_waitcnt lgkmcnt(0)
	global_store_b32 v0, v7, s[0:1]
.LBB52_14:
	s_nop 0
	s_sendmsg sendmsg(MSG_DEALLOC_VGPRS)
	s_endpgm
	.section	.rodata,"a",@progbits
	.p2align	6, 0x0
	.amdhsa_kernel _ZL18rocblas_dot_kernelIlLb1ELi1024ELi32ELb0EfPKffEviT5_lT_lS2_lS3_liPT6_PT4_
		.amdhsa_group_segment_fixed_size 128
		.amdhsa_private_segment_fixed_size 0
		.amdhsa_kernarg_size 352
		.amdhsa_user_sgpr_count 14
		.amdhsa_user_sgpr_dispatch_ptr 0
		.amdhsa_user_sgpr_queue_ptr 0
		.amdhsa_user_sgpr_kernarg_segment_ptr 1
		.amdhsa_user_sgpr_dispatch_id 0
		.amdhsa_user_sgpr_private_segment_size 0
		.amdhsa_wavefront_size32 1
		.amdhsa_uses_dynamic_stack 0
		.amdhsa_enable_private_segment 0
		.amdhsa_system_sgpr_workgroup_id_x 1
		.amdhsa_system_sgpr_workgroup_id_y 0
		.amdhsa_system_sgpr_workgroup_id_z 1
		.amdhsa_system_sgpr_workgroup_info 0
		.amdhsa_system_vgpr_workitem_id 0
		.amdhsa_next_free_vgpr 11
		.amdhsa_next_free_sgpr 27
		.amdhsa_reserve_vcc 1
		.amdhsa_float_round_mode_32 0
		.amdhsa_float_round_mode_16_64 0
		.amdhsa_float_denorm_mode_32 3
		.amdhsa_float_denorm_mode_16_64 3
		.amdhsa_dx10_clamp 1
		.amdhsa_ieee_mode 1
		.amdhsa_fp16_overflow 0
		.amdhsa_workgroup_processor_mode 1
		.amdhsa_memory_ordered 1
		.amdhsa_forward_progress 0
		.amdhsa_shared_vgpr_count 0
		.amdhsa_exception_fp_ieee_invalid_op 0
		.amdhsa_exception_fp_denorm_src 0
		.amdhsa_exception_fp_ieee_div_zero 0
		.amdhsa_exception_fp_ieee_overflow 0
		.amdhsa_exception_fp_ieee_underflow 0
		.amdhsa_exception_fp_ieee_inexact 0
		.amdhsa_exception_int_div_zero 0
	.end_amdhsa_kernel
	.section	.text._ZL18rocblas_dot_kernelIlLb1ELi1024ELi32ELb0EfPKffEviT5_lT_lS2_lS3_liPT6_PT4_,"axG",@progbits,_ZL18rocblas_dot_kernelIlLb1ELi1024ELi32ELb0EfPKffEviT5_lT_lS2_lS3_liPT6_PT4_,comdat
.Lfunc_end52:
	.size	_ZL18rocblas_dot_kernelIlLb1ELi1024ELi32ELb0EfPKffEviT5_lT_lS2_lS3_liPT6_PT4_, .Lfunc_end52-_ZL18rocblas_dot_kernelIlLb1ELi1024ELi32ELb0EfPKffEviT5_lT_lS2_lS3_liPT6_PT4_
                                        ; -- End function
	.section	.AMDGPU.csdata,"",@progbits
; Kernel info:
; codeLenInByte = 988
; NumSgprs: 29
; NumVgprs: 11
; ScratchSize: 0
; MemoryBound: 0
; FloatMode: 240
; IeeeMode: 1
; LDSByteSize: 128 bytes/workgroup (compile time only)
; SGPRBlocks: 3
; VGPRBlocks: 1
; NumSGPRsForWavesPerEU: 29
; NumVGPRsForWavesPerEU: 11
; Occupancy: 16
; WaveLimiterHint : 0
; COMPUTE_PGM_RSRC2:SCRATCH_EN: 0
; COMPUTE_PGM_RSRC2:USER_SGPR: 14
; COMPUTE_PGM_RSRC2:TRAP_HANDLER: 0
; COMPUTE_PGM_RSRC2:TGID_X_EN: 1
; COMPUTE_PGM_RSRC2:TGID_Y_EN: 0
; COMPUTE_PGM_RSRC2:TGID_Z_EN: 1
; COMPUTE_PGM_RSRC2:TIDIG_COMP_CNT: 0
	.section	.text._ZL24rocblas_dot_kernel_magsqIlLb1ELi1024ELi32ELb0EfPKffEviT5_lT_liPT6_PT4_,"axG",@progbits,_ZL24rocblas_dot_kernel_magsqIlLb1ELi1024ELi32ELb0EfPKffEviT5_lT_liPT6_PT4_,comdat
	.globl	_ZL24rocblas_dot_kernel_magsqIlLb1ELi1024ELi32ELb0EfPKffEviT5_lT_liPT6_PT4_ ; -- Begin function _ZL24rocblas_dot_kernel_magsqIlLb1ELi1024ELi32ELb0EfPKffEviT5_lT_liPT6_PT4_
	.p2align	8
	.type	_ZL24rocblas_dot_kernel_magsqIlLb1ELi1024ELi32ELb0EfPKffEviT5_lT_liPT6_PT4_,@function
_ZL24rocblas_dot_kernel_magsqIlLb1ELi1024ELi32ELb0EfPKffEviT5_lT_liPT6_PT4_: ; @_ZL24rocblas_dot_kernel_magsqIlLb1ELi1024ELi32ELb0EfPKffEviT5_lT_liPT6_PT4_
; %bb.0:
	s_clause 0x1
	s_load_b32 s8, s[0:1], 0x0
	s_load_b64 s[2:3], s[0:1], 0x38
	v_mov_b32_e32 v3, 0
	s_mov_b32 s4, s15
	s_mov_b32 s5, 0
	s_mov_b32 s9, exec_lo
	s_waitcnt lgkmcnt(0)
	v_cmpx_gt_i32_e64 s8, v0
	s_cbranch_execz .LBB53_4
; %bb.1:
	s_clause 0x3
	s_load_b128 s[12:15], s[0:1], 0x10
	s_load_b32 s16, s[0:1], 0x40
	s_load_b64 s[6:7], s[0:1], 0x20
	s_load_b64 s[10:11], s[0:1], 0x8
	s_waitcnt lgkmcnt(0)
	v_mad_u64_u32 v[1:2], null, s14, v0, 0
	s_mul_i32 s0, s7, s4
	s_mul_hi_u32 s7, s6, s4
	s_mul_i32 s6, s6, s4
	s_add_i32 s7, s7, s0
	s_lshl_b64 s[12:13], s[12:13], 2
	s_lshl_b32 s1, s16, 10
	s_delay_alu instid0(VALU_DEP_1)
	v_mad_u64_u32 v[3:4], null, s15, v0, v[2:3]
	s_lshl_b64 s[6:7], s[6:7], 2
	s_add_u32 s0, s10, s12
	s_addc_u32 s10, s11, s13
	s_add_u32 s0, s0, s6
	s_addc_u32 s10, s10, s7
	s_ashr_i32 s6, s1, 31
	s_delay_alu instid0(VALU_DEP_1) | instskip(SKIP_3) | instid1(VALU_DEP_1)
	v_dual_mov_b32 v2, v3 :: v_dual_mov_b32 v3, 0
	s_mul_hi_u32 s7, s14, s1
	s_mul_i32 s6, s14, s6
	s_mul_i32 s11, s15, s1
	v_lshlrev_b64 v[1:2], 2, v[1:2]
	s_add_i32 s7, s7, s6
	v_or_b32_e32 v4, s1, v0
	s_mul_i32 s6, s14, s1
	s_add_i32 s7, s7, s11
	s_mov_b32 s11, s5
	v_add_co_u32 v1, vcc_lo, s0, v1
	v_add_co_ci_u32_e32 v2, vcc_lo, s10, v2, vcc_lo
	s_lshl_b64 s[6:7], s[6:7], 2
	s_mov_b32 s10, s5
	.p2align	6
.LBB53_2:                               ; =>This Inner Loop Header: Depth=1
	global_load_b32 v5, v[1:2], off
	s_add_i32 s12, s11, 1
	v_cmp_le_i32_e32 vcc_lo, s8, v4
	v_add_co_u32 v1, s0, v1, s6
	s_cmp_gt_u32 s11, 30
	v_add_co_ci_u32_e64 v2, s0, s7, v2, s0
	s_cselect_b32 s0, -1, 0
	v_add_nc_u32_e32 v4, s1, v4
	s_or_b32 s0, s0, vcc_lo
	s_mov_b32 s11, s12
	s_and_b32 s0, exec_lo, s0
	s_delay_alu instid0(SALU_CYCLE_1)
	s_or_b32 s10, s0, s10
	s_waitcnt vmcnt(0)
	v_fmac_f32_e32 v3, v5, v5
	s_and_not1_b32 exec_lo, exec_lo, s10
	s_cbranch_execnz .LBB53_2
; %bb.3:
	s_or_b32 exec_lo, exec_lo, s10
.LBB53_4:
	s_delay_alu instid0(SALU_CYCLE_1) | instskip(SKIP_2) | instid1(VALU_DEP_2)
	s_or_b32 exec_lo, exec_lo, s9
	v_and_b32_e32 v7, 31, v0
	v_cmp_gt_u32_e32 vcc_lo, 32, v0
	v_lshlrev_b32_e32 v1, 2, v7
	s_and_saveexec_b32 s0, vcc_lo
	s_cbranch_execz .LBB53_6
; %bb.5:
	v_mov_b32_e32 v2, 0
	ds_store_b32 v1, v2
.LBB53_6:
	s_or_b32 exec_lo, exec_lo, s0
	v_mbcnt_lo_u32_b32 v6, -1, 0
	s_mov_b32 s1, exec_lo
	s_waitcnt lgkmcnt(0)
	s_barrier
	buffer_gl0_inv
	v_cmp_gt_u32_e64 s0, 16, v6
	s_delay_alu instid0(VALU_DEP_1) | instskip(SKIP_1) | instid1(VALU_DEP_2)
	v_cndmask_b32_e64 v2, 0, 1, s0
	v_cmp_gt_u32_e64 s0, 24, v6
	v_lshlrev_b32_e32 v2, 4, v2
	s_delay_alu instid0(VALU_DEP_2) | instskip(SKIP_1) | instid1(VALU_DEP_3)
	v_cndmask_b32_e64 v4, 0, 1, s0
	v_cmp_gt_u32_e64 s0, 28, v6
	v_add_lshl_u32 v2, v2, v6, 2
	s_delay_alu instid0(VALU_DEP_3)
	v_lshlrev_b32_e32 v4, 3, v4
	ds_bpermute_b32 v5, v2, v3
	v_add_lshl_u32 v4, v4, v6, 2
	s_waitcnt lgkmcnt(0)
	v_add_f32_e32 v5, v3, v5
	v_cndmask_b32_e64 v3, 0, 1, s0
	v_cmp_gt_u32_e64 s0, 30, v6
	ds_bpermute_b32 v8, v4, v5
	s_waitcnt lgkmcnt(0)
	v_dual_add_f32 v8, v5, v8 :: v_dual_lshlrev_b32 v3, 2, v3
	s_delay_alu instid0(VALU_DEP_1) | instskip(SKIP_4) | instid1(VALU_DEP_1)
	v_add_lshl_u32 v3, v3, v6, 2
	v_cndmask_b32_e64 v5, 0, 1, s0
	v_cmp_ne_u32_e64 s0, 31, v6
	ds_bpermute_b32 v9, v3, v8
	v_lshlrev_b32_e32 v5, 1, v5
	v_add_lshl_u32 v5, v5, v6, 2
	v_add_co_ci_u32_e64 v6, s0, 0, v6, s0
	s_delay_alu instid0(VALU_DEP_1)
	v_lshlrev_b32_e32 v6, 2, v6
	s_waitcnt lgkmcnt(0)
	v_add_f32_e32 v8, v8, v9
	ds_bpermute_b32 v9, v5, v8
	s_waitcnt lgkmcnt(0)
	v_add_f32_e32 v8, v8, v9
	ds_bpermute_b32 v9, v6, v8
	v_cmpx_eq_u32_e32 0, v7
	s_cbranch_execz .LBB53_8
; %bb.7:
	v_lshrrev_b32_e32 v7, 3, v0
	s_waitcnt lgkmcnt(0)
	s_delay_alu instid0(VALU_DEP_1)
	v_dual_add_f32 v8, v8, v9 :: v_dual_and_b32 v7, 0x7c, v7
	ds_store_b32 v7, v8
.LBB53_8:
	s_or_b32 exec_lo, exec_lo, s1
	v_mov_b32_e32 v7, 0
	s_waitcnt lgkmcnt(0)
	s_barrier
	buffer_gl0_inv
	s_and_saveexec_b32 s0, vcc_lo
	s_cbranch_execz .LBB53_10
; %bb.9:
	ds_load_b32 v7, v1
.LBB53_10:
	s_or_b32 exec_lo, exec_lo, s0
	s_and_saveexec_b32 s0, vcc_lo
	s_cbranch_execz .LBB53_12
; %bb.11:
	s_waitcnt lgkmcnt(0)
	ds_bpermute_b32 v1, v2, v7
	s_waitcnt lgkmcnt(0)
	v_add_f32_e32 v1, v7, v1
	ds_bpermute_b32 v2, v4, v1
	s_waitcnt lgkmcnt(0)
	v_add_f32_e32 v1, v1, v2
	;; [unrolled: 3-line block ×5, first 2 shown]
.LBB53_12:
	s_or_b32 exec_lo, exec_lo, s0
	s_delay_alu instid0(SALU_CYCLE_1)
	s_mov_b32 s0, exec_lo
	v_cmpx_eq_u32_e32 0, v0
	s_cbranch_execz .LBB53_14
; %bb.13:
	s_lshl_b64 s[0:1], s[4:5], 2
	v_mov_b32_e32 v0, 0
	s_add_u32 s0, s2, s0
	s_addc_u32 s1, s3, s1
	s_waitcnt lgkmcnt(0)
	global_store_b32 v0, v7, s[0:1]
.LBB53_14:
	s_nop 0
	s_sendmsg sendmsg(MSG_DEALLOC_VGPRS)
	s_endpgm
	.section	.rodata,"a",@progbits
	.p2align	6, 0x0
	.amdhsa_kernel _ZL24rocblas_dot_kernel_magsqIlLb1ELi1024ELi32ELb0EfPKffEviT5_lT_liPT6_PT4_
		.amdhsa_group_segment_fixed_size 128
		.amdhsa_private_segment_fixed_size 0
		.amdhsa_kernarg_size 320
		.amdhsa_user_sgpr_count 14
		.amdhsa_user_sgpr_dispatch_ptr 0
		.amdhsa_user_sgpr_queue_ptr 0
		.amdhsa_user_sgpr_kernarg_segment_ptr 1
		.amdhsa_user_sgpr_dispatch_id 0
		.amdhsa_user_sgpr_private_segment_size 0
		.amdhsa_wavefront_size32 1
		.amdhsa_uses_dynamic_stack 0
		.amdhsa_enable_private_segment 0
		.amdhsa_system_sgpr_workgroup_id_x 1
		.amdhsa_system_sgpr_workgroup_id_y 0
		.amdhsa_system_sgpr_workgroup_id_z 1
		.amdhsa_system_sgpr_workgroup_info 0
		.amdhsa_system_vgpr_workitem_id 0
		.amdhsa_next_free_vgpr 10
		.amdhsa_next_free_sgpr 17
		.amdhsa_reserve_vcc 1
		.amdhsa_float_round_mode_32 0
		.amdhsa_float_round_mode_16_64 0
		.amdhsa_float_denorm_mode_32 3
		.amdhsa_float_denorm_mode_16_64 3
		.amdhsa_dx10_clamp 1
		.amdhsa_ieee_mode 1
		.amdhsa_fp16_overflow 0
		.amdhsa_workgroup_processor_mode 1
		.amdhsa_memory_ordered 1
		.amdhsa_forward_progress 0
		.amdhsa_shared_vgpr_count 0
		.amdhsa_exception_fp_ieee_invalid_op 0
		.amdhsa_exception_fp_denorm_src 0
		.amdhsa_exception_fp_ieee_div_zero 0
		.amdhsa_exception_fp_ieee_overflow 0
		.amdhsa_exception_fp_ieee_underflow 0
		.amdhsa_exception_fp_ieee_inexact 0
		.amdhsa_exception_int_div_zero 0
	.end_amdhsa_kernel
	.section	.text._ZL24rocblas_dot_kernel_magsqIlLb1ELi1024ELi32ELb0EfPKffEviT5_lT_liPT6_PT4_,"axG",@progbits,_ZL24rocblas_dot_kernel_magsqIlLb1ELi1024ELi32ELb0EfPKffEviT5_lT_liPT6_PT4_,comdat
.Lfunc_end53:
	.size	_ZL24rocblas_dot_kernel_magsqIlLb1ELi1024ELi32ELb0EfPKffEviT5_lT_liPT6_PT4_, .Lfunc_end53-_ZL24rocblas_dot_kernel_magsqIlLb1ELi1024ELi32ELb0EfPKffEviT5_lT_liPT6_PT4_
                                        ; -- End function
	.section	.AMDGPU.csdata,"",@progbits
; Kernel info:
; codeLenInByte = 848
; NumSgprs: 19
; NumVgprs: 10
; ScratchSize: 0
; MemoryBound: 0
; FloatMode: 240
; IeeeMode: 1
; LDSByteSize: 128 bytes/workgroup (compile time only)
; SGPRBlocks: 2
; VGPRBlocks: 1
; NumSGPRsForWavesPerEU: 19
; NumVGPRsForWavesPerEU: 10
; Occupancy: 16
; WaveLimiterHint : 0
; COMPUTE_PGM_RSRC2:SCRATCH_EN: 0
; COMPUTE_PGM_RSRC2:USER_SGPR: 14
; COMPUTE_PGM_RSRC2:TRAP_HANDLER: 0
; COMPUTE_PGM_RSRC2:TGID_X_EN: 1
; COMPUTE_PGM_RSRC2:TGID_Y_EN: 0
; COMPUTE_PGM_RSRC2:TGID_Z_EN: 1
; COMPUTE_PGM_RSRC2:TIDIG_COMP_CNT: 0
	.section	.text._ZL38rocblas_dot_kernel_gfx942_float_doubleIlLi1024EfPKffEviT2_lT_lS2_lS3_lPT3_PT1_,"axG",@progbits,_ZL38rocblas_dot_kernel_gfx942_float_doubleIlLi1024EfPKffEviT2_lT_lS2_lS3_lPT3_PT1_,comdat
	.globl	_ZL38rocblas_dot_kernel_gfx942_float_doubleIlLi1024EfPKffEviT2_lT_lS2_lS3_lPT3_PT1_ ; -- Begin function _ZL38rocblas_dot_kernel_gfx942_float_doubleIlLi1024EfPKffEviT2_lT_lS2_lS3_lPT3_PT1_
	.p2align	8
	.type	_ZL38rocblas_dot_kernel_gfx942_float_doubleIlLi1024EfPKffEviT2_lT_lS2_lS3_lPT3_PT1_,@function
_ZL38rocblas_dot_kernel_gfx942_float_doubleIlLi1024EfPKffEviT2_lT_lS2_lS3_lPT3_PT1_: ; @_ZL38rocblas_dot_kernel_gfx942_float_doubleIlLi1024EfPKffEviT2_lT_lS2_lS3_lPT3_PT1_
; %bb.0:
	s_endpgm
	.section	.rodata,"a",@progbits
	.p2align	6, 0x0
	.amdhsa_kernel _ZL38rocblas_dot_kernel_gfx942_float_doubleIlLi1024EfPKffEviT2_lT_lS2_lS3_lPT3_PT1_
		.amdhsa_group_segment_fixed_size 0
		.amdhsa_private_segment_fixed_size 0
		.amdhsa_kernarg_size 88
		.amdhsa_user_sgpr_count 15
		.amdhsa_user_sgpr_dispatch_ptr 0
		.amdhsa_user_sgpr_queue_ptr 0
		.amdhsa_user_sgpr_kernarg_segment_ptr 1
		.amdhsa_user_sgpr_dispatch_id 0
		.amdhsa_user_sgpr_private_segment_size 0
		.amdhsa_wavefront_size32 1
		.amdhsa_uses_dynamic_stack 0
		.amdhsa_enable_private_segment 0
		.amdhsa_system_sgpr_workgroup_id_x 1
		.amdhsa_system_sgpr_workgroup_id_y 0
		.amdhsa_system_sgpr_workgroup_id_z 0
		.amdhsa_system_sgpr_workgroup_info 0
		.amdhsa_system_vgpr_workitem_id 0
		.amdhsa_next_free_vgpr 1
		.amdhsa_next_free_sgpr 1
		.amdhsa_reserve_vcc 0
		.amdhsa_float_round_mode_32 0
		.amdhsa_float_round_mode_16_64 0
		.amdhsa_float_denorm_mode_32 3
		.amdhsa_float_denorm_mode_16_64 3
		.amdhsa_dx10_clamp 1
		.amdhsa_ieee_mode 1
		.amdhsa_fp16_overflow 0
		.amdhsa_workgroup_processor_mode 1
		.amdhsa_memory_ordered 1
		.amdhsa_forward_progress 0
		.amdhsa_shared_vgpr_count 0
		.amdhsa_exception_fp_ieee_invalid_op 0
		.amdhsa_exception_fp_denorm_src 0
		.amdhsa_exception_fp_ieee_div_zero 0
		.amdhsa_exception_fp_ieee_overflow 0
		.amdhsa_exception_fp_ieee_underflow 0
		.amdhsa_exception_fp_ieee_inexact 0
		.amdhsa_exception_int_div_zero 0
	.end_amdhsa_kernel
	.section	.text._ZL38rocblas_dot_kernel_gfx942_float_doubleIlLi1024EfPKffEviT2_lT_lS2_lS3_lPT3_PT1_,"axG",@progbits,_ZL38rocblas_dot_kernel_gfx942_float_doubleIlLi1024EfPKffEviT2_lT_lS2_lS3_lPT3_PT1_,comdat
.Lfunc_end54:
	.size	_ZL38rocblas_dot_kernel_gfx942_float_doubleIlLi1024EfPKffEviT2_lT_lS2_lS3_lPT3_PT1_, .Lfunc_end54-_ZL38rocblas_dot_kernel_gfx942_float_doubleIlLi1024EfPKffEviT2_lT_lS2_lS3_lPT3_PT1_
                                        ; -- End function
	.section	.AMDGPU.csdata,"",@progbits
; Kernel info:
; codeLenInByte = 4
; NumSgprs: 0
; NumVgprs: 0
; ScratchSize: 0
; MemoryBound: 0
; FloatMode: 240
; IeeeMode: 1
; LDSByteSize: 0 bytes/workgroup (compile time only)
; SGPRBlocks: 0
; VGPRBlocks: 0
; NumSGPRsForWavesPerEU: 1
; NumVGPRsForWavesPerEU: 1
; Occupancy: 16
; WaveLimiterHint : 0
; COMPUTE_PGM_RSRC2:SCRATCH_EN: 0
; COMPUTE_PGM_RSRC2:USER_SGPR: 15
; COMPUTE_PGM_RSRC2:TRAP_HANDLER: 0
; COMPUTE_PGM_RSRC2:TGID_X_EN: 1
; COMPUTE_PGM_RSRC2:TGID_Y_EN: 0
; COMPUTE_PGM_RSRC2:TGID_Z_EN: 0
; COMPUTE_PGM_RSRC2:TIDIG_COMP_CNT: 0
	.section	.text._ZL18rocblas_dot_kernelIlLb0ELi512ELi4ELb0EfPKffEviT5_lT_lS2_lS3_liPT6_PT4_,"axG",@progbits,_ZL18rocblas_dot_kernelIlLb0ELi512ELi4ELb0EfPKffEviT5_lT_lS2_lS3_liPT6_PT4_,comdat
	.globl	_ZL18rocblas_dot_kernelIlLb0ELi512ELi4ELb0EfPKffEviT5_lT_lS2_lS3_liPT6_PT4_ ; -- Begin function _ZL18rocblas_dot_kernelIlLb0ELi512ELi4ELb0EfPKffEviT5_lT_lS2_lS3_liPT6_PT4_
	.p2align	8
	.type	_ZL18rocblas_dot_kernelIlLb0ELi512ELi4ELb0EfPKffEviT5_lT_lS2_lS3_liPT6_PT4_,@function
_ZL18rocblas_dot_kernelIlLb0ELi512ELi4ELb0EfPKffEviT5_lT_lS2_lS3_liPT6_PT4_: ; @_ZL18rocblas_dot_kernelIlLb0ELi512ELi4ELb0EfPKffEviT5_lT_lS2_lS3_liPT6_PT4_
; %bb.0:
	s_clause 0x2
	s_load_b32 s12, s[0:1], 0x60
	s_load_b32 s13, s[0:1], 0x0
	s_load_b128 s[16:19], s[0:1], 0x50
	v_lshl_or_b32 v1, s14, 9, v0
	v_mov_b32_e32 v6, 0
	s_mov_b32 s2, s15
	s_mov_b32 s3, 0
	s_mov_b32 s15, exec_lo
	s_waitcnt lgkmcnt(0)
	v_cmpx_gt_i32_e64 s13, v1
	s_cbranch_execz .LBB55_4
; %bb.1:
	s_clause 0x2
	s_load_b128 s[20:23], s[0:1], 0x10
	s_load_b256 s[4:11], s[0:1], 0x20
	s_load_b64 s[26:27], s[0:1], 0x8
	v_ashrrev_i32_e32 v4, 31, v1
	s_load_b64 s[0:1], s[0:1], 0x40
	s_lshl_b32 s24, s12, 9
	s_delay_alu instid0(SALU_CYCLE_1)
	v_add_nc_u32_e32 v5, s24, v1
	s_waitcnt lgkmcnt(0)
	v_mul_lo_u32 v8, s23, v1
	v_mul_lo_u32 v9, s22, v4
	v_mad_u64_u32 v[2:3], null, s22, v1, 0
	s_mul_i32 s5, s5, s2
	s_mul_hi_u32 s25, s4, s2
	s_mul_i32 s4, s4, s2
	v_mul_lo_u32 v10, s11, v1
	v_mul_lo_u32 v4, s10, v4
	s_add_i32 s5, s25, s5
	s_delay_alu instid0(VALU_DEP_3)
	v_add3_u32 v3, v3, v9, v8
	v_mad_u64_u32 v[6:7], null, s10, v1, 0
	s_lshl_b64 s[20:21], s[20:21], 2
	s_lshl_b64 s[4:5], s[4:5], 2
	s_add_u32 s20, s26, s20
	s_addc_u32 s21, s27, s21
	v_lshlrev_b64 v[1:2], 2, v[2:3]
	s_add_u32 s20, s20, s4
	s_addc_u32 s21, s21, s5
	s_ashr_i32 s25, s24, 31
	s_mul_hi_u32 s4, s22, s24
	s_mul_i32 s5, s22, s25
	v_add3_u32 v7, v7, v4, v10
	s_mul_i32 s23, s23, s24
	s_add_i32 s5, s4, s5
	v_add_co_u32 v1, vcc_lo, s20, v1
	s_mul_i32 s1, s1, s2
	s_mul_hi_u32 s20, s0, s2
	s_mul_i32 s4, s22, s24
	s_add_i32 s5, s5, s23
	s_add_i32 s1, s20, s1
	s_mul_i32 s0, s0, s2
	v_lshlrev_b64 v[3:4], 2, v[6:7]
	v_mov_b32_e32 v6, 0
	s_lshl_b64 s[8:9], s[8:9], 2
	s_lshl_b64 s[4:5], s[4:5], 2
	;; [unrolled: 1-line block ×3, first 2 shown]
	s_add_u32 s6, s6, s8
	s_addc_u32 s7, s7, s9
	s_add_u32 s0, s6, s0
	v_add_co_ci_u32_e32 v2, vcc_lo, s21, v2, vcc_lo
	s_mul_i32 s6, s10, s25
	s_mul_hi_u32 s8, s10, s24
	s_addc_u32 s1, s7, s1
	v_add_co_u32 v3, vcc_lo, s0, v3
	s_add_i32 s6, s8, s6
	s_mul_i32 s7, s11, s24
	v_add_co_ci_u32_e32 v4, vcc_lo, s1, v4, vcc_lo
	s_add_i32 s1, s6, s7
	s_mul_i32 s0, s10, s24
	s_mov_b32 s8, s3
	s_lshl_b64 s[6:7], s[0:1], 2
	s_mov_b32 s1, s3
	.p2align	6
.LBB55_2:                               ; =>This Inner Loop Header: Depth=1
	global_load_b32 v7, v[3:4], off
	global_load_b32 v8, v[1:2], off
	v_add_co_u32 v1, s0, v1, s4
	s_delay_alu instid0(VALU_DEP_1)
	v_add_co_ci_u32_e64 v2, s0, s5, v2, s0
	s_add_i32 s9, s8, 1
	v_cmp_le_i32_e32 vcc_lo, s13, v5
	v_add_co_u32 v3, s0, v3, s6
	s_cmp_gt_u32 s8, 2
	v_add_co_ci_u32_e64 v4, s0, s7, v4, s0
	s_cselect_b32 s0, -1, 0
	v_add_nc_u32_e32 v5, s24, v5
	s_or_b32 s0, s0, vcc_lo
	s_mov_b32 s8, s9
	s_and_b32 s0, exec_lo, s0
	s_delay_alu instid0(SALU_CYCLE_1)
	s_or_b32 s1, s0, s1
	s_waitcnt vmcnt(0)
	v_fmac_f32_e32 v6, v7, v8
	s_and_not1_b32 exec_lo, exec_lo, s1
	s_cbranch_execnz .LBB55_2
; %bb.3:
	s_or_b32 exec_lo, exec_lo, s1
.LBB55_4:
	s_delay_alu instid0(SALU_CYCLE_1) | instskip(SKIP_2) | instid1(VALU_DEP_2)
	s_or_b32 exec_lo, exec_lo, s15
	v_and_b32_e32 v2, 31, v0
	v_cmp_gt_u32_e32 vcc_lo, 32, v0
	v_lshlrev_b32_e32 v1, 2, v2
	s_and_saveexec_b32 s0, vcc_lo
	s_cbranch_execz .LBB55_6
; %bb.5:
	v_mov_b32_e32 v3, 0
	ds_store_b32 v1, v3
.LBB55_6:
	s_or_b32 exec_lo, exec_lo, s0
	v_mbcnt_lo_u32_b32 v7, -1, 0
	s_mov_b32 s1, exec_lo
	s_waitcnt lgkmcnt(0)
	s_barrier
	buffer_gl0_inv
	v_cmp_gt_u32_e64 s0, 16, v7
	s_delay_alu instid0(VALU_DEP_1) | instskip(SKIP_1) | instid1(VALU_DEP_2)
	v_cndmask_b32_e64 v3, 0, 1, s0
	v_cmp_gt_u32_e64 s0, 24, v7
	v_lshlrev_b32_e32 v3, 4, v3
	s_delay_alu instid0(VALU_DEP_1) | instskip(SKIP_3) | instid1(VALU_DEP_2)
	v_add_lshl_u32 v3, v3, v7, 2
	ds_bpermute_b32 v4, v3, v6
	v_cndmask_b32_e64 v3, 0, 1, s0
	v_cmp_gt_u32_e64 s0, 28, v7
	v_lshlrev_b32_e32 v3, 3, v3
	s_delay_alu instid0(VALU_DEP_1)
	v_add_lshl_u32 v3, v3, v7, 2
	s_waitcnt lgkmcnt(0)
	v_add_f32_e32 v5, v6, v4
	v_cndmask_b32_e64 v4, 0, 1, s0
	v_cmp_gt_u32_e64 s0, 30, v7
	ds_bpermute_b32 v6, v3, v5
	v_lshlrev_b32_e32 v4, 2, v4
	s_delay_alu instid0(VALU_DEP_1)
	v_add_lshl_u32 v4, v4, v7, 2
	s_waitcnt lgkmcnt(0)
	v_add_f32_e32 v6, v5, v6
	v_cndmask_b32_e64 v5, 0, 1, s0
	v_cmp_ne_u32_e64 s0, 31, v7
	ds_bpermute_b32 v8, v4, v6
	v_lshlrev_b32_e32 v5, 1, v5
	v_add_co_ci_u32_e64 v9, s0, 0, v7, s0
	s_delay_alu instid0(VALU_DEP_2)
	v_add_lshl_u32 v5, v5, v7, 2
	s_waitcnt lgkmcnt(0)
	v_add_f32_e32 v6, v6, v8
	ds_bpermute_b32 v8, v5, v6
	s_waitcnt lgkmcnt(0)
	v_dual_add_f32 v7, v6, v8 :: v_dual_lshlrev_b32 v6, 2, v9
	ds_bpermute_b32 v8, v6, v7
	v_cmpx_eq_u32_e32 0, v2
	s_cbranch_execz .LBB55_8
; %bb.7:
	v_lshrrev_b32_e32 v2, 3, v0
	s_waitcnt lgkmcnt(0)
	s_delay_alu instid0(VALU_DEP_1)
	v_dual_add_f32 v7, v7, v8 :: v_dual_and_b32 v2, 60, v2
	ds_store_b32 v2, v7
.LBB55_8:
	s_or_b32 exec_lo, exec_lo, s1
	v_mov_b32_e32 v2, 0
	s_mov_b32 s1, exec_lo
	s_waitcnt lgkmcnt(0)
	s_barrier
	buffer_gl0_inv
	v_cmpx_gt_u32_e32 16, v0
	s_cbranch_execz .LBB55_10
; %bb.9:
	ds_load_b32 v2, v1
.LBB55_10:
	s_or_b32 exec_lo, exec_lo, s1
	s_and_saveexec_b32 s0, vcc_lo
	s_cbranch_execz .LBB55_12
; %bb.11:
	s_waitcnt lgkmcnt(0)
	ds_bpermute_b32 v1, v3, v2
	s_waitcnt lgkmcnt(0)
	v_add_f32_e32 v1, v2, v1
	ds_bpermute_b32 v2, v4, v1
	s_waitcnt lgkmcnt(0)
	v_add_f32_e32 v1, v1, v2
	;; [unrolled: 3-line block ×4, first 2 shown]
.LBB55_12:
	s_or_b32 exec_lo, exec_lo, s0
	s_delay_alu instid0(SALU_CYCLE_1)
	s_mov_b32 s0, exec_lo
	v_cmpx_eq_u32_e32 0, v0
	s_cbranch_execz .LBB55_18
; %bb.13:
	s_cmp_lg_u32 s12, 1
	s_cbranch_scc0 .LBB55_15
; %bb.14:
	s_mul_hi_u32 s1, s12, s2
	s_mul_i32 s0, s12, s2
	s_mov_b32 s15, 0
	s_lshl_b64 s[0:1], s[0:1], 2
	s_delay_alu instid0(SALU_CYCLE_1) | instskip(SKIP_2) | instid1(SALU_CYCLE_1)
	s_add_u32 s4, s16, s0
	s_addc_u32 s5, s17, s1
	s_lshl_b64 s[0:1], s[14:15], 2
	s_add_u32 s0, s4, s0
	s_addc_u32 s1, s5, s1
	s_cbranch_execz .LBB55_16
	s_branch .LBB55_17
.LBB55_15:
                                        ; implicit-def: $sgpr0_sgpr1
.LBB55_16:
	s_lshl_b64 s[0:1], s[2:3], 2
	s_delay_alu instid0(SALU_CYCLE_1)
	s_add_u32 s0, s18, s0
	s_addc_u32 s1, s19, s1
.LBB55_17:
	v_mov_b32_e32 v0, 0
	s_waitcnt lgkmcnt(0)
	global_store_b32 v0, v2, s[0:1]
.LBB55_18:
	s_nop 0
	s_sendmsg sendmsg(MSG_DEALLOC_VGPRS)
	s_endpgm
	.section	.rodata,"a",@progbits
	.p2align	6, 0x0
	.amdhsa_kernel _ZL18rocblas_dot_kernelIlLb0ELi512ELi4ELb0EfPKffEviT5_lT_lS2_lS3_liPT6_PT4_
		.amdhsa_group_segment_fixed_size 128
		.amdhsa_private_segment_fixed_size 0
		.amdhsa_kernarg_size 352
		.amdhsa_user_sgpr_count 14
		.amdhsa_user_sgpr_dispatch_ptr 0
		.amdhsa_user_sgpr_queue_ptr 0
		.amdhsa_user_sgpr_kernarg_segment_ptr 1
		.amdhsa_user_sgpr_dispatch_id 0
		.amdhsa_user_sgpr_private_segment_size 0
		.amdhsa_wavefront_size32 1
		.amdhsa_uses_dynamic_stack 0
		.amdhsa_enable_private_segment 0
		.amdhsa_system_sgpr_workgroup_id_x 1
		.amdhsa_system_sgpr_workgroup_id_y 0
		.amdhsa_system_sgpr_workgroup_id_z 1
		.amdhsa_system_sgpr_workgroup_info 0
		.amdhsa_system_vgpr_workitem_id 0
		.amdhsa_next_free_vgpr 11
		.amdhsa_next_free_sgpr 28
		.amdhsa_reserve_vcc 1
		.amdhsa_float_round_mode_32 0
		.amdhsa_float_round_mode_16_64 0
		.amdhsa_float_denorm_mode_32 3
		.amdhsa_float_denorm_mode_16_64 3
		.amdhsa_dx10_clamp 1
		.amdhsa_ieee_mode 1
		.amdhsa_fp16_overflow 0
		.amdhsa_workgroup_processor_mode 1
		.amdhsa_memory_ordered 1
		.amdhsa_forward_progress 0
		.amdhsa_shared_vgpr_count 0
		.amdhsa_exception_fp_ieee_invalid_op 0
		.amdhsa_exception_fp_denorm_src 0
		.amdhsa_exception_fp_ieee_div_zero 0
		.amdhsa_exception_fp_ieee_overflow 0
		.amdhsa_exception_fp_ieee_underflow 0
		.amdhsa_exception_fp_ieee_inexact 0
		.amdhsa_exception_int_div_zero 0
	.end_amdhsa_kernel
	.section	.text._ZL18rocblas_dot_kernelIlLb0ELi512ELi4ELb0EfPKffEviT5_lT_lS2_lS3_liPT6_PT4_,"axG",@progbits,_ZL18rocblas_dot_kernelIlLb0ELi512ELi4ELb0EfPKffEviT5_lT_lS2_lS3_liPT6_PT4_,comdat
.Lfunc_end55:
	.size	_ZL18rocblas_dot_kernelIlLb0ELi512ELi4ELb0EfPKffEviT5_lT_lS2_lS3_liPT6_PT4_, .Lfunc_end55-_ZL18rocblas_dot_kernelIlLb0ELi512ELi4ELb0EfPKffEviT5_lT_lS2_lS3_liPT6_PT4_
                                        ; -- End function
	.section	.AMDGPU.csdata,"",@progbits
; Kernel info:
; codeLenInByte = 1072
; NumSgprs: 30
; NumVgprs: 11
; ScratchSize: 0
; MemoryBound: 0
; FloatMode: 240
; IeeeMode: 1
; LDSByteSize: 128 bytes/workgroup (compile time only)
; SGPRBlocks: 3
; VGPRBlocks: 1
; NumSGPRsForWavesPerEU: 30
; NumVGPRsForWavesPerEU: 11
; Occupancy: 16
; WaveLimiterHint : 0
; COMPUTE_PGM_RSRC2:SCRATCH_EN: 0
; COMPUTE_PGM_RSRC2:USER_SGPR: 14
; COMPUTE_PGM_RSRC2:TRAP_HANDLER: 0
; COMPUTE_PGM_RSRC2:TGID_X_EN: 1
; COMPUTE_PGM_RSRC2:TGID_Y_EN: 0
; COMPUTE_PGM_RSRC2:TGID_Z_EN: 1
; COMPUTE_PGM_RSRC2:TIDIG_COMP_CNT: 0
	.section	.text._ZL24rocblas_dot_kernel_magsqIlLb0ELi512ELi4ELb0EfPKffEviT5_lT_liPT6_PT4_,"axG",@progbits,_ZL24rocblas_dot_kernel_magsqIlLb0ELi512ELi4ELb0EfPKffEviT5_lT_liPT6_PT4_,comdat
	.globl	_ZL24rocblas_dot_kernel_magsqIlLb0ELi512ELi4ELb0EfPKffEviT5_lT_liPT6_PT4_ ; -- Begin function _ZL24rocblas_dot_kernel_magsqIlLb0ELi512ELi4ELb0EfPKffEviT5_lT_liPT6_PT4_
	.p2align	8
	.type	_ZL24rocblas_dot_kernel_magsqIlLb0ELi512ELi4ELb0EfPKffEviT5_lT_liPT6_PT4_,@function
_ZL24rocblas_dot_kernel_magsqIlLb0ELi512ELi4ELb0EfPKffEviT5_lT_liPT6_PT4_: ; @_ZL24rocblas_dot_kernel_magsqIlLb0ELi512ELi4ELb0EfPKffEviT5_lT_liPT6_PT4_
; %bb.0:
	s_clause 0x2
	s_load_b32 s11, s[0:1], 0x0
	s_load_b128 s[4:7], s[0:1], 0x30
	s_load_b32 s10, s[0:1], 0x40
	v_lshl_or_b32 v1, s14, 9, v0
	v_mov_b32_e32 v3, 0
	s_mov_b32 s2, s15
	s_mov_b32 s3, 0
	s_mov_b32 s12, exec_lo
	s_waitcnt lgkmcnt(0)
	v_cmpx_gt_i32_e64 s11, v1
	s_cbranch_execz .LBB56_4
; %bb.1:
	s_clause 0x2
	s_load_b128 s[16:19], s[0:1], 0x10
	s_load_b64 s[8:9], s[0:1], 0x20
	s_load_b64 s[20:21], s[0:1], 0x8
	v_ashrrev_i32_e32 v2, 31, v1
	s_lshl_b32 s1, s10, 9
	s_delay_alu instid0(SALU_CYCLE_1)
	v_add_nc_u32_e32 v4, s1, v1
	s_waitcnt lgkmcnt(0)
	v_mul_lo_u32 v5, s19, v1
	v_mul_lo_u32 v6, s18, v2
	v_mad_u64_u32 v[2:3], null, s18, v1, 0
	s_mul_i32 s0, s9, s2
	s_mul_hi_u32 s9, s8, s2
	s_mul_i32 s8, s8, s2
	s_add_i32 s9, s9, s0
	s_lshl_b64 s[16:17], s[16:17], 2
	s_lshl_b64 s[8:9], s[8:9], 2
	s_delay_alu instid0(VALU_DEP_1)
	v_add3_u32 v3, v3, v6, v5
	s_add_u32 s0, s20, s16
	s_addc_u32 s13, s21, s17
	s_add_u32 s0, s0, s8
	s_addc_u32 s13, s13, s9
	v_lshlrev_b64 v[1:2], 2, v[2:3]
	v_mov_b32_e32 v3, 0
	s_ashr_i32 s8, s1, 31
	s_mul_hi_u32 s9, s18, s1
	s_mul_i32 s8, s18, s8
	s_mul_i32 s15, s19, s1
	v_add_co_u32 v1, vcc_lo, s0, v1
	s_add_i32 s9, s9, s8
	v_add_co_ci_u32_e32 v2, vcc_lo, s13, v2, vcc_lo
	s_mul_i32 s8, s18, s1
	s_add_i32 s9, s9, s15
	s_mov_b32 s13, s3
	s_lshl_b64 s[8:9], s[8:9], 2
	s_mov_b32 s15, s3
	.p2align	6
.LBB56_2:                               ; =>This Inner Loop Header: Depth=1
	global_load_b32 v5, v[1:2], off
	s_add_i32 s16, s15, 1
	v_cmp_le_i32_e32 vcc_lo, s11, v4
	v_add_co_u32 v1, s0, v1, s8
	s_cmp_gt_u32 s15, 2
	v_add_co_ci_u32_e64 v2, s0, s9, v2, s0
	s_cselect_b32 s0, -1, 0
	v_add_nc_u32_e32 v4, s1, v4
	s_or_b32 s0, s0, vcc_lo
	s_mov_b32 s15, s16
	s_and_b32 s0, exec_lo, s0
	s_delay_alu instid0(SALU_CYCLE_1)
	s_or_b32 s13, s0, s13
	s_waitcnt vmcnt(0)
	v_fmac_f32_e32 v3, v5, v5
	s_and_not1_b32 exec_lo, exec_lo, s13
	s_cbranch_execnz .LBB56_2
; %bb.3:
	s_or_b32 exec_lo, exec_lo, s13
.LBB56_4:
	s_delay_alu instid0(SALU_CYCLE_1) | instskip(SKIP_2) | instid1(VALU_DEP_2)
	s_or_b32 exec_lo, exec_lo, s12
	v_and_b32_e32 v2, 31, v0
	v_cmp_gt_u32_e32 vcc_lo, 32, v0
	v_lshlrev_b32_e32 v1, 2, v2
	s_and_saveexec_b32 s0, vcc_lo
	s_cbranch_execz .LBB56_6
; %bb.5:
	v_mov_b32_e32 v4, 0
	ds_store_b32 v1, v4
.LBB56_6:
	s_or_b32 exec_lo, exec_lo, s0
	v_mbcnt_lo_u32_b32 v6, -1, 0
	s_mov_b32 s1, exec_lo
	s_waitcnt lgkmcnt(0)
	s_barrier
	buffer_gl0_inv
	v_cmp_gt_u32_e64 s0, 16, v6
	s_delay_alu instid0(VALU_DEP_1) | instskip(SKIP_1) | instid1(VALU_DEP_2)
	v_cndmask_b32_e64 v4, 0, 1, s0
	v_cmp_gt_u32_e64 s0, 24, v6
	v_lshlrev_b32_e32 v4, 4, v4
	s_delay_alu instid0(VALU_DEP_1) | instskip(SKIP_4) | instid1(VALU_DEP_2)
	v_add_lshl_u32 v4, v4, v6, 2
	ds_bpermute_b32 v5, v4, v3
	v_cndmask_b32_e64 v4, 0, 1, s0
	v_cmp_gt_u32_e64 s0, 28, v6
	s_waitcnt lgkmcnt(0)
	v_dual_add_f32 v5, v3, v5 :: v_dual_lshlrev_b32 v4, 3, v4
	s_delay_alu instid0(VALU_DEP_2) | instskip(SKIP_1) | instid1(VALU_DEP_3)
	v_cndmask_b32_e64 v3, 0, 1, s0
	v_cmp_gt_u32_e64 s0, 30, v6
	v_add_lshl_u32 v4, v4, v6, 2
	s_delay_alu instid0(VALU_DEP_3)
	v_lshlrev_b32_e32 v3, 2, v3
	ds_bpermute_b32 v7, v4, v5
	v_add_lshl_u32 v3, v3, v6, 2
	s_waitcnt lgkmcnt(0)
	v_add_f32_e32 v7, v5, v7
	v_cndmask_b32_e64 v5, 0, 1, s0
	v_cmp_ne_u32_e64 s0, 31, v6
	ds_bpermute_b32 v8, v3, v7
	v_lshlrev_b32_e32 v5, 1, v5
	s_delay_alu instid0(VALU_DEP_1) | instskip(SKIP_2) | instid1(VALU_DEP_1)
	v_add_lshl_u32 v5, v5, v6, 2
	v_add_co_ci_u32_e64 v6, s0, 0, v6, s0
	s_waitcnt lgkmcnt(0)
	v_dual_add_f32 v7, v7, v8 :: v_dual_lshlrev_b32 v6, 2, v6
	ds_bpermute_b32 v8, v5, v7
	s_waitcnt lgkmcnt(0)
	v_add_f32_e32 v7, v7, v8
	ds_bpermute_b32 v8, v6, v7
	v_cmpx_eq_u32_e32 0, v2
	s_cbranch_execz .LBB56_8
; %bb.7:
	v_lshrrev_b32_e32 v2, 3, v0
	s_waitcnt lgkmcnt(0)
	s_delay_alu instid0(VALU_DEP_1)
	v_dual_add_f32 v7, v7, v8 :: v_dual_and_b32 v2, 60, v2
	ds_store_b32 v2, v7
.LBB56_8:
	s_or_b32 exec_lo, exec_lo, s1
	v_mov_b32_e32 v2, 0
	s_mov_b32 s1, exec_lo
	s_waitcnt lgkmcnt(0)
	s_barrier
	buffer_gl0_inv
	v_cmpx_gt_u32_e32 16, v0
	s_cbranch_execz .LBB56_10
; %bb.9:
	ds_load_b32 v2, v1
.LBB56_10:
	s_or_b32 exec_lo, exec_lo, s1
	s_and_saveexec_b32 s0, vcc_lo
	s_cbranch_execz .LBB56_12
; %bb.11:
	s_waitcnt lgkmcnt(0)
	ds_bpermute_b32 v1, v4, v2
	s_waitcnt lgkmcnt(0)
	v_add_f32_e32 v1, v2, v1
	ds_bpermute_b32 v2, v3, v1
	s_waitcnt lgkmcnt(0)
	v_add_f32_e32 v1, v1, v2
	;; [unrolled: 3-line block ×4, first 2 shown]
.LBB56_12:
	s_or_b32 exec_lo, exec_lo, s0
	s_delay_alu instid0(SALU_CYCLE_1)
	s_mov_b32 s0, exec_lo
	v_cmpx_eq_u32_e32 0, v0
	s_cbranch_execz .LBB56_18
; %bb.13:
	s_cmp_lg_u32 s10, 1
	s_cbranch_scc0 .LBB56_15
; %bb.14:
	s_mul_hi_u32 s1, s10, s2
	s_mul_i32 s0, s10, s2
	s_mov_b32 s15, 0
	s_lshl_b64 s[0:1], s[0:1], 2
	s_delay_alu instid0(SALU_CYCLE_1) | instskip(SKIP_2) | instid1(SALU_CYCLE_1)
	s_add_u32 s4, s4, s0
	s_addc_u32 s5, s5, s1
	s_lshl_b64 s[0:1], s[14:15], 2
	s_add_u32 s0, s4, s0
	s_addc_u32 s1, s5, s1
	s_cbranch_execz .LBB56_16
	s_branch .LBB56_17
.LBB56_15:
                                        ; implicit-def: $sgpr0_sgpr1
.LBB56_16:
	s_lshl_b64 s[0:1], s[2:3], 2
	s_delay_alu instid0(SALU_CYCLE_1)
	s_add_u32 s0, s6, s0
	s_addc_u32 s1, s7, s1
.LBB56_17:
	v_mov_b32_e32 v0, 0
	s_waitcnt lgkmcnt(0)
	global_store_b32 v0, v2, s[0:1]
.LBB56_18:
	s_nop 0
	s_sendmsg sendmsg(MSG_DEALLOC_VGPRS)
	s_endpgm
	.section	.rodata,"a",@progbits
	.p2align	6, 0x0
	.amdhsa_kernel _ZL24rocblas_dot_kernel_magsqIlLb0ELi512ELi4ELb0EfPKffEviT5_lT_liPT6_PT4_
		.amdhsa_group_segment_fixed_size 128
		.amdhsa_private_segment_fixed_size 0
		.amdhsa_kernarg_size 320
		.amdhsa_user_sgpr_count 14
		.amdhsa_user_sgpr_dispatch_ptr 0
		.amdhsa_user_sgpr_queue_ptr 0
		.amdhsa_user_sgpr_kernarg_segment_ptr 1
		.amdhsa_user_sgpr_dispatch_id 0
		.amdhsa_user_sgpr_private_segment_size 0
		.amdhsa_wavefront_size32 1
		.amdhsa_uses_dynamic_stack 0
		.amdhsa_enable_private_segment 0
		.amdhsa_system_sgpr_workgroup_id_x 1
		.amdhsa_system_sgpr_workgroup_id_y 0
		.amdhsa_system_sgpr_workgroup_id_z 1
		.amdhsa_system_sgpr_workgroup_info 0
		.amdhsa_system_vgpr_workitem_id 0
		.amdhsa_next_free_vgpr 9
		.amdhsa_next_free_sgpr 22
		.amdhsa_reserve_vcc 1
		.amdhsa_float_round_mode_32 0
		.amdhsa_float_round_mode_16_64 0
		.amdhsa_float_denorm_mode_32 3
		.amdhsa_float_denorm_mode_16_64 3
		.amdhsa_dx10_clamp 1
		.amdhsa_ieee_mode 1
		.amdhsa_fp16_overflow 0
		.amdhsa_workgroup_processor_mode 1
		.amdhsa_memory_ordered 1
		.amdhsa_forward_progress 0
		.amdhsa_shared_vgpr_count 0
		.amdhsa_exception_fp_ieee_invalid_op 0
		.amdhsa_exception_fp_denorm_src 0
		.amdhsa_exception_fp_ieee_div_zero 0
		.amdhsa_exception_fp_ieee_overflow 0
		.amdhsa_exception_fp_ieee_underflow 0
		.amdhsa_exception_fp_ieee_inexact 0
		.amdhsa_exception_int_div_zero 0
	.end_amdhsa_kernel
	.section	.text._ZL24rocblas_dot_kernel_magsqIlLb0ELi512ELi4ELb0EfPKffEviT5_lT_liPT6_PT4_,"axG",@progbits,_ZL24rocblas_dot_kernel_magsqIlLb0ELi512ELi4ELb0EfPKffEviT5_lT_liPT6_PT4_,comdat
.Lfunc_end56:
	.size	_ZL24rocblas_dot_kernel_magsqIlLb0ELi512ELi4ELb0EfPKffEviT5_lT_liPT6_PT4_, .Lfunc_end56-_ZL24rocblas_dot_kernel_magsqIlLb0ELi512ELi4ELb0EfPKffEviT5_lT_liPT6_PT4_
                                        ; -- End function
	.section	.AMDGPU.csdata,"",@progbits
; Kernel info:
; codeLenInByte = 916
; NumSgprs: 24
; NumVgprs: 9
; ScratchSize: 0
; MemoryBound: 0
; FloatMode: 240
; IeeeMode: 1
; LDSByteSize: 128 bytes/workgroup (compile time only)
; SGPRBlocks: 2
; VGPRBlocks: 1
; NumSGPRsForWavesPerEU: 24
; NumVGPRsForWavesPerEU: 9
; Occupancy: 16
; WaveLimiterHint : 0
; COMPUTE_PGM_RSRC2:SCRATCH_EN: 0
; COMPUTE_PGM_RSRC2:USER_SGPR: 14
; COMPUTE_PGM_RSRC2:TRAP_HANDLER: 0
; COMPUTE_PGM_RSRC2:TGID_X_EN: 1
; COMPUTE_PGM_RSRC2:TGID_Y_EN: 0
; COMPUTE_PGM_RSRC2:TGID_Z_EN: 1
; COMPUTE_PGM_RSRC2:TIDIG_COMP_CNT: 0
	.section	.text._ZL28rocblas_dot_batched_4_kernelIiLi32ELi4ELb0EddPKdEviT5_lT_lS2_lS3_liPT4_,"axG",@progbits,_ZL28rocblas_dot_batched_4_kernelIiLi32ELi4ELb0EddPKdEviT5_lT_lS2_lS3_liPT4_,comdat
	.globl	_ZL28rocblas_dot_batched_4_kernelIiLi32ELi4ELb0EddPKdEviT5_lT_lS2_lS3_liPT4_ ; -- Begin function _ZL28rocblas_dot_batched_4_kernelIiLi32ELi4ELb0EddPKdEviT5_lT_lS2_lS3_liPT4_
	.p2align	8
	.type	_ZL28rocblas_dot_batched_4_kernelIiLi32ELi4ELb0EddPKdEviT5_lT_lS2_lS3_liPT4_,@function
_ZL28rocblas_dot_batched_4_kernelIiLi32ELi4ELb0EddPKdEviT5_lT_lS2_lS3_liPT4_: ; @_ZL28rocblas_dot_batched_4_kernelIiLi32ELi4ELb0EddPKdEviT5_lT_lS2_lS3_liPT4_
; %bb.0:
	s_load_b32 s2, s[0:1], 0x48
	v_bfe_u32 v1, v0, 10, 10
	s_delay_alu instid0(VALU_DEP_1) | instskip(SKIP_1) | instid1(VALU_DEP_1)
	v_lshl_add_u32 v1, s15, 2, v1
	s_waitcnt lgkmcnt(0)
	v_cmp_gt_u32_e32 vcc_lo, s2, v1
	s_and_saveexec_b32 s2, vcc_lo
	s_cbranch_execz .LBB57_7
; %bb.1:
	s_clause 0x1
	s_load_b32 s12, s[0:1], 0x0
	s_load_b64 s[2:3], s[0:1], 0x50
	v_dual_mov_b32 v3, 0 :: v_dual_and_b32 v0, 0x3ff, v0
	v_mov_b32_e32 v2, 0
	v_mov_b32_e32 v4, 0
	s_mov_b32 s13, exec_lo
	s_waitcnt lgkmcnt(0)
	v_cmpx_gt_i32_e64 s12, v0
	s_cbranch_execz .LBB57_5
; %bb.2:
	s_clause 0x5
	s_load_b128 s[4:7], s[0:1], 0x20
	s_load_b64 s[14:15], s[0:1], 0x40
	s_load_b32 s16, s[0:1], 0x18
	s_load_b32 s18, s[0:1], 0x38
	s_load_b128 s[8:11], s[0:1], 0x8
	s_load_b64 s[0:1], s[0:1], 0x30
	s_waitcnt lgkmcnt(0)
	v_mad_u64_u32 v[5:6], null, s4, v1, 0
	v_mad_u64_u32 v[7:8], null, s14, v1, 0
	v_mad_i64_i32 v[9:10], null, s16, v0, 0
	s_ashr_i32 s17, s16, 31
	s_ashr_i32 s19, s18, 31
	s_delay_alu instid0(VALU_DEP_2) | instskip(NEXT) | instid1(VALU_DEP_2)
	v_mad_u64_u32 v[11:12], null, s5, v1, v[6:7]
	v_mad_u64_u32 v[12:13], null, s15, v1, v[8:9]
	v_mov_b32_e32 v3, 0
	v_mad_i64_i32 v[13:14], null, s18, v0, 0
	v_lshlrev_b64 v[9:10], 3, v[9:10]
	v_mov_b32_e32 v6, v11
	s_lshl_b64 s[4:5], s[10:11], 3
	v_mov_b32_e32 v8, v12
	s_add_u32 s8, s8, s4
	s_addc_u32 s9, s9, s5
	v_lshlrev_b64 v[5:6], 3, v[5:6]
	v_lshlrev_b64 v[11:12], 3, v[13:14]
	v_lshlrev_b64 v[7:8], 3, v[7:8]
	s_lshl_b64 s[0:1], s[0:1], 3
	s_lshl_b64 s[4:5], s[16:17], 8
	s_add_u32 s0, s6, s0
	v_add_co_u32 v5, vcc_lo, v9, v5
	v_add_co_ci_u32_e32 v6, vcc_lo, v10, v6, vcc_lo
	v_add_co_u32 v7, vcc_lo, v11, v7
	v_add_co_ci_u32_e32 v8, vcc_lo, v12, v8, vcc_lo
	s_delay_alu instid0(VALU_DEP_4) | instskip(NEXT) | instid1(VALU_DEP_4)
	v_add_co_u32 v5, vcc_lo, s8, v5
	v_add_co_ci_u32_e32 v6, vcc_lo, s9, v6, vcc_lo
	s_addc_u32 s1, s7, s1
	v_add_co_u32 v7, vcc_lo, s0, v7
	v_dual_mov_b32 v4, 0 :: v_dual_mov_b32 v9, v0
	v_add_co_ci_u32_e32 v8, vcc_lo, s1, v8, vcc_lo
	s_lshl_b64 s[6:7], s[18:19], 8
	s_mov_b32 s1, 0
	.p2align	6
.LBB57_3:                               ; =>This Inner Loop Header: Depth=1
	global_load_b64 v[10:11], v[5:6], off
	global_load_b64 v[12:13], v[7:8], off
	v_add_nc_u32_e32 v9, 32, v9
	v_add_co_u32 v5, vcc_lo, v5, s4
	v_add_co_ci_u32_e32 v6, vcc_lo, s5, v6, vcc_lo
	s_delay_alu instid0(VALU_DEP_3) | instskip(SKIP_1) | instid1(VALU_DEP_1)
	v_cmp_le_i32_e32 vcc_lo, s12, v9
	v_add_co_u32 v7, s0, v7, s6
	v_add_co_ci_u32_e64 v8, s0, s7, v8, s0
	s_or_b32 s1, vcc_lo, s1
	s_waitcnt vmcnt(0)
	v_fma_f64 v[3:4], v[10:11], v[12:13], v[3:4]
	s_and_not1_b32 exec_lo, exec_lo, s1
	s_cbranch_execnz .LBB57_3
; %bb.4:
	s_or_b32 exec_lo, exec_lo, s1
.LBB57_5:
	s_delay_alu instid0(SALU_CYCLE_1)
	s_or_b32 exec_lo, exec_lo, s13
	v_mbcnt_lo_u32_b32 v7, -1, 0
	s_barrier
	buffer_gl0_inv
	v_cmp_gt_u32_e32 vcc_lo, 16, v7
	v_cndmask_b32_e64 v5, 0, 1, vcc_lo
	v_cmp_gt_u32_e32 vcc_lo, 24, v7
	s_delay_alu instid0(VALU_DEP_2) | instskip(NEXT) | instid1(VALU_DEP_1)
	v_lshlrev_b32_e32 v5, 4, v5
	v_add_lshl_u32 v6, v5, v7, 2
	ds_bpermute_b32 v5, v6, v3
	ds_bpermute_b32 v6, v6, v4
	s_waitcnt lgkmcnt(0)
	v_add_f64 v[3:4], v[3:4], v[5:6]
	v_cndmask_b32_e64 v5, 0, 1, vcc_lo
	v_cmp_gt_u32_e32 vcc_lo, 28, v7
	s_delay_alu instid0(VALU_DEP_2) | instskip(NEXT) | instid1(VALU_DEP_1)
	v_lshlrev_b32_e32 v5, 3, v5
	v_add_lshl_u32 v6, v5, v7, 2
	ds_bpermute_b32 v5, v6, v3
	ds_bpermute_b32 v6, v6, v4
	s_waitcnt lgkmcnt(0)
	v_add_f64 v[3:4], v[3:4], v[5:6]
	;; [unrolled: 9-line block ×3, first 2 shown]
	v_cndmask_b32_e64 v5, 0, 1, vcc_lo
	v_cmp_ne_u32_e32 vcc_lo, 31, v7
	s_delay_alu instid0(VALU_DEP_2) | instskip(NEXT) | instid1(VALU_DEP_1)
	v_lshlrev_b32_e32 v5, 1, v5
	v_add_lshl_u32 v6, v5, v7, 2
	ds_bpermute_b32 v5, v6, v3
	ds_bpermute_b32 v6, v6, v4
	s_waitcnt lgkmcnt(0)
	v_add_f64 v[3:4], v[3:4], v[5:6]
	v_add_co_ci_u32_e32 v5, vcc_lo, 0, v7, vcc_lo
	v_cmp_eq_u32_e32 vcc_lo, 0, v0
	s_delay_alu instid0(VALU_DEP_2)
	v_lshlrev_b32_e32 v6, 2, v5
	ds_bpermute_b32 v5, v6, v3
	ds_bpermute_b32 v6, v6, v4
	s_and_b32 exec_lo, exec_lo, vcc_lo
	s_cbranch_execz .LBB57_7
; %bb.6:
	s_waitcnt lgkmcnt(0)
	v_add_f64 v[3:4], v[3:4], v[5:6]
	v_lshlrev_b64 v[0:1], 3, v[1:2]
	s_delay_alu instid0(VALU_DEP_1) | instskip(NEXT) | instid1(VALU_DEP_2)
	v_add_co_u32 v0, vcc_lo, s2, v0
	v_add_co_ci_u32_e32 v1, vcc_lo, s3, v1, vcc_lo
	global_store_b64 v[0:1], v[3:4], off
.LBB57_7:
	s_nop 0
	s_sendmsg sendmsg(MSG_DEALLOC_VGPRS)
	s_endpgm
	.section	.rodata,"a",@progbits
	.p2align	6, 0x0
	.amdhsa_kernel _ZL28rocblas_dot_batched_4_kernelIiLi32ELi4ELb0EddPKdEviT5_lT_lS2_lS3_liPT4_
		.amdhsa_group_segment_fixed_size 0
		.amdhsa_private_segment_fixed_size 0
		.amdhsa_kernarg_size 88
		.amdhsa_user_sgpr_count 15
		.amdhsa_user_sgpr_dispatch_ptr 0
		.amdhsa_user_sgpr_queue_ptr 0
		.amdhsa_user_sgpr_kernarg_segment_ptr 1
		.amdhsa_user_sgpr_dispatch_id 0
		.amdhsa_user_sgpr_private_segment_size 0
		.amdhsa_wavefront_size32 1
		.amdhsa_uses_dynamic_stack 0
		.amdhsa_enable_private_segment 0
		.amdhsa_system_sgpr_workgroup_id_x 1
		.amdhsa_system_sgpr_workgroup_id_y 0
		.amdhsa_system_sgpr_workgroup_id_z 0
		.amdhsa_system_sgpr_workgroup_info 0
		.amdhsa_system_vgpr_workitem_id 1
		.amdhsa_next_free_vgpr 15
		.amdhsa_next_free_sgpr 20
		.amdhsa_reserve_vcc 1
		.amdhsa_float_round_mode_32 0
		.amdhsa_float_round_mode_16_64 0
		.amdhsa_float_denorm_mode_32 3
		.amdhsa_float_denorm_mode_16_64 3
		.amdhsa_dx10_clamp 1
		.amdhsa_ieee_mode 1
		.amdhsa_fp16_overflow 0
		.amdhsa_workgroup_processor_mode 1
		.amdhsa_memory_ordered 1
		.amdhsa_forward_progress 0
		.amdhsa_shared_vgpr_count 0
		.amdhsa_exception_fp_ieee_invalid_op 0
		.amdhsa_exception_fp_denorm_src 0
		.amdhsa_exception_fp_ieee_div_zero 0
		.amdhsa_exception_fp_ieee_overflow 0
		.amdhsa_exception_fp_ieee_underflow 0
		.amdhsa_exception_fp_ieee_inexact 0
		.amdhsa_exception_int_div_zero 0
	.end_amdhsa_kernel
	.section	.text._ZL28rocblas_dot_batched_4_kernelIiLi32ELi4ELb0EddPKdEviT5_lT_lS2_lS3_liPT4_,"axG",@progbits,_ZL28rocblas_dot_batched_4_kernelIiLi32ELi4ELb0EddPKdEviT5_lT_lS2_lS3_liPT4_,comdat
.Lfunc_end57:
	.size	_ZL28rocblas_dot_batched_4_kernelIiLi32ELi4ELb0EddPKdEviT5_lT_lS2_lS3_liPT4_, .Lfunc_end57-_ZL28rocblas_dot_batched_4_kernelIiLi32ELi4ELb0EddPKdEviT5_lT_lS2_lS3_liPT4_
                                        ; -- End function
	.section	.AMDGPU.csdata,"",@progbits
; Kernel info:
; codeLenInByte = 796
; NumSgprs: 22
; NumVgprs: 15
; ScratchSize: 0
; MemoryBound: 0
; FloatMode: 240
; IeeeMode: 1
; LDSByteSize: 0 bytes/workgroup (compile time only)
; SGPRBlocks: 2
; VGPRBlocks: 1
; NumSGPRsForWavesPerEU: 22
; NumVGPRsForWavesPerEU: 15
; Occupancy: 16
; WaveLimiterHint : 0
; COMPUTE_PGM_RSRC2:SCRATCH_EN: 0
; COMPUTE_PGM_RSRC2:USER_SGPR: 15
; COMPUTE_PGM_RSRC2:TRAP_HANDLER: 0
; COMPUTE_PGM_RSRC2:TGID_X_EN: 1
; COMPUTE_PGM_RSRC2:TGID_Y_EN: 0
; COMPUTE_PGM_RSRC2:TGID_Z_EN: 0
; COMPUTE_PGM_RSRC2:TIDIG_COMP_CNT: 1
	.section	.text._ZL28rocblas_dot_batched_4_kernelIiLi64ELi4ELb0EddPKdEviT5_lT_lS2_lS3_liPT4_,"axG",@progbits,_ZL28rocblas_dot_batched_4_kernelIiLi64ELi4ELb0EddPKdEviT5_lT_lS2_lS3_liPT4_,comdat
	.globl	_ZL28rocblas_dot_batched_4_kernelIiLi64ELi4ELb0EddPKdEviT5_lT_lS2_lS3_liPT4_ ; -- Begin function _ZL28rocblas_dot_batched_4_kernelIiLi64ELi4ELb0EddPKdEviT5_lT_lS2_lS3_liPT4_
	.p2align	8
	.type	_ZL28rocblas_dot_batched_4_kernelIiLi64ELi4ELb0EddPKdEviT5_lT_lS2_lS3_liPT4_,@function
_ZL28rocblas_dot_batched_4_kernelIiLi64ELi4ELb0EddPKdEviT5_lT_lS2_lS3_liPT4_: ; @_ZL28rocblas_dot_batched_4_kernelIiLi64ELi4ELb0EddPKdEviT5_lT_lS2_lS3_liPT4_
; %bb.0:
	s_load_b32 s2, s[0:1], 0x48
	v_bfe_u32 v1, v0, 10, 10
	s_delay_alu instid0(VALU_DEP_1) | instskip(SKIP_1) | instid1(VALU_DEP_1)
	v_lshl_add_u32 v1, s15, 2, v1
	s_waitcnt lgkmcnt(0)
	v_cmp_gt_u32_e32 vcc_lo, s2, v1
	s_and_saveexec_b32 s2, vcc_lo
	s_cbranch_execz .LBB58_7
; %bb.1:
	s_clause 0x1
	s_load_b32 s12, s[0:1], 0x0
	s_load_b64 s[2:3], s[0:1], 0x50
	v_dual_mov_b32 v3, 0 :: v_dual_and_b32 v0, 0x3ff, v0
	v_mov_b32_e32 v2, 0
	v_mov_b32_e32 v4, 0
	s_mov_b32 s13, exec_lo
	s_waitcnt lgkmcnt(0)
	v_cmpx_gt_i32_e64 s12, v0
	s_cbranch_execz .LBB58_5
; %bb.2:
	s_clause 0x5
	s_load_b128 s[4:7], s[0:1], 0x20
	s_load_b64 s[14:15], s[0:1], 0x40
	s_load_b32 s16, s[0:1], 0x18
	s_load_b32 s18, s[0:1], 0x38
	s_load_b128 s[8:11], s[0:1], 0x8
	s_load_b64 s[0:1], s[0:1], 0x30
	s_waitcnt lgkmcnt(0)
	v_mad_u64_u32 v[5:6], null, s4, v1, 0
	v_mad_u64_u32 v[7:8], null, s14, v1, 0
	v_mad_i64_i32 v[9:10], null, s16, v0, 0
	s_ashr_i32 s17, s16, 31
	s_ashr_i32 s19, s18, 31
	s_delay_alu instid0(VALU_DEP_2) | instskip(NEXT) | instid1(VALU_DEP_2)
	v_mad_u64_u32 v[11:12], null, s5, v1, v[6:7]
	v_mad_u64_u32 v[12:13], null, s15, v1, v[8:9]
	v_mov_b32_e32 v3, 0
	v_mad_i64_i32 v[13:14], null, s18, v0, 0
	v_lshlrev_b64 v[9:10], 3, v[9:10]
	v_mov_b32_e32 v6, v11
	s_lshl_b64 s[4:5], s[10:11], 3
	v_mov_b32_e32 v8, v12
	s_add_u32 s8, s8, s4
	s_addc_u32 s9, s9, s5
	v_lshlrev_b64 v[5:6], 3, v[5:6]
	v_lshlrev_b64 v[11:12], 3, v[13:14]
	v_lshlrev_b64 v[7:8], 3, v[7:8]
	s_lshl_b64 s[0:1], s[0:1], 3
	s_lshl_b64 s[4:5], s[16:17], 9
	s_add_u32 s0, s6, s0
	v_add_co_u32 v5, vcc_lo, v9, v5
	v_add_co_ci_u32_e32 v6, vcc_lo, v10, v6, vcc_lo
	v_add_co_u32 v7, vcc_lo, v11, v7
	v_add_co_ci_u32_e32 v8, vcc_lo, v12, v8, vcc_lo
	s_delay_alu instid0(VALU_DEP_4) | instskip(NEXT) | instid1(VALU_DEP_4)
	v_add_co_u32 v5, vcc_lo, s8, v5
	v_add_co_ci_u32_e32 v6, vcc_lo, s9, v6, vcc_lo
	s_addc_u32 s1, s7, s1
	v_add_co_u32 v7, vcc_lo, s0, v7
	v_dual_mov_b32 v4, 0 :: v_dual_mov_b32 v9, v0
	v_add_co_ci_u32_e32 v8, vcc_lo, s1, v8, vcc_lo
	s_lshl_b64 s[6:7], s[18:19], 9
	s_mov_b32 s1, 0
	.p2align	6
.LBB58_3:                               ; =>This Inner Loop Header: Depth=1
	global_load_b64 v[10:11], v[5:6], off
	global_load_b64 v[12:13], v[7:8], off
	v_add_nc_u32_e32 v9, 64, v9
	v_add_co_u32 v5, vcc_lo, v5, s4
	v_add_co_ci_u32_e32 v6, vcc_lo, s5, v6, vcc_lo
	s_delay_alu instid0(VALU_DEP_3) | instskip(SKIP_1) | instid1(VALU_DEP_1)
	v_cmp_le_i32_e32 vcc_lo, s12, v9
	v_add_co_u32 v7, s0, v7, s6
	v_add_co_ci_u32_e64 v8, s0, s7, v8, s0
	s_or_b32 s1, vcc_lo, s1
	s_waitcnt vmcnt(0)
	v_fma_f64 v[3:4], v[10:11], v[12:13], v[3:4]
	s_and_not1_b32 exec_lo, exec_lo, s1
	s_cbranch_execnz .LBB58_3
; %bb.4:
	s_or_b32 exec_lo, exec_lo, s1
.LBB58_5:
	s_delay_alu instid0(SALU_CYCLE_1)
	s_or_b32 exec_lo, exec_lo, s13
	v_mbcnt_lo_u32_b32 v7, -1, 0
	s_barrier
	buffer_gl0_inv
	v_lshlrev_b32_e32 v6, 2, v7
	v_cmp_gt_u32_e32 vcc_lo, 16, v7
	ds_bpermute_b32 v5, v6, v3
	ds_bpermute_b32 v6, v6, v4
	s_waitcnt lgkmcnt(0)
	v_add_f64 v[3:4], v[3:4], v[5:6]
	v_cndmask_b32_e64 v5, 0, 1, vcc_lo
	v_cmp_gt_u32_e32 vcc_lo, 24, v7
	s_delay_alu instid0(VALU_DEP_2) | instskip(NEXT) | instid1(VALU_DEP_1)
	v_lshlrev_b32_e32 v5, 4, v5
	v_add_lshl_u32 v6, v5, v7, 2
	ds_bpermute_b32 v5, v6, v3
	ds_bpermute_b32 v6, v6, v4
	s_waitcnt lgkmcnt(0)
	v_add_f64 v[3:4], v[3:4], v[5:6]
	v_cndmask_b32_e64 v5, 0, 1, vcc_lo
	v_cmp_gt_u32_e32 vcc_lo, 28, v7
	s_delay_alu instid0(VALU_DEP_2) | instskip(NEXT) | instid1(VALU_DEP_1)
	v_lshlrev_b32_e32 v5, 3, v5
	v_add_lshl_u32 v6, v5, v7, 2
	;; [unrolled: 9-line block ×3, first 2 shown]
	ds_bpermute_b32 v5, v6, v3
	ds_bpermute_b32 v6, v6, v4
	s_waitcnt lgkmcnt(0)
	v_add_f64 v[3:4], v[3:4], v[5:6]
	v_cndmask_b32_e64 v5, 0, 1, vcc_lo
	v_cmp_ne_u32_e32 vcc_lo, 31, v7
	s_delay_alu instid0(VALU_DEP_2) | instskip(NEXT) | instid1(VALU_DEP_1)
	v_lshlrev_b32_e32 v5, 1, v5
	v_add_lshl_u32 v6, v5, v7, 2
	ds_bpermute_b32 v5, v6, v3
	ds_bpermute_b32 v6, v6, v4
	s_waitcnt lgkmcnt(0)
	v_add_f64 v[3:4], v[3:4], v[5:6]
	v_add_co_ci_u32_e32 v5, vcc_lo, 0, v7, vcc_lo
	v_cmp_eq_u32_e32 vcc_lo, 0, v0
	s_delay_alu instid0(VALU_DEP_2)
	v_lshlrev_b32_e32 v6, 2, v5
	ds_bpermute_b32 v5, v6, v3
	ds_bpermute_b32 v6, v6, v4
	s_and_b32 exec_lo, exec_lo, vcc_lo
	s_cbranch_execz .LBB58_7
; %bb.6:
	s_waitcnt lgkmcnt(0)
	v_add_f64 v[3:4], v[3:4], v[5:6]
	v_lshlrev_b64 v[0:1], 3, v[1:2]
	s_delay_alu instid0(VALU_DEP_1) | instskip(NEXT) | instid1(VALU_DEP_2)
	v_add_co_u32 v0, vcc_lo, s2, v0
	v_add_co_ci_u32_e32 v1, vcc_lo, s3, v1, vcc_lo
	global_store_b64 v[0:1], v[3:4], off
.LBB58_7:
	s_nop 0
	s_sendmsg sendmsg(MSG_DEALLOC_VGPRS)
	s_endpgm
	.section	.rodata,"a",@progbits
	.p2align	6, 0x0
	.amdhsa_kernel _ZL28rocblas_dot_batched_4_kernelIiLi64ELi4ELb0EddPKdEviT5_lT_lS2_lS3_liPT4_
		.amdhsa_group_segment_fixed_size 0
		.amdhsa_private_segment_fixed_size 0
		.amdhsa_kernarg_size 88
		.amdhsa_user_sgpr_count 15
		.amdhsa_user_sgpr_dispatch_ptr 0
		.amdhsa_user_sgpr_queue_ptr 0
		.amdhsa_user_sgpr_kernarg_segment_ptr 1
		.amdhsa_user_sgpr_dispatch_id 0
		.amdhsa_user_sgpr_private_segment_size 0
		.amdhsa_wavefront_size32 1
		.amdhsa_uses_dynamic_stack 0
		.amdhsa_enable_private_segment 0
		.amdhsa_system_sgpr_workgroup_id_x 1
		.amdhsa_system_sgpr_workgroup_id_y 0
		.amdhsa_system_sgpr_workgroup_id_z 0
		.amdhsa_system_sgpr_workgroup_info 0
		.amdhsa_system_vgpr_workitem_id 1
		.amdhsa_next_free_vgpr 15
		.amdhsa_next_free_sgpr 20
		.amdhsa_reserve_vcc 1
		.amdhsa_float_round_mode_32 0
		.amdhsa_float_round_mode_16_64 0
		.amdhsa_float_denorm_mode_32 3
		.amdhsa_float_denorm_mode_16_64 3
		.amdhsa_dx10_clamp 1
		.amdhsa_ieee_mode 1
		.amdhsa_fp16_overflow 0
		.amdhsa_workgroup_processor_mode 1
		.amdhsa_memory_ordered 1
		.amdhsa_forward_progress 0
		.amdhsa_shared_vgpr_count 0
		.amdhsa_exception_fp_ieee_invalid_op 0
		.amdhsa_exception_fp_denorm_src 0
		.amdhsa_exception_fp_ieee_div_zero 0
		.amdhsa_exception_fp_ieee_overflow 0
		.amdhsa_exception_fp_ieee_underflow 0
		.amdhsa_exception_fp_ieee_inexact 0
		.amdhsa_exception_int_div_zero 0
	.end_amdhsa_kernel
	.section	.text._ZL28rocblas_dot_batched_4_kernelIiLi64ELi4ELb0EddPKdEviT5_lT_lS2_lS3_liPT4_,"axG",@progbits,_ZL28rocblas_dot_batched_4_kernelIiLi64ELi4ELb0EddPKdEviT5_lT_lS2_lS3_liPT4_,comdat
.Lfunc_end58:
	.size	_ZL28rocblas_dot_batched_4_kernelIiLi64ELi4ELb0EddPKdEviT5_lT_lS2_lS3_liPT4_, .Lfunc_end58-_ZL28rocblas_dot_batched_4_kernelIiLi64ELi4ELb0EddPKdEviT5_lT_lS2_lS3_liPT4_
                                        ; -- End function
	.section	.AMDGPU.csdata,"",@progbits
; Kernel info:
; codeLenInByte = 828
; NumSgprs: 22
; NumVgprs: 15
; ScratchSize: 0
; MemoryBound: 0
; FloatMode: 240
; IeeeMode: 1
; LDSByteSize: 0 bytes/workgroup (compile time only)
; SGPRBlocks: 2
; VGPRBlocks: 1
; NumSGPRsForWavesPerEU: 22
; NumVGPRsForWavesPerEU: 15
; Occupancy: 16
; WaveLimiterHint : 0
; COMPUTE_PGM_RSRC2:SCRATCH_EN: 0
; COMPUTE_PGM_RSRC2:USER_SGPR: 15
; COMPUTE_PGM_RSRC2:TRAP_HANDLER: 0
; COMPUTE_PGM_RSRC2:TGID_X_EN: 1
; COMPUTE_PGM_RSRC2:TGID_Y_EN: 0
; COMPUTE_PGM_RSRC2:TGID_Z_EN: 0
; COMPUTE_PGM_RSRC2:TIDIG_COMP_CNT: 1
	.section	.text._ZL26rocblas_dot_kernel_inc1by2ILb1ELi1024ELi32ELb0EdPKddEviT4_llS2_lliPT5_PT3_,"axG",@progbits,_ZL26rocblas_dot_kernel_inc1by2ILb1ELi1024ELi32ELb0EdPKddEviT4_llS2_lliPT5_PT3_,comdat
	.globl	_ZL26rocblas_dot_kernel_inc1by2ILb1ELi1024ELi32ELb0EdPKddEviT4_llS2_lliPT5_PT3_ ; -- Begin function _ZL26rocblas_dot_kernel_inc1by2ILb1ELi1024ELi32ELb0EdPKddEviT4_llS2_lliPT5_PT3_
	.p2align	8
	.type	_ZL26rocblas_dot_kernel_inc1by2ILb1ELi1024ELi32ELb0EdPKddEviT4_llS2_lliPT5_PT3_,@function
_ZL26rocblas_dot_kernel_inc1by2ILb1ELi1024ELi32ELb0EdPKddEviT4_llS2_lliPT5_PT3_: ; @_ZL26rocblas_dot_kernel_inc1by2ILb1ELi1024ELi32ELb0EdPKddEviT4_llS2_lliPT5_PT3_
; %bb.0:
	s_clause 0x1
	s_load_b32 s10, s[0:1], 0x0
	s_load_b64 s[2:3], s[0:1], 0x48
	v_mov_b32_e32 v1, 0
	v_mov_b32_e32 v2, 0
	s_mov_b32 s8, s15
	s_mov_b32 s9, 0
	s_mov_b32 s11, exec_lo
	s_waitcnt lgkmcnt(0)
	v_cmpx_gt_i32_e64 s10, v0
	s_cbranch_execz .LBB59_4
; %bb.1:
	s_clause 0x3
	s_load_b128 s[12:15], s[0:1], 0x28
	s_load_b128 s[4:7], s[0:1], 0x10
	s_load_b64 s[16:17], s[0:1], 0x20
	s_load_b64 s[0:1], s[0:1], 0x8
	v_lshlrev_b32_e32 v5, 3, v0
	v_mov_b32_e32 v1, 0
	v_mov_b32_e32 v2, 0
	v_or_b32_e32 v7, 0x400, v0
	s_waitcnt lgkmcnt(0)
	s_mul_i32 s15, s15, s8
	s_mul_hi_u32 s18, s14, s8
	s_mul_i32 s14, s14, s8
	s_add_i32 s15, s18, s15
	s_lshl_b64 s[12:13], s[12:13], 3
	s_lshl_b64 s[14:15], s[14:15], 3
	s_mul_i32 s7, s7, s8
	s_add_u32 s12, s14, s12
	s_mul_hi_u32 s18, s6, s8
	s_addc_u32 s13, s15, s13
	s_add_u32 s12, s16, s12
	s_mul_i32 s6, s6, s8
	s_addc_u32 s13, s17, s13
	s_add_i32 s7, s18, s7
	s_lshl_b64 s[4:5], s[4:5], 3
	s_lshl_b64 s[6:7], s[6:7], 3
	v_add_co_u32 v3, s12, s12, v5
	s_add_u32 s4, s6, s4
	s_addc_u32 s5, s7, s5
	s_add_u32 s0, s0, s4
	s_addc_u32 s1, s1, s5
	v_add_co_u32 v5, s0, s0, v5
	v_add_co_ci_u32_e64 v4, null, s13, 0, s12
	v_add_co_ci_u32_e64 v6, null, s1, 0, s0
	s_mov_b32 s1, s9
	s_mov_b32 s4, s9
	.p2align	6
.LBB59_2:                               ; =>This Inner Loop Header: Depth=1
	global_load_b64 v[8:9], v[3:4], off
	global_load_b64 v[10:11], v[5:6], off
	s_add_i32 s5, s4, 1
	v_cmp_le_i32_e32 vcc_lo, s10, v7
	v_add_co_u32 v3, s0, 0x2000, v3
	s_cmp_gt_u32 s4, 30
	v_add_co_ci_u32_e64 v4, s0, 0, v4, s0
	s_cselect_b32 s4, -1, 0
	v_add_co_u32 v5, s0, 0x2000, v5
	s_or_b32 s4, s4, vcc_lo
	v_add_nc_u32_e32 v7, 0x400, v7
	v_add_co_ci_u32_e64 v6, vcc_lo, 0, v6, s0
	s_and_b32 s0, exec_lo, s4
	s_mov_b32 s4, s5
	s_or_b32 s1, s0, s1
	s_waitcnt vmcnt(0)
	v_fma_f64 v[1:2], v[8:9], v[10:11], v[1:2]
	s_and_not1_b32 exec_lo, exec_lo, s1
	s_cbranch_execnz .LBB59_2
; %bb.3:
	s_or_b32 exec_lo, exec_lo, s1
.LBB59_4:
	s_delay_alu instid0(SALU_CYCLE_1) | instskip(SKIP_2) | instid1(VALU_DEP_2)
	s_or_b32 exec_lo, exec_lo, s11
	v_and_b32_e32 v11, 31, v0
	v_cmp_gt_u32_e32 vcc_lo, 32, v0
	v_lshlrev_b32_e32 v5, 3, v11
	s_and_saveexec_b32 s0, vcc_lo
	s_cbranch_execz .LBB59_6
; %bb.5:
	v_mov_b32_e32 v3, 0
	s_delay_alu instid0(VALU_DEP_1)
	v_mov_b32_e32 v4, v3
	ds_store_b64 v5, v[3:4]
.LBB59_6:
	s_or_b32 exec_lo, exec_lo, s0
	v_mbcnt_lo_u32_b32 v10, -1, 0
	s_mov_b32 s1, exec_lo
	s_waitcnt lgkmcnt(0)
	s_barrier
	buffer_gl0_inv
	v_cmp_gt_u32_e64 s0, 16, v10
	s_delay_alu instid0(VALU_DEP_1) | instskip(SKIP_1) | instid1(VALU_DEP_2)
	v_cndmask_b32_e64 v3, 0, 1, s0
	v_cmp_gt_u32_e64 s0, 24, v10
	v_lshlrev_b32_e32 v3, 4, v3
	s_delay_alu instid0(VALU_DEP_1)
	v_add_lshl_u32 v6, v3, v10, 2
	ds_bpermute_b32 v3, v6, v1
	ds_bpermute_b32 v4, v6, v2
	s_waitcnt lgkmcnt(0)
	v_add_f64 v[1:2], v[1:2], v[3:4]
	v_cndmask_b32_e64 v3, 0, 1, s0
	v_cmp_gt_u32_e64 s0, 28, v10
	s_delay_alu instid0(VALU_DEP_2) | instskip(NEXT) | instid1(VALU_DEP_1)
	v_lshlrev_b32_e32 v3, 3, v3
	v_add_lshl_u32 v7, v3, v10, 2
	ds_bpermute_b32 v3, v7, v1
	ds_bpermute_b32 v4, v7, v2
	s_waitcnt lgkmcnt(0)
	v_add_f64 v[1:2], v[1:2], v[3:4]
	v_cndmask_b32_e64 v3, 0, 1, s0
	v_cmp_gt_u32_e64 s0, 30, v10
	s_delay_alu instid0(VALU_DEP_2) | instskip(NEXT) | instid1(VALU_DEP_1)
	v_lshlrev_b32_e32 v3, 2, v3
	v_add_lshl_u32 v8, v3, v10, 2
	ds_bpermute_b32 v3, v8, v1
	ds_bpermute_b32 v4, v8, v2
	s_waitcnt lgkmcnt(0)
	v_add_f64 v[1:2], v[1:2], v[3:4]
	v_cndmask_b32_e64 v3, 0, 1, s0
	v_cmp_ne_u32_e64 s0, 31, v10
	s_delay_alu instid0(VALU_DEP_2) | instskip(NEXT) | instid1(VALU_DEP_1)
	v_lshlrev_b32_e32 v3, 1, v3
	v_add_lshl_u32 v9, v3, v10, 2
	ds_bpermute_b32 v3, v9, v1
	ds_bpermute_b32 v4, v9, v2
	s_waitcnt lgkmcnt(0)
	v_add_f64 v[1:2], v[1:2], v[3:4]
	v_add_co_ci_u32_e64 v3, s0, 0, v10, s0
	s_delay_alu instid0(VALU_DEP_1)
	v_lshlrev_b32_e32 v10, 2, v3
	ds_bpermute_b32 v3, v10, v1
	ds_bpermute_b32 v4, v10, v2
	v_cmpx_eq_u32_e32 0, v11
	s_cbranch_execz .LBB59_8
; %bb.7:
	s_waitcnt lgkmcnt(0)
	v_add_f64 v[1:2], v[1:2], v[3:4]
	v_lshrrev_b32_e32 v3, 2, v0
	s_delay_alu instid0(VALU_DEP_1)
	v_and_b32_e32 v3, 0xf8, v3
	ds_store_b64 v3, v[1:2]
.LBB59_8:
	s_or_b32 exec_lo, exec_lo, s1
	v_mov_b32_e32 v1, 0
	v_mov_b32_e32 v2, 0
	s_waitcnt lgkmcnt(0)
	s_barrier
	buffer_gl0_inv
	s_and_saveexec_b32 s0, vcc_lo
	s_cbranch_execz .LBB59_10
; %bb.9:
	ds_load_b64 v[1:2], v5
.LBB59_10:
	s_or_b32 exec_lo, exec_lo, s0
	s_and_saveexec_b32 s0, vcc_lo
	s_cbranch_execz .LBB59_12
; %bb.11:
	s_waitcnt lgkmcnt(0)
	ds_bpermute_b32 v3, v6, v1
	ds_bpermute_b32 v4, v6, v2
	s_waitcnt lgkmcnt(0)
	v_add_f64 v[1:2], v[1:2], v[3:4]
	ds_bpermute_b32 v3, v7, v1
	ds_bpermute_b32 v4, v7, v2
	s_waitcnt lgkmcnt(0)
	v_add_f64 v[1:2], v[1:2], v[3:4]
	;; [unrolled: 4-line block ×5, first 2 shown]
.LBB59_12:
	s_or_b32 exec_lo, exec_lo, s0
	s_delay_alu instid0(SALU_CYCLE_1)
	s_mov_b32 s0, exec_lo
	v_cmpx_eq_u32_e32 0, v0
	s_cbranch_execz .LBB59_14
; %bb.13:
	s_lshl_b64 s[0:1], s[8:9], 3
	v_mov_b32_e32 v0, 0
	s_add_u32 s0, s2, s0
	s_addc_u32 s1, s3, s1
	s_waitcnt lgkmcnt(0)
	global_store_b64 v0, v[1:2], s[0:1]
.LBB59_14:
	s_nop 0
	s_sendmsg sendmsg(MSG_DEALLOC_VGPRS)
	s_endpgm
	.section	.rodata,"a",@progbits
	.p2align	6, 0x0
	.amdhsa_kernel _ZL26rocblas_dot_kernel_inc1by2ILb1ELi1024ELi32ELb0EdPKddEviT4_llS2_lliPT5_PT3_
		.amdhsa_group_segment_fixed_size 256
		.amdhsa_private_segment_fixed_size 0
		.amdhsa_kernarg_size 80
		.amdhsa_user_sgpr_count 14
		.amdhsa_user_sgpr_dispatch_ptr 0
		.amdhsa_user_sgpr_queue_ptr 0
		.amdhsa_user_sgpr_kernarg_segment_ptr 1
		.amdhsa_user_sgpr_dispatch_id 0
		.amdhsa_user_sgpr_private_segment_size 0
		.amdhsa_wavefront_size32 1
		.amdhsa_uses_dynamic_stack 0
		.amdhsa_enable_private_segment 0
		.amdhsa_system_sgpr_workgroup_id_x 1
		.amdhsa_system_sgpr_workgroup_id_y 0
		.amdhsa_system_sgpr_workgroup_id_z 1
		.amdhsa_system_sgpr_workgroup_info 0
		.amdhsa_system_vgpr_workitem_id 0
		.amdhsa_next_free_vgpr 12
		.amdhsa_next_free_sgpr 19
		.amdhsa_reserve_vcc 1
		.amdhsa_float_round_mode_32 0
		.amdhsa_float_round_mode_16_64 0
		.amdhsa_float_denorm_mode_32 3
		.amdhsa_float_denorm_mode_16_64 3
		.amdhsa_dx10_clamp 1
		.amdhsa_ieee_mode 1
		.amdhsa_fp16_overflow 0
		.amdhsa_workgroup_processor_mode 1
		.amdhsa_memory_ordered 1
		.amdhsa_forward_progress 0
		.amdhsa_shared_vgpr_count 0
		.amdhsa_exception_fp_ieee_invalid_op 0
		.amdhsa_exception_fp_denorm_src 0
		.amdhsa_exception_fp_ieee_div_zero 0
		.amdhsa_exception_fp_ieee_overflow 0
		.amdhsa_exception_fp_ieee_underflow 0
		.amdhsa_exception_fp_ieee_inexact 0
		.amdhsa_exception_int_div_zero 0
	.end_amdhsa_kernel
	.section	.text._ZL26rocblas_dot_kernel_inc1by2ILb1ELi1024ELi32ELb0EdPKddEviT4_llS2_lliPT5_PT3_,"axG",@progbits,_ZL26rocblas_dot_kernel_inc1by2ILb1ELi1024ELi32ELb0EdPKddEviT4_llS2_lliPT5_PT3_,comdat
.Lfunc_end59:
	.size	_ZL26rocblas_dot_kernel_inc1by2ILb1ELi1024ELi32ELb0EdPKddEviT4_llS2_lliPT5_PT3_, .Lfunc_end59-_ZL26rocblas_dot_kernel_inc1by2ILb1ELi1024ELi32ELb0EdPKddEviT4_llS2_lliPT5_PT3_
                                        ; -- End function
	.section	.AMDGPU.csdata,"",@progbits
; Kernel info:
; codeLenInByte = 1024
; NumSgprs: 21
; NumVgprs: 12
; ScratchSize: 0
; MemoryBound: 0
; FloatMode: 240
; IeeeMode: 1
; LDSByteSize: 256 bytes/workgroup (compile time only)
; SGPRBlocks: 2
; VGPRBlocks: 1
; NumSGPRsForWavesPerEU: 21
; NumVGPRsForWavesPerEU: 12
; Occupancy: 16
; WaveLimiterHint : 0
; COMPUTE_PGM_RSRC2:SCRATCH_EN: 0
; COMPUTE_PGM_RSRC2:USER_SGPR: 14
; COMPUTE_PGM_RSRC2:TRAP_HANDLER: 0
; COMPUTE_PGM_RSRC2:TGID_X_EN: 1
; COMPUTE_PGM_RSRC2:TGID_Y_EN: 0
; COMPUTE_PGM_RSRC2:TGID_Z_EN: 1
; COMPUTE_PGM_RSRC2:TIDIG_COMP_CNT: 0
	.section	.text._ZL18rocblas_dot_kernelIiLb1ELi1024ELi32ELb0EdPKddEviT5_lT_lS2_lS3_liPT6_PT4_,"axG",@progbits,_ZL18rocblas_dot_kernelIiLb1ELi1024ELi32ELb0EdPKddEviT5_lT_lS2_lS3_liPT6_PT4_,comdat
	.globl	_ZL18rocblas_dot_kernelIiLb1ELi1024ELi32ELb0EdPKddEviT5_lT_lS2_lS3_liPT6_PT4_ ; -- Begin function _ZL18rocblas_dot_kernelIiLb1ELi1024ELi32ELb0EdPKddEviT5_lT_lS2_lS3_liPT6_PT4_
	.p2align	8
	.type	_ZL18rocblas_dot_kernelIiLb1ELi1024ELi32ELb0EdPKddEviT5_lT_lS2_lS3_liPT6_PT4_,@function
_ZL18rocblas_dot_kernelIiLb1ELi1024ELi32ELb0EdPKddEviT5_lT_lS2_lS3_liPT6_PT4_: ; @_ZL18rocblas_dot_kernelIiLb1ELi1024ELi32ELb0EdPKddEviT5_lT_lS2_lS3_liPT6_PT4_
; %bb.0:
	s_clause 0x1
	s_load_b32 s10, s[0:1], 0x0
	s_load_b64 s[2:3], s[0:1], 0x58
	v_mov_b32_e32 v1, 0
	v_mov_b32_e32 v2, 0
	s_mov_b32 s8, s15
	s_mov_b32 s9, 0
	s_mov_b32 s11, exec_lo
	s_waitcnt lgkmcnt(0)
	v_cmpx_gt_i32_e64 s10, v0
	s_cbranch_execz .LBB60_4
; %bb.1:
	s_clause 0x6
	s_load_b32 s20, s[0:1], 0x60
	s_load_b128 s[4:7], s[0:1], 0x20
	s_load_b32 s22, s[0:1], 0x18
	s_load_b128 s[12:15], s[0:1], 0x8
	s_load_b64 s[16:17], s[0:1], 0x40
	s_load_b32 s23, s[0:1], 0x38
	s_load_b64 s[18:19], s[0:1], 0x30
	s_waitcnt lgkmcnt(0)
	s_lshl_b32 s1, s20, 10
	s_mul_i32 s0, s5, s8
	v_mad_i64_i32 v[1:2], null, s22, v0, 0
	s_mul_hi_u32 s5, s4, s8
	s_mul_i32 s4, s4, s8
	v_mad_i64_i32 v[5:6], null, s23, v0, 0
	s_add_i32 s5, s5, s0
	s_lshl_b64 s[14:15], s[14:15], 3
	s_delay_alu instid0(VALU_DEP_2)
	v_lshlrev_b64 v[1:2], 3, v[1:2]
	s_lshl_b64 s[4:5], s[4:5], 3
	s_add_u32 s0, s12, s14
	s_addc_u32 s12, s13, s15
	s_mul_i32 s17, s17, s8
	s_mul_hi_u32 s24, s16, s8
	s_add_u32 s0, s0, s4
	s_mul_i32 s16, s16, s8
	s_mul_hi_i32 s21, s22, s1
	s_mul_i32 s20, s22, s1
	s_addc_u32 s12, s12, s5
	s_add_i32 s17, s24, s17
	v_add_co_u32 v3, vcc_lo, s0, v1
	s_lshl_b64 s[14:15], s[18:19], 3
	v_lshlrev_b64 v[5:6], 3, v[5:6]
	s_lshl_b64 s[4:5], s[20:21], 3
	v_add_co_ci_u32_e32 v4, vcc_lo, s12, v2, vcc_lo
	s_lshl_b64 s[12:13], s[16:17], 3
	s_add_u32 s0, s6, s14
	s_addc_u32 s6, s7, s15
	s_add_u32 s0, s0, s12
	s_addc_u32 s12, s6, s13
	v_add_co_u32 v5, vcc_lo, s0, v5
	v_mov_b32_e32 v1, 0
	v_or_b32_e32 v7, s1, v0
	v_mov_b32_e32 v2, 0
	v_add_co_ci_u32_e32 v6, vcc_lo, s12, v6, vcc_lo
	s_mul_hi_i32 s7, s23, s1
	s_mul_i32 s6, s23, s1
	s_mov_b32 s12, s9
	s_lshl_b64 s[6:7], s[6:7], 3
	s_mov_b32 s13, s9
	.p2align	6
.LBB60_2:                               ; =>This Inner Loop Header: Depth=1
	global_load_b64 v[8:9], v[5:6], off
	global_load_b64 v[10:11], v[3:4], off
	s_add_i32 s14, s13, 1
	v_cmp_le_i32_e32 vcc_lo, s10, v7
	v_add_co_u32 v3, s0, v3, s4
	s_cmp_gt_u32 s13, 30
	v_add_co_ci_u32_e64 v4, s0, s5, v4, s0
	s_cselect_b32 s13, -1, 0
	v_add_co_u32 v5, s0, v5, s6
	s_or_b32 s13, s13, vcc_lo
	v_add_nc_u32_e32 v7, s1, v7
	v_add_co_ci_u32_e64 v6, vcc_lo, s7, v6, s0
	s_and_b32 s0, exec_lo, s13
	s_mov_b32 s13, s14
	s_or_b32 s12, s0, s12
	s_waitcnt vmcnt(0)
	v_fma_f64 v[1:2], v[8:9], v[10:11], v[1:2]
	s_and_not1_b32 exec_lo, exec_lo, s12
	s_cbranch_execnz .LBB60_2
; %bb.3:
	s_or_b32 exec_lo, exec_lo, s12
.LBB60_4:
	s_delay_alu instid0(SALU_CYCLE_1) | instskip(SKIP_2) | instid1(VALU_DEP_2)
	s_or_b32 exec_lo, exec_lo, s11
	v_and_b32_e32 v11, 31, v0
	v_cmp_gt_u32_e32 vcc_lo, 32, v0
	v_lshlrev_b32_e32 v5, 3, v11
	s_and_saveexec_b32 s0, vcc_lo
	s_cbranch_execz .LBB60_6
; %bb.5:
	v_mov_b32_e32 v3, 0
	s_delay_alu instid0(VALU_DEP_1)
	v_mov_b32_e32 v4, v3
	ds_store_b64 v5, v[3:4]
.LBB60_6:
	s_or_b32 exec_lo, exec_lo, s0
	v_mbcnt_lo_u32_b32 v10, -1, 0
	s_mov_b32 s1, exec_lo
	s_waitcnt lgkmcnt(0)
	s_barrier
	buffer_gl0_inv
	v_cmp_gt_u32_e64 s0, 16, v10
	s_delay_alu instid0(VALU_DEP_1) | instskip(SKIP_1) | instid1(VALU_DEP_2)
	v_cndmask_b32_e64 v3, 0, 1, s0
	v_cmp_gt_u32_e64 s0, 24, v10
	v_lshlrev_b32_e32 v3, 4, v3
	s_delay_alu instid0(VALU_DEP_1)
	v_add_lshl_u32 v6, v3, v10, 2
	ds_bpermute_b32 v3, v6, v1
	ds_bpermute_b32 v4, v6, v2
	s_waitcnt lgkmcnt(0)
	v_add_f64 v[1:2], v[1:2], v[3:4]
	v_cndmask_b32_e64 v3, 0, 1, s0
	v_cmp_gt_u32_e64 s0, 28, v10
	s_delay_alu instid0(VALU_DEP_2) | instskip(NEXT) | instid1(VALU_DEP_1)
	v_lshlrev_b32_e32 v3, 3, v3
	v_add_lshl_u32 v7, v3, v10, 2
	ds_bpermute_b32 v3, v7, v1
	ds_bpermute_b32 v4, v7, v2
	s_waitcnt lgkmcnt(0)
	v_add_f64 v[1:2], v[1:2], v[3:4]
	v_cndmask_b32_e64 v3, 0, 1, s0
	v_cmp_gt_u32_e64 s0, 30, v10
	s_delay_alu instid0(VALU_DEP_2) | instskip(NEXT) | instid1(VALU_DEP_1)
	v_lshlrev_b32_e32 v3, 2, v3
	v_add_lshl_u32 v8, v3, v10, 2
	ds_bpermute_b32 v3, v8, v1
	ds_bpermute_b32 v4, v8, v2
	s_waitcnt lgkmcnt(0)
	v_add_f64 v[1:2], v[1:2], v[3:4]
	v_cndmask_b32_e64 v3, 0, 1, s0
	v_cmp_ne_u32_e64 s0, 31, v10
	s_delay_alu instid0(VALU_DEP_2) | instskip(NEXT) | instid1(VALU_DEP_1)
	v_lshlrev_b32_e32 v3, 1, v3
	v_add_lshl_u32 v9, v3, v10, 2
	ds_bpermute_b32 v3, v9, v1
	ds_bpermute_b32 v4, v9, v2
	s_waitcnt lgkmcnt(0)
	v_add_f64 v[1:2], v[1:2], v[3:4]
	v_add_co_ci_u32_e64 v3, s0, 0, v10, s0
	s_delay_alu instid0(VALU_DEP_1)
	v_lshlrev_b32_e32 v10, 2, v3
	ds_bpermute_b32 v3, v10, v1
	ds_bpermute_b32 v4, v10, v2
	v_cmpx_eq_u32_e32 0, v11
	s_cbranch_execz .LBB60_8
; %bb.7:
	s_waitcnt lgkmcnt(0)
	v_add_f64 v[1:2], v[1:2], v[3:4]
	v_lshrrev_b32_e32 v3, 2, v0
	s_delay_alu instid0(VALU_DEP_1)
	v_and_b32_e32 v3, 0xf8, v3
	ds_store_b64 v3, v[1:2]
.LBB60_8:
	s_or_b32 exec_lo, exec_lo, s1
	v_mov_b32_e32 v1, 0
	v_mov_b32_e32 v2, 0
	s_waitcnt lgkmcnt(0)
	s_barrier
	buffer_gl0_inv
	s_and_saveexec_b32 s0, vcc_lo
	s_cbranch_execz .LBB60_10
; %bb.9:
	ds_load_b64 v[1:2], v5
.LBB60_10:
	s_or_b32 exec_lo, exec_lo, s0
	s_and_saveexec_b32 s0, vcc_lo
	s_cbranch_execz .LBB60_12
; %bb.11:
	s_waitcnt lgkmcnt(0)
	ds_bpermute_b32 v3, v6, v1
	ds_bpermute_b32 v4, v6, v2
	s_waitcnt lgkmcnt(0)
	v_add_f64 v[1:2], v[1:2], v[3:4]
	ds_bpermute_b32 v3, v7, v1
	ds_bpermute_b32 v4, v7, v2
	s_waitcnt lgkmcnt(0)
	v_add_f64 v[1:2], v[1:2], v[3:4]
	;; [unrolled: 4-line block ×5, first 2 shown]
.LBB60_12:
	s_or_b32 exec_lo, exec_lo, s0
	s_delay_alu instid0(SALU_CYCLE_1)
	s_mov_b32 s0, exec_lo
	v_cmpx_eq_u32_e32 0, v0
	s_cbranch_execz .LBB60_14
; %bb.13:
	s_lshl_b64 s[0:1], s[8:9], 3
	v_mov_b32_e32 v0, 0
	s_add_u32 s0, s2, s0
	s_addc_u32 s1, s3, s1
	s_waitcnt lgkmcnt(0)
	global_store_b64 v0, v[1:2], s[0:1]
.LBB60_14:
	s_nop 0
	s_sendmsg sendmsg(MSG_DEALLOC_VGPRS)
	s_endpgm
	.section	.rodata,"a",@progbits
	.p2align	6, 0x0
	.amdhsa_kernel _ZL18rocblas_dot_kernelIiLb1ELi1024ELi32ELb0EdPKddEviT5_lT_lS2_lS3_liPT6_PT4_
		.amdhsa_group_segment_fixed_size 256
		.amdhsa_private_segment_fixed_size 0
		.amdhsa_kernarg_size 352
		.amdhsa_user_sgpr_count 14
		.amdhsa_user_sgpr_dispatch_ptr 0
		.amdhsa_user_sgpr_queue_ptr 0
		.amdhsa_user_sgpr_kernarg_segment_ptr 1
		.amdhsa_user_sgpr_dispatch_id 0
		.amdhsa_user_sgpr_private_segment_size 0
		.amdhsa_wavefront_size32 1
		.amdhsa_uses_dynamic_stack 0
		.amdhsa_enable_private_segment 0
		.amdhsa_system_sgpr_workgroup_id_x 1
		.amdhsa_system_sgpr_workgroup_id_y 0
		.amdhsa_system_sgpr_workgroup_id_z 1
		.amdhsa_system_sgpr_workgroup_info 0
		.amdhsa_system_vgpr_workitem_id 0
		.amdhsa_next_free_vgpr 12
		.amdhsa_next_free_sgpr 25
		.amdhsa_reserve_vcc 1
		.amdhsa_float_round_mode_32 0
		.amdhsa_float_round_mode_16_64 0
		.amdhsa_float_denorm_mode_32 3
		.amdhsa_float_denorm_mode_16_64 3
		.amdhsa_dx10_clamp 1
		.amdhsa_ieee_mode 1
		.amdhsa_fp16_overflow 0
		.amdhsa_workgroup_processor_mode 1
		.amdhsa_memory_ordered 1
		.amdhsa_forward_progress 0
		.amdhsa_shared_vgpr_count 0
		.amdhsa_exception_fp_ieee_invalid_op 0
		.amdhsa_exception_fp_denorm_src 0
		.amdhsa_exception_fp_ieee_div_zero 0
		.amdhsa_exception_fp_ieee_overflow 0
		.amdhsa_exception_fp_ieee_underflow 0
		.amdhsa_exception_fp_ieee_inexact 0
		.amdhsa_exception_int_div_zero 0
	.end_amdhsa_kernel
	.section	.text._ZL18rocblas_dot_kernelIiLb1ELi1024ELi32ELb0EdPKddEviT5_lT_lS2_lS3_liPT6_PT4_,"axG",@progbits,_ZL18rocblas_dot_kernelIiLb1ELi1024ELi32ELb0EdPKddEviT5_lT_lS2_lS3_liPT6_PT4_,comdat
.Lfunc_end60:
	.size	_ZL18rocblas_dot_kernelIiLb1ELi1024ELi32ELb0EdPKddEviT5_lT_lS2_lS3_liPT6_PT4_, .Lfunc_end60-_ZL18rocblas_dot_kernelIiLb1ELi1024ELi32ELb0EdPKddEviT5_lT_lS2_lS3_liPT6_PT4_
                                        ; -- End function
	.section	.AMDGPU.csdata,"",@progbits
; Kernel info:
; codeLenInByte = 1084
; NumSgprs: 27
; NumVgprs: 12
; ScratchSize: 0
; MemoryBound: 0
; FloatMode: 240
; IeeeMode: 1
; LDSByteSize: 256 bytes/workgroup (compile time only)
; SGPRBlocks: 3
; VGPRBlocks: 1
; NumSGPRsForWavesPerEU: 27
; NumVGPRsForWavesPerEU: 12
; Occupancy: 16
; WaveLimiterHint : 0
; COMPUTE_PGM_RSRC2:SCRATCH_EN: 0
; COMPUTE_PGM_RSRC2:USER_SGPR: 14
; COMPUTE_PGM_RSRC2:TRAP_HANDLER: 0
; COMPUTE_PGM_RSRC2:TGID_X_EN: 1
; COMPUTE_PGM_RSRC2:TGID_Y_EN: 0
; COMPUTE_PGM_RSRC2:TGID_Z_EN: 1
; COMPUTE_PGM_RSRC2:TIDIG_COMP_CNT: 0
	.section	.text._ZL24rocblas_dot_kernel_magsqIiLb1ELi1024ELi32ELb0EdPKddEviT5_lT_liPT6_PT4_,"axG",@progbits,_ZL24rocblas_dot_kernel_magsqIiLb1ELi1024ELi32ELb0EdPKddEviT5_lT_liPT6_PT4_,comdat
	.globl	_ZL24rocblas_dot_kernel_magsqIiLb1ELi1024ELi32ELb0EdPKddEviT5_lT_liPT6_PT4_ ; -- Begin function _ZL24rocblas_dot_kernel_magsqIiLb1ELi1024ELi32ELb0EdPKddEviT5_lT_liPT6_PT4_
	.p2align	8
	.type	_ZL24rocblas_dot_kernel_magsqIiLb1ELi1024ELi32ELb0EdPKddEviT5_lT_liPT6_PT4_,@function
_ZL24rocblas_dot_kernel_magsqIiLb1ELi1024ELi32ELb0EdPKddEviT5_lT_liPT6_PT4_: ; @_ZL24rocblas_dot_kernel_magsqIiLb1ELi1024ELi32ELb0EdPKddEviT5_lT_liPT6_PT4_
; %bb.0:
	s_clause 0x1
	s_load_b32 s8, s[0:1], 0x0
	s_load_b64 s[2:3], s[0:1], 0x38
	v_mov_b32_e32 v1, 0
	v_mov_b32_e32 v2, 0
	s_mov_b32 s4, s15
	s_mov_b32 s5, 0
	s_mov_b32 s9, exec_lo
	s_waitcnt lgkmcnt(0)
	v_cmpx_gt_i32_e64 s8, v0
	s_cbranch_execz .LBB61_4
; %bb.1:
	s_clause 0x3
	s_load_b32 s10, s[0:1], 0x40
	s_load_b64 s[6:7], s[0:1], 0x20
	s_load_b32 s16, s[0:1], 0x18
	s_load_b128 s[12:15], s[0:1], 0x8
	v_mov_b32_e32 v1, 0
	v_mov_b32_e32 v2, 0
	s_waitcnt lgkmcnt(0)
	s_lshl_b32 s1, s10, 10
	s_mul_i32 s0, s7, s4
	v_mad_i64_i32 v[3:4], null, s16, v0, 0
	s_mul_hi_u32 s7, s6, s4
	s_mul_i32 s6, s6, s4
	s_add_i32 s7, s7, s0
	s_lshl_b64 s[10:11], s[14:15], 3
	s_lshl_b64 s[6:7], s[6:7], 3
	s_add_u32 s0, s12, s10
	s_delay_alu instid0(VALU_DEP_1)
	v_lshlrev_b64 v[3:4], 3, v[3:4]
	s_addc_u32 s10, s13, s11
	s_add_u32 s0, s0, s6
	s_addc_u32 s6, s10, s7
	v_or_b32_e32 v5, s1, v0
	s_mul_hi_i32 s15, s16, s1
	v_add_co_u32 v3, vcc_lo, s0, v3
	v_add_co_ci_u32_e32 v4, vcc_lo, s6, v4, vcc_lo
	s_mul_i32 s14, s16, s1
	s_mov_b32 s10, s5
	s_lshl_b64 s[6:7], s[14:15], 3
	s_mov_b32 s11, s5
	.p2align	6
.LBB61_2:                               ; =>This Inner Loop Header: Depth=1
	global_load_b64 v[6:7], v[3:4], off
	s_add_i32 s12, s11, 1
	v_cmp_le_i32_e32 vcc_lo, s8, v5
	s_cmp_gt_u32 s11, 30
	v_add_co_u32 v3, s0, v3, s6
	s_cselect_b32 s11, -1, 0
	v_add_nc_u32_e32 v5, s1, v5
	s_or_b32 s11, s11, vcc_lo
	v_add_co_ci_u32_e64 v4, vcc_lo, s7, v4, s0
	s_and_b32 s0, exec_lo, s11
	s_mov_b32 s11, s12
	s_or_b32 s10, s0, s10
	s_waitcnt vmcnt(0)
	v_fma_f64 v[1:2], v[6:7], v[6:7], v[1:2]
	s_and_not1_b32 exec_lo, exec_lo, s10
	s_cbranch_execnz .LBB61_2
; %bb.3:
	s_or_b32 exec_lo, exec_lo, s10
.LBB61_4:
	s_delay_alu instid0(SALU_CYCLE_1) | instskip(SKIP_2) | instid1(VALU_DEP_2)
	s_or_b32 exec_lo, exec_lo, s9
	v_and_b32_e32 v11, 31, v0
	v_cmp_gt_u32_e32 vcc_lo, 32, v0
	v_lshlrev_b32_e32 v5, 3, v11
	s_and_saveexec_b32 s0, vcc_lo
	s_cbranch_execz .LBB61_6
; %bb.5:
	v_mov_b32_e32 v3, 0
	s_delay_alu instid0(VALU_DEP_1)
	v_mov_b32_e32 v4, v3
	ds_store_b64 v5, v[3:4]
.LBB61_6:
	s_or_b32 exec_lo, exec_lo, s0
	v_mbcnt_lo_u32_b32 v10, -1, 0
	s_mov_b32 s1, exec_lo
	s_waitcnt lgkmcnt(0)
	s_barrier
	buffer_gl0_inv
	v_cmp_gt_u32_e64 s0, 16, v10
	s_delay_alu instid0(VALU_DEP_1) | instskip(SKIP_1) | instid1(VALU_DEP_2)
	v_cndmask_b32_e64 v3, 0, 1, s0
	v_cmp_gt_u32_e64 s0, 24, v10
	v_lshlrev_b32_e32 v3, 4, v3
	s_delay_alu instid0(VALU_DEP_1)
	v_add_lshl_u32 v6, v3, v10, 2
	ds_bpermute_b32 v3, v6, v1
	ds_bpermute_b32 v4, v6, v2
	s_waitcnt lgkmcnt(0)
	v_add_f64 v[1:2], v[1:2], v[3:4]
	v_cndmask_b32_e64 v3, 0, 1, s0
	v_cmp_gt_u32_e64 s0, 28, v10
	s_delay_alu instid0(VALU_DEP_2) | instskip(NEXT) | instid1(VALU_DEP_1)
	v_lshlrev_b32_e32 v3, 3, v3
	v_add_lshl_u32 v7, v3, v10, 2
	ds_bpermute_b32 v3, v7, v1
	ds_bpermute_b32 v4, v7, v2
	s_waitcnt lgkmcnt(0)
	v_add_f64 v[1:2], v[1:2], v[3:4]
	v_cndmask_b32_e64 v3, 0, 1, s0
	v_cmp_gt_u32_e64 s0, 30, v10
	s_delay_alu instid0(VALU_DEP_2) | instskip(NEXT) | instid1(VALU_DEP_1)
	v_lshlrev_b32_e32 v3, 2, v3
	v_add_lshl_u32 v8, v3, v10, 2
	ds_bpermute_b32 v3, v8, v1
	ds_bpermute_b32 v4, v8, v2
	s_waitcnt lgkmcnt(0)
	v_add_f64 v[1:2], v[1:2], v[3:4]
	v_cndmask_b32_e64 v3, 0, 1, s0
	v_cmp_ne_u32_e64 s0, 31, v10
	s_delay_alu instid0(VALU_DEP_2) | instskip(NEXT) | instid1(VALU_DEP_1)
	v_lshlrev_b32_e32 v3, 1, v3
	v_add_lshl_u32 v9, v3, v10, 2
	ds_bpermute_b32 v3, v9, v1
	ds_bpermute_b32 v4, v9, v2
	s_waitcnt lgkmcnt(0)
	v_add_f64 v[1:2], v[1:2], v[3:4]
	v_add_co_ci_u32_e64 v3, s0, 0, v10, s0
	s_delay_alu instid0(VALU_DEP_1)
	v_lshlrev_b32_e32 v10, 2, v3
	ds_bpermute_b32 v3, v10, v1
	ds_bpermute_b32 v4, v10, v2
	v_cmpx_eq_u32_e32 0, v11
	s_cbranch_execz .LBB61_8
; %bb.7:
	s_waitcnt lgkmcnt(0)
	v_add_f64 v[1:2], v[1:2], v[3:4]
	v_lshrrev_b32_e32 v3, 2, v0
	s_delay_alu instid0(VALU_DEP_1)
	v_and_b32_e32 v3, 0xf8, v3
	ds_store_b64 v3, v[1:2]
.LBB61_8:
	s_or_b32 exec_lo, exec_lo, s1
	v_mov_b32_e32 v1, 0
	v_mov_b32_e32 v2, 0
	s_waitcnt lgkmcnt(0)
	s_barrier
	buffer_gl0_inv
	s_and_saveexec_b32 s0, vcc_lo
	s_cbranch_execz .LBB61_10
; %bb.9:
	ds_load_b64 v[1:2], v5
.LBB61_10:
	s_or_b32 exec_lo, exec_lo, s0
	s_and_saveexec_b32 s0, vcc_lo
	s_cbranch_execz .LBB61_12
; %bb.11:
	s_waitcnt lgkmcnt(0)
	ds_bpermute_b32 v3, v6, v1
	ds_bpermute_b32 v4, v6, v2
	s_waitcnt lgkmcnt(0)
	v_add_f64 v[1:2], v[1:2], v[3:4]
	ds_bpermute_b32 v3, v7, v1
	ds_bpermute_b32 v4, v7, v2
	s_waitcnt lgkmcnt(0)
	v_add_f64 v[1:2], v[1:2], v[3:4]
	;; [unrolled: 4-line block ×5, first 2 shown]
.LBB61_12:
	s_or_b32 exec_lo, exec_lo, s0
	s_delay_alu instid0(SALU_CYCLE_1)
	s_mov_b32 s0, exec_lo
	v_cmpx_eq_u32_e32 0, v0
	s_cbranch_execz .LBB61_14
; %bb.13:
	s_lshl_b64 s[0:1], s[4:5], 3
	v_mov_b32_e32 v0, 0
	s_add_u32 s0, s2, s0
	s_addc_u32 s1, s3, s1
	s_waitcnt lgkmcnt(0)
	global_store_b64 v0, v[1:2], s[0:1]
.LBB61_14:
	s_nop 0
	s_sendmsg sendmsg(MSG_DEALLOC_VGPRS)
	s_endpgm
	.section	.rodata,"a",@progbits
	.p2align	6, 0x0
	.amdhsa_kernel _ZL24rocblas_dot_kernel_magsqIiLb1ELi1024ELi32ELb0EdPKddEviT5_lT_liPT6_PT4_
		.amdhsa_group_segment_fixed_size 256
		.amdhsa_private_segment_fixed_size 0
		.amdhsa_kernarg_size 320
		.amdhsa_user_sgpr_count 14
		.amdhsa_user_sgpr_dispatch_ptr 0
		.amdhsa_user_sgpr_queue_ptr 0
		.amdhsa_user_sgpr_kernarg_segment_ptr 1
		.amdhsa_user_sgpr_dispatch_id 0
		.amdhsa_user_sgpr_private_segment_size 0
		.amdhsa_wavefront_size32 1
		.amdhsa_uses_dynamic_stack 0
		.amdhsa_enable_private_segment 0
		.amdhsa_system_sgpr_workgroup_id_x 1
		.amdhsa_system_sgpr_workgroup_id_y 0
		.amdhsa_system_sgpr_workgroup_id_z 1
		.amdhsa_system_sgpr_workgroup_info 0
		.amdhsa_system_vgpr_workitem_id 0
		.amdhsa_next_free_vgpr 12
		.amdhsa_next_free_sgpr 17
		.amdhsa_reserve_vcc 1
		.amdhsa_float_round_mode_32 0
		.amdhsa_float_round_mode_16_64 0
		.amdhsa_float_denorm_mode_32 3
		.amdhsa_float_denorm_mode_16_64 3
		.amdhsa_dx10_clamp 1
		.amdhsa_ieee_mode 1
		.amdhsa_fp16_overflow 0
		.amdhsa_workgroup_processor_mode 1
		.amdhsa_memory_ordered 1
		.amdhsa_forward_progress 0
		.amdhsa_shared_vgpr_count 0
		.amdhsa_exception_fp_ieee_invalid_op 0
		.amdhsa_exception_fp_denorm_src 0
		.amdhsa_exception_fp_ieee_div_zero 0
		.amdhsa_exception_fp_ieee_overflow 0
		.amdhsa_exception_fp_ieee_underflow 0
		.amdhsa_exception_fp_ieee_inexact 0
		.amdhsa_exception_int_div_zero 0
	.end_amdhsa_kernel
	.section	.text._ZL24rocblas_dot_kernel_magsqIiLb1ELi1024ELi32ELb0EdPKddEviT5_lT_liPT6_PT4_,"axG",@progbits,_ZL24rocblas_dot_kernel_magsqIiLb1ELi1024ELi32ELb0EdPKddEviT5_lT_liPT6_PT4_,comdat
.Lfunc_end61:
	.size	_ZL24rocblas_dot_kernel_magsqIiLb1ELi1024ELi32ELb0EdPKddEviT5_lT_liPT6_PT4_, .Lfunc_end61-_ZL24rocblas_dot_kernel_magsqIiLb1ELi1024ELi32ELb0EdPKddEviT5_lT_liPT6_PT4_
                                        ; -- End function
	.section	.AMDGPU.csdata,"",@progbits
; Kernel info:
; codeLenInByte = 956
; NumSgprs: 19
; NumVgprs: 12
; ScratchSize: 0
; MemoryBound: 0
; FloatMode: 240
; IeeeMode: 1
; LDSByteSize: 256 bytes/workgroup (compile time only)
; SGPRBlocks: 2
; VGPRBlocks: 1
; NumSGPRsForWavesPerEU: 19
; NumVGPRsForWavesPerEU: 12
; Occupancy: 16
; WaveLimiterHint : 0
; COMPUTE_PGM_RSRC2:SCRATCH_EN: 0
; COMPUTE_PGM_RSRC2:USER_SGPR: 14
; COMPUTE_PGM_RSRC2:TRAP_HANDLER: 0
; COMPUTE_PGM_RSRC2:TGID_X_EN: 1
; COMPUTE_PGM_RSRC2:TGID_Y_EN: 0
; COMPUTE_PGM_RSRC2:TGID_Z_EN: 1
; COMPUTE_PGM_RSRC2:TIDIG_COMP_CNT: 0
	.section	.text._ZL38rocblas_dot_kernel_gfx942_float_doubleIiLi1024EdPKddEviT2_lT_lS2_lS3_lPT3_PT1_,"axG",@progbits,_ZL38rocblas_dot_kernel_gfx942_float_doubleIiLi1024EdPKddEviT2_lT_lS2_lS3_lPT3_PT1_,comdat
	.globl	_ZL38rocblas_dot_kernel_gfx942_float_doubleIiLi1024EdPKddEviT2_lT_lS2_lS3_lPT3_PT1_ ; -- Begin function _ZL38rocblas_dot_kernel_gfx942_float_doubleIiLi1024EdPKddEviT2_lT_lS2_lS3_lPT3_PT1_
	.p2align	8
	.type	_ZL38rocblas_dot_kernel_gfx942_float_doubleIiLi1024EdPKddEviT2_lT_lS2_lS3_lPT3_PT1_,@function
_ZL38rocblas_dot_kernel_gfx942_float_doubleIiLi1024EdPKddEviT2_lT_lS2_lS3_lPT3_PT1_: ; @_ZL38rocblas_dot_kernel_gfx942_float_doubleIiLi1024EdPKddEviT2_lT_lS2_lS3_lPT3_PT1_
; %bb.0:
	s_endpgm
	.section	.rodata,"a",@progbits
	.p2align	6, 0x0
	.amdhsa_kernel _ZL38rocblas_dot_kernel_gfx942_float_doubleIiLi1024EdPKddEviT2_lT_lS2_lS3_lPT3_PT1_
		.amdhsa_group_segment_fixed_size 0
		.amdhsa_private_segment_fixed_size 0
		.amdhsa_kernarg_size 88
		.amdhsa_user_sgpr_count 15
		.amdhsa_user_sgpr_dispatch_ptr 0
		.amdhsa_user_sgpr_queue_ptr 0
		.amdhsa_user_sgpr_kernarg_segment_ptr 1
		.amdhsa_user_sgpr_dispatch_id 0
		.amdhsa_user_sgpr_private_segment_size 0
		.amdhsa_wavefront_size32 1
		.amdhsa_uses_dynamic_stack 0
		.amdhsa_enable_private_segment 0
		.amdhsa_system_sgpr_workgroup_id_x 1
		.amdhsa_system_sgpr_workgroup_id_y 0
		.amdhsa_system_sgpr_workgroup_id_z 0
		.amdhsa_system_sgpr_workgroup_info 0
		.amdhsa_system_vgpr_workitem_id 0
		.amdhsa_next_free_vgpr 1
		.amdhsa_next_free_sgpr 1
		.amdhsa_reserve_vcc 0
		.amdhsa_float_round_mode_32 0
		.amdhsa_float_round_mode_16_64 0
		.amdhsa_float_denorm_mode_32 3
		.amdhsa_float_denorm_mode_16_64 3
		.amdhsa_dx10_clamp 1
		.amdhsa_ieee_mode 1
		.amdhsa_fp16_overflow 0
		.amdhsa_workgroup_processor_mode 1
		.amdhsa_memory_ordered 1
		.amdhsa_forward_progress 0
		.amdhsa_shared_vgpr_count 0
		.amdhsa_exception_fp_ieee_invalid_op 0
		.amdhsa_exception_fp_denorm_src 0
		.amdhsa_exception_fp_ieee_div_zero 0
		.amdhsa_exception_fp_ieee_overflow 0
		.amdhsa_exception_fp_ieee_underflow 0
		.amdhsa_exception_fp_ieee_inexact 0
		.amdhsa_exception_int_div_zero 0
	.end_amdhsa_kernel
	.section	.text._ZL38rocblas_dot_kernel_gfx942_float_doubleIiLi1024EdPKddEviT2_lT_lS2_lS3_lPT3_PT1_,"axG",@progbits,_ZL38rocblas_dot_kernel_gfx942_float_doubleIiLi1024EdPKddEviT2_lT_lS2_lS3_lPT3_PT1_,comdat
.Lfunc_end62:
	.size	_ZL38rocblas_dot_kernel_gfx942_float_doubleIiLi1024EdPKddEviT2_lT_lS2_lS3_lPT3_PT1_, .Lfunc_end62-_ZL38rocblas_dot_kernel_gfx942_float_doubleIiLi1024EdPKddEviT2_lT_lS2_lS3_lPT3_PT1_
                                        ; -- End function
	.section	.AMDGPU.csdata,"",@progbits
; Kernel info:
; codeLenInByte = 4
; NumSgprs: 0
; NumVgprs: 0
; ScratchSize: 0
; MemoryBound: 0
; FloatMode: 240
; IeeeMode: 1
; LDSByteSize: 0 bytes/workgroup (compile time only)
; SGPRBlocks: 0
; VGPRBlocks: 0
; NumSGPRsForWavesPerEU: 1
; NumVGPRsForWavesPerEU: 1
; Occupancy: 16
; WaveLimiterHint : 0
; COMPUTE_PGM_RSRC2:SCRATCH_EN: 0
; COMPUTE_PGM_RSRC2:USER_SGPR: 15
; COMPUTE_PGM_RSRC2:TRAP_HANDLER: 0
; COMPUTE_PGM_RSRC2:TGID_X_EN: 1
; COMPUTE_PGM_RSRC2:TGID_Y_EN: 0
; COMPUTE_PGM_RSRC2:TGID_Z_EN: 0
; COMPUTE_PGM_RSRC2:TIDIG_COMP_CNT: 0
	.section	.text._ZL30rocblas_reduction_kernel_part2ILi1024ELi4E25rocblas_finalize_identityddEviPT2_PT3_,"axG",@progbits,_ZL30rocblas_reduction_kernel_part2ILi1024ELi4E25rocblas_finalize_identityddEviPT2_PT3_,comdat
	.globl	_ZL30rocblas_reduction_kernel_part2ILi1024ELi4E25rocblas_finalize_identityddEviPT2_PT3_ ; -- Begin function _ZL30rocblas_reduction_kernel_part2ILi1024ELi4E25rocblas_finalize_identityddEviPT2_PT3_
	.p2align	8
	.type	_ZL30rocblas_reduction_kernel_part2ILi1024ELi4E25rocblas_finalize_identityddEviPT2_PT3_,@function
_ZL30rocblas_reduction_kernel_part2ILi1024ELi4E25rocblas_finalize_identityddEviPT2_PT3_: ; @_ZL30rocblas_reduction_kernel_part2ILi1024ELi4E25rocblas_finalize_identityddEviPT2_PT3_
; %bb.0:
	s_clause 0x1
	s_load_b32 s10, s[0:1], 0x0
	s_load_b128 s[4:7], s[0:1], 0x8
	v_mov_b32_e32 v1, 0
	v_dual_mov_b32 v2, 0 :: v_dual_lshlrev_b32 v5, 2, v0
	s_mov_b32 s2, s15
	s_mov_b32 s3, 0
	s_mov_b32 s11, exec_lo
	s_waitcnt lgkmcnt(0)
	s_ashr_i32 s0, s10, 31
	s_mul_hi_u32 s8, s10, s15
	s_lshr_b32 s1, s0, 30
	s_mul_i32 s0, s0, s15
	s_add_i32 s1, s10, s1
	s_add_i32 s9, s8, s0
	s_and_b32 s1, s1, -4
	s_mul_i32 s8, s10, s15
	v_cmpx_gt_i32_e64 s1, v5
	s_cbranch_execz .LBB63_4
; %bb.1:
	v_lshlrev_b32_e32 v1, 5, v0
	s_lshl_b64 s[12:13], s[8:9], 3
	s_delay_alu instid0(SALU_CYCLE_1) | instskip(SKIP_1) | instid1(VALU_DEP_1)
	s_add_u32 s0, s4, s12
	s_addc_u32 s12, s5, s13
	v_add_co_u32 v3, s0, s0, v1
	s_delay_alu instid0(VALU_DEP_1) | instskip(SKIP_1) | instid1(VALU_DEP_3)
	v_add_co_ci_u32_e64 v4, null, s12, 0, s0
	v_mov_b32_e32 v1, 0
	v_add_co_u32 v3, vcc_lo, v3, 16
	v_mov_b32_e32 v2, 0
	s_delay_alu instid0(VALU_DEP_4)
	v_add_co_ci_u32_e32 v4, vcc_lo, 0, v4, vcc_lo
	s_mov_b32 s12, s3
	.p2align	6
.LBB63_2:                               ; =>This Inner Loop Header: Depth=1
	s_clause 0x1
	global_load_b128 v[6:9], v[3:4], off offset:-16
	global_load_b128 v[10:13], v[3:4], off
	v_add_nc_u32_e32 v5, 0x1000, v5
	v_add_co_u32 v3, s0, 0x8000, v3
	s_delay_alu instid0(VALU_DEP_1) | instskip(NEXT) | instid1(VALU_DEP_3)
	v_add_co_ci_u32_e64 v4, s0, 0, v4, s0
	v_cmp_le_i32_e32 vcc_lo, s1, v5
	s_or_b32 s12, vcc_lo, s12
	s_waitcnt vmcnt(1)
	v_add_f64 v[1:2], v[1:2], v[6:7]
	s_delay_alu instid0(VALU_DEP_1) | instskip(SKIP_1) | instid1(VALU_DEP_1)
	v_add_f64 v[1:2], v[1:2], v[8:9]
	s_waitcnt vmcnt(0)
	v_add_f64 v[1:2], v[1:2], v[10:11]
	s_delay_alu instid0(VALU_DEP_1)
	v_add_f64 v[1:2], v[1:2], v[12:13]
	s_and_not1_b32 exec_lo, exec_lo, s12
	s_cbranch_execnz .LBB63_2
; %bb.3:
	s_or_b32 exec_lo, exec_lo, s12
.LBB63_4:
	s_delay_alu instid0(SALU_CYCLE_1) | instskip(SKIP_1) | instid1(SALU_CYCLE_1)
	s_or_b32 exec_lo, exec_lo, s11
	s_sub_i32 s0, s10, s1
	v_cmp_gt_u32_e32 vcc_lo, s0, v0
	s_and_saveexec_b32 s0, vcc_lo
	s_cbranch_execz .LBB63_6
; %bb.5:
	v_xad_u32 v3, v0, -1, s10
	v_mov_b32_e32 v4, 0
	s_lshl_b64 s[8:9], s[8:9], 3
	s_delay_alu instid0(SALU_CYCLE_1) | instskip(SKIP_1) | instid1(VALU_DEP_1)
	s_add_u32 s1, s4, s8
	s_addc_u32 s4, s5, s9
	v_lshlrev_b64 v[3:4], 3, v[3:4]
	s_delay_alu instid0(VALU_DEP_1) | instskip(NEXT) | instid1(VALU_DEP_2)
	v_add_co_u32 v3, vcc_lo, s1, v3
	v_add_co_ci_u32_e32 v4, vcc_lo, s4, v4, vcc_lo
	global_load_b64 v[3:4], v[3:4], off
	s_waitcnt vmcnt(0)
	v_add_f64 v[1:2], v[1:2], v[3:4]
.LBB63_6:
	s_or_b32 exec_lo, exec_lo, s0
	v_and_b32_e32 v11, 31, v0
	v_cmp_gt_u32_e32 vcc_lo, 32, v0
	s_delay_alu instid0(VALU_DEP_2)
	v_lshlrev_b32_e32 v5, 3, v11
	s_and_saveexec_b32 s0, vcc_lo
	s_cbranch_execz .LBB63_8
; %bb.7:
	v_mov_b32_e32 v3, 0
	s_delay_alu instid0(VALU_DEP_1)
	v_mov_b32_e32 v4, v3
	ds_store_b64 v5, v[3:4]
.LBB63_8:
	s_or_b32 exec_lo, exec_lo, s0
	v_mbcnt_lo_u32_b32 v10, -1, 0
	s_mov_b32 s1, exec_lo
	s_waitcnt lgkmcnt(0)
	s_barrier
	buffer_gl0_inv
	v_cmp_gt_u32_e64 s0, 16, v10
	s_delay_alu instid0(VALU_DEP_1) | instskip(SKIP_1) | instid1(VALU_DEP_2)
	v_cndmask_b32_e64 v3, 0, 1, s0
	v_cmp_gt_u32_e64 s0, 24, v10
	v_lshlrev_b32_e32 v3, 4, v3
	s_delay_alu instid0(VALU_DEP_1)
	v_add_lshl_u32 v6, v3, v10, 2
	ds_bpermute_b32 v3, v6, v1
	ds_bpermute_b32 v4, v6, v2
	s_waitcnt lgkmcnt(0)
	v_add_f64 v[1:2], v[1:2], v[3:4]
	v_cndmask_b32_e64 v3, 0, 1, s0
	v_cmp_gt_u32_e64 s0, 28, v10
	s_delay_alu instid0(VALU_DEP_2) | instskip(NEXT) | instid1(VALU_DEP_1)
	v_lshlrev_b32_e32 v3, 3, v3
	v_add_lshl_u32 v7, v3, v10, 2
	ds_bpermute_b32 v3, v7, v1
	ds_bpermute_b32 v4, v7, v2
	s_waitcnt lgkmcnt(0)
	v_add_f64 v[1:2], v[1:2], v[3:4]
	v_cndmask_b32_e64 v3, 0, 1, s0
	v_cmp_gt_u32_e64 s0, 30, v10
	s_delay_alu instid0(VALU_DEP_2) | instskip(NEXT) | instid1(VALU_DEP_1)
	v_lshlrev_b32_e32 v3, 2, v3
	v_add_lshl_u32 v8, v3, v10, 2
	ds_bpermute_b32 v3, v8, v1
	ds_bpermute_b32 v4, v8, v2
	s_waitcnt lgkmcnt(0)
	v_add_f64 v[1:2], v[1:2], v[3:4]
	v_cndmask_b32_e64 v3, 0, 1, s0
	v_cmp_ne_u32_e64 s0, 31, v10
	s_delay_alu instid0(VALU_DEP_2) | instskip(NEXT) | instid1(VALU_DEP_1)
	v_lshlrev_b32_e32 v3, 1, v3
	v_add_lshl_u32 v9, v3, v10, 2
	ds_bpermute_b32 v3, v9, v1
	ds_bpermute_b32 v4, v9, v2
	s_waitcnt lgkmcnt(0)
	v_add_f64 v[1:2], v[1:2], v[3:4]
	v_add_co_ci_u32_e64 v3, s0, 0, v10, s0
	s_delay_alu instid0(VALU_DEP_1)
	v_lshlrev_b32_e32 v10, 2, v3
	ds_bpermute_b32 v3, v10, v1
	ds_bpermute_b32 v4, v10, v2
	v_cmpx_eq_u32_e32 0, v11
	s_cbranch_execz .LBB63_10
; %bb.9:
	s_waitcnt lgkmcnt(0)
	v_add_f64 v[1:2], v[1:2], v[3:4]
	v_lshrrev_b32_e32 v3, 2, v0
	s_delay_alu instid0(VALU_DEP_1)
	v_and_b32_e32 v3, 0xf8, v3
	ds_store_b64 v3, v[1:2]
.LBB63_10:
	s_or_b32 exec_lo, exec_lo, s1
	v_mov_b32_e32 v1, 0
	v_mov_b32_e32 v2, 0
	s_waitcnt lgkmcnt(0)
	s_barrier
	buffer_gl0_inv
	s_and_saveexec_b32 s0, vcc_lo
	s_cbranch_execz .LBB63_12
; %bb.11:
	ds_load_b64 v[1:2], v5
.LBB63_12:
	s_or_b32 exec_lo, exec_lo, s0
	s_and_saveexec_b32 s0, vcc_lo
	s_cbranch_execz .LBB63_14
; %bb.13:
	s_waitcnt lgkmcnt(0)
	ds_bpermute_b32 v3, v6, v1
	ds_bpermute_b32 v4, v6, v2
	s_waitcnt lgkmcnt(0)
	v_add_f64 v[1:2], v[1:2], v[3:4]
	ds_bpermute_b32 v3, v7, v1
	ds_bpermute_b32 v4, v7, v2
	s_waitcnt lgkmcnt(0)
	v_add_f64 v[1:2], v[1:2], v[3:4]
	;; [unrolled: 4-line block ×5, first 2 shown]
.LBB63_14:
	s_or_b32 exec_lo, exec_lo, s0
	s_delay_alu instid0(SALU_CYCLE_1)
	s_mov_b32 s0, exec_lo
	v_cmpx_eq_u32_e32 0, v0
	s_cbranch_execz .LBB63_16
; %bb.15:
	s_lshl_b64 s[0:1], s[2:3], 3
	v_mov_b32_e32 v0, 0
	s_add_u32 s0, s6, s0
	s_addc_u32 s1, s7, s1
	s_waitcnt lgkmcnt(0)
	global_store_b64 v0, v[1:2], s[0:1]
.LBB63_16:
	s_nop 0
	s_sendmsg sendmsg(MSG_DEALLOC_VGPRS)
	s_endpgm
	.section	.rodata,"a",@progbits
	.p2align	6, 0x0
	.amdhsa_kernel _ZL30rocblas_reduction_kernel_part2ILi1024ELi4E25rocblas_finalize_identityddEviPT2_PT3_
		.amdhsa_group_segment_fixed_size 256
		.amdhsa_private_segment_fixed_size 0
		.amdhsa_kernarg_size 24
		.amdhsa_user_sgpr_count 15
		.amdhsa_user_sgpr_dispatch_ptr 0
		.amdhsa_user_sgpr_queue_ptr 0
		.amdhsa_user_sgpr_kernarg_segment_ptr 1
		.amdhsa_user_sgpr_dispatch_id 0
		.amdhsa_user_sgpr_private_segment_size 0
		.amdhsa_wavefront_size32 1
		.amdhsa_uses_dynamic_stack 0
		.amdhsa_enable_private_segment 0
		.amdhsa_system_sgpr_workgroup_id_x 1
		.amdhsa_system_sgpr_workgroup_id_y 0
		.amdhsa_system_sgpr_workgroup_id_z 0
		.amdhsa_system_sgpr_workgroup_info 0
		.amdhsa_system_vgpr_workitem_id 0
		.amdhsa_next_free_vgpr 14
		.amdhsa_next_free_sgpr 16
		.amdhsa_reserve_vcc 1
		.amdhsa_float_round_mode_32 0
		.amdhsa_float_round_mode_16_64 0
		.amdhsa_float_denorm_mode_32 3
		.amdhsa_float_denorm_mode_16_64 3
		.amdhsa_dx10_clamp 1
		.amdhsa_ieee_mode 1
		.amdhsa_fp16_overflow 0
		.amdhsa_workgroup_processor_mode 1
		.amdhsa_memory_ordered 1
		.amdhsa_forward_progress 0
		.amdhsa_shared_vgpr_count 0
		.amdhsa_exception_fp_ieee_invalid_op 0
		.amdhsa_exception_fp_denorm_src 0
		.amdhsa_exception_fp_ieee_div_zero 0
		.amdhsa_exception_fp_ieee_overflow 0
		.amdhsa_exception_fp_ieee_underflow 0
		.amdhsa_exception_fp_ieee_inexact 0
		.amdhsa_exception_int_div_zero 0
	.end_amdhsa_kernel
	.section	.text._ZL30rocblas_reduction_kernel_part2ILi1024ELi4E25rocblas_finalize_identityddEviPT2_PT3_,"axG",@progbits,_ZL30rocblas_reduction_kernel_part2ILi1024ELi4E25rocblas_finalize_identityddEviPT2_PT3_,comdat
.Lfunc_end63:
	.size	_ZL30rocblas_reduction_kernel_part2ILi1024ELi4E25rocblas_finalize_identityddEviPT2_PT3_, .Lfunc_end63-_ZL30rocblas_reduction_kernel_part2ILi1024ELi4E25rocblas_finalize_identityddEviPT2_PT3_
                                        ; -- End function
	.section	.AMDGPU.csdata,"",@progbits
; Kernel info:
; codeLenInByte = 1044
; NumSgprs: 18
; NumVgprs: 14
; ScratchSize: 0
; MemoryBound: 0
; FloatMode: 240
; IeeeMode: 1
; LDSByteSize: 256 bytes/workgroup (compile time only)
; SGPRBlocks: 2
; VGPRBlocks: 1
; NumSGPRsForWavesPerEU: 18
; NumVGPRsForWavesPerEU: 14
; Occupancy: 16
; WaveLimiterHint : 0
; COMPUTE_PGM_RSRC2:SCRATCH_EN: 0
; COMPUTE_PGM_RSRC2:USER_SGPR: 15
; COMPUTE_PGM_RSRC2:TRAP_HANDLER: 0
; COMPUTE_PGM_RSRC2:TGID_X_EN: 1
; COMPUTE_PGM_RSRC2:TGID_Y_EN: 0
; COMPUTE_PGM_RSRC2:TGID_Z_EN: 0
; COMPUTE_PGM_RSRC2:TIDIG_COMP_CNT: 0
	.section	.text._ZL23rocblas_dot_kernel_inc1ILb0ELi512ELi2ELb0EdPKddEviT4_llS2_lliPT5_PT3_,"axG",@progbits,_ZL23rocblas_dot_kernel_inc1ILb0ELi512ELi2ELb0EdPKddEviT4_llS2_lliPT5_PT3_,comdat
	.globl	_ZL23rocblas_dot_kernel_inc1ILb0ELi512ELi2ELb0EdPKddEviT4_llS2_lliPT5_PT3_ ; -- Begin function _ZL23rocblas_dot_kernel_inc1ILb0ELi512ELi2ELb0EdPKddEviT4_llS2_lliPT5_PT3_
	.p2align	8
	.type	_ZL23rocblas_dot_kernel_inc1ILb0ELi512ELi2ELb0EdPKddEviT4_llS2_lliPT5_PT3_,@function
_ZL23rocblas_dot_kernel_inc1ILb0ELi512ELi2ELb0EdPKddEviT4_llS2_lliPT5_PT3_: ; @_ZL23rocblas_dot_kernel_inc1ILb0ELi512ELi2ELb0EdPKddEviT4_llS2_lliPT5_PT3_
; %bb.0:
	s_clause 0x1
	s_load_b32 s10, s[0:1], 0x0
	s_load_b32 s3, s[0:1], 0x50
	v_mov_b32_e32 v1, 0
	v_lshl_or_b32 v3, s14, 9, v0
	v_mov_b32_e32 v2, 0
	s_mov_b32 s8, s15
	s_mov_b32 s9, 0
	s_mov_b32 s2, exec_lo
	s_waitcnt lgkmcnt(0)
	v_cmpx_gt_i32_e64 s10, v3
	s_cbranch_execz .LBB64_4
; %bb.1:
	s_clause 0x3
	s_load_b128 s[16:19], s[0:1], 0x10
	s_load_b128 s[4:7], s[0:1], 0x28
	s_load_b64 s[12:13], s[0:1], 0x8
	s_load_b64 s[20:21], s[0:1], 0x20
	v_ashrrev_i32_e32 v4, 31, v3
	s_delay_alu instid0(VALU_DEP_1)
	v_lshlrev_b64 v[1:2], 3, v[3:4]
	s_waitcnt lgkmcnt(0)
	s_mul_i32 s11, s8, s19
	s_mul_hi_u32 s15, s8, s18
	s_mul_i32 s18, s8, s18
	s_add_i32 s19, s15, s11
	s_mul_i32 s11, s8, s7
	s_lshl_b64 s[18:19], s[18:19], 3
	s_mul_hi_u32 s15, s8, s6
	s_add_u32 s7, s12, s18
	s_addc_u32 s18, s13, s19
	s_lshl_b64 s[12:13], s[16:17], 3
	s_mul_i32 s16, s8, s6
	s_add_u32 s6, s7, s12
	s_addc_u32 s7, s18, s13
	s_add_i32 s17, s15, s11
	s_delay_alu instid0(SALU_CYCLE_1) | instskip(NEXT) | instid1(SALU_CYCLE_1)
	s_lshl_b64 s[12:13], s[16:17], 3
	s_add_u32 s11, s20, s12
	s_addc_u32 s12, s21, s13
	s_lshl_b64 s[4:5], s[4:5], 3
	s_delay_alu instid0(SALU_CYCLE_1)
	s_add_u32 s4, s11, s4
	s_addc_u32 s5, s12, s5
	v_add_co_u32 v3, vcc_lo, s4, v1
	v_add_co_ci_u32_e32 v4, vcc_lo, s5, v2, vcc_lo
	v_add_co_u32 v1, vcc_lo, s6, v1
	v_add_co_ci_u32_e32 v2, vcc_lo, s7, v2, vcc_lo
	global_load_b64 v[3:4], v[3:4], off
	global_load_b64 v[1:2], v[1:2], off
	s_add_i32 s11, s14, s3
	s_waitcnt vmcnt(0)
	v_fma_f64 v[1:2], v[3:4], v[1:2], 0
	v_lshl_or_b32 v3, s11, 9, v0
	s_delay_alu instid0(VALU_DEP_1)
	v_cmp_gt_i32_e32 vcc_lo, s10, v3
	s_and_saveexec_b32 s10, vcc_lo
	s_cbranch_execz .LBB64_3
; %bb.2:
	v_ashrrev_i32_e32 v4, 31, v3
	s_delay_alu instid0(VALU_DEP_1) | instskip(NEXT) | instid1(VALU_DEP_1)
	v_lshlrev_b64 v[3:4], 3, v[3:4]
	v_add_co_u32 v5, vcc_lo, s4, v3
	s_delay_alu instid0(VALU_DEP_2)
	v_add_co_ci_u32_e32 v6, vcc_lo, s5, v4, vcc_lo
	v_add_co_u32 v3, vcc_lo, s6, v3
	v_add_co_ci_u32_e32 v4, vcc_lo, s7, v4, vcc_lo
	global_load_b64 v[5:6], v[5:6], off
	global_load_b64 v[3:4], v[3:4], off
	s_waitcnt vmcnt(0)
	v_fma_f64 v[1:2], v[5:6], v[3:4], v[1:2]
.LBB64_3:
	s_or_b32 exec_lo, exec_lo, s10
.LBB64_4:
	s_delay_alu instid0(SALU_CYCLE_1) | instskip(SKIP_2) | instid1(VALU_DEP_2)
	s_or_b32 exec_lo, exec_lo, s2
	v_and_b32_e32 v10, 31, v0
	v_cmp_gt_u32_e32 vcc_lo, 32, v0
	v_lshlrev_b32_e32 v5, 3, v10
	s_and_saveexec_b32 s2, vcc_lo
	s_cbranch_execz .LBB64_6
; %bb.5:
	v_mov_b32_e32 v3, 0
	s_delay_alu instid0(VALU_DEP_1)
	v_mov_b32_e32 v4, v3
	ds_store_b64 v5, v[3:4]
.LBB64_6:
	s_or_b32 exec_lo, exec_lo, s2
	v_mbcnt_lo_u32_b32 v9, -1, 0
	s_mov_b32 s4, exec_lo
	s_waitcnt lgkmcnt(0)
	s_barrier
	buffer_gl0_inv
	v_cmp_gt_u32_e64 s2, 16, v9
	s_delay_alu instid0(VALU_DEP_1) | instskip(SKIP_1) | instid1(VALU_DEP_2)
	v_cndmask_b32_e64 v3, 0, 1, s2
	v_cmp_gt_u32_e64 s2, 24, v9
	v_lshlrev_b32_e32 v3, 4, v3
	s_delay_alu instid0(VALU_DEP_1)
	v_add_lshl_u32 v4, v3, v9, 2
	ds_bpermute_b32 v3, v4, v1
	ds_bpermute_b32 v4, v4, v2
	s_waitcnt lgkmcnt(0)
	v_add_f64 v[1:2], v[1:2], v[3:4]
	v_cndmask_b32_e64 v3, 0, 1, s2
	v_cmp_gt_u32_e64 s2, 28, v9
	s_delay_alu instid0(VALU_DEP_2) | instskip(NEXT) | instid1(VALU_DEP_1)
	v_lshlrev_b32_e32 v3, 3, v3
	v_add_lshl_u32 v6, v3, v9, 2
	ds_bpermute_b32 v3, v6, v1
	ds_bpermute_b32 v4, v6, v2
	s_waitcnt lgkmcnt(0)
	v_add_f64 v[1:2], v[1:2], v[3:4]
	v_cndmask_b32_e64 v3, 0, 1, s2
	v_cmp_gt_u32_e64 s2, 30, v9
	s_delay_alu instid0(VALU_DEP_2) | instskip(NEXT) | instid1(VALU_DEP_1)
	v_lshlrev_b32_e32 v3, 2, v3
	v_add_lshl_u32 v7, v3, v9, 2
	ds_bpermute_b32 v3, v7, v1
	ds_bpermute_b32 v4, v7, v2
	s_waitcnt lgkmcnt(0)
	v_add_f64 v[1:2], v[1:2], v[3:4]
	v_cndmask_b32_e64 v3, 0, 1, s2
	v_cmp_ne_u32_e64 s2, 31, v9
	s_delay_alu instid0(VALU_DEP_2) | instskip(NEXT) | instid1(VALU_DEP_1)
	v_lshlrev_b32_e32 v3, 1, v3
	v_add_lshl_u32 v8, v3, v9, 2
	ds_bpermute_b32 v3, v8, v1
	ds_bpermute_b32 v4, v8, v2
	s_waitcnt lgkmcnt(0)
	v_add_f64 v[1:2], v[1:2], v[3:4]
	v_add_co_ci_u32_e64 v3, s2, 0, v9, s2
	s_delay_alu instid0(VALU_DEP_1)
	v_lshlrev_b32_e32 v9, 2, v3
	ds_bpermute_b32 v3, v9, v1
	ds_bpermute_b32 v4, v9, v2
	v_cmpx_eq_u32_e32 0, v10
	s_cbranch_execz .LBB64_8
; %bb.7:
	s_waitcnt lgkmcnt(0)
	v_add_f64 v[1:2], v[1:2], v[3:4]
	v_lshrrev_b32_e32 v3, 2, v0
	s_delay_alu instid0(VALU_DEP_1)
	v_and_b32_e32 v3, 0x78, v3
	ds_store_b64 v3, v[1:2]
.LBB64_8:
	s_or_b32 exec_lo, exec_lo, s4
	v_mov_b32_e32 v1, 0
	v_mov_b32_e32 v2, 0
	s_mov_b32 s4, exec_lo
	s_waitcnt lgkmcnt(0)
	s_barrier
	buffer_gl0_inv
	v_cmpx_gt_u32_e32 16, v0
	s_cbranch_execz .LBB64_10
; %bb.9:
	ds_load_b64 v[1:2], v5
.LBB64_10:
	s_or_b32 exec_lo, exec_lo, s4
	s_and_saveexec_b32 s2, vcc_lo
	s_cbranch_execz .LBB64_12
; %bb.11:
	s_waitcnt lgkmcnt(0)
	ds_bpermute_b32 v3, v6, v1
	ds_bpermute_b32 v4, v6, v2
	s_waitcnt lgkmcnt(0)
	v_add_f64 v[1:2], v[1:2], v[3:4]
	ds_bpermute_b32 v3, v7, v1
	ds_bpermute_b32 v4, v7, v2
	s_waitcnt lgkmcnt(0)
	v_add_f64 v[1:2], v[1:2], v[3:4]
	;; [unrolled: 4-line block ×4, first 2 shown]
.LBB64_12:
	s_or_b32 exec_lo, exec_lo, s2
	s_delay_alu instid0(SALU_CYCLE_1)
	s_mov_b32 s2, exec_lo
	v_cmpx_eq_u32_e32 0, v0
	s_cbranch_execz .LBB64_18
; %bb.13:
	s_cmp_lg_u32 s3, 1
	s_cbranch_scc0 .LBB64_15
; %bb.14:
	s_load_b64 s[4:5], s[0:1], 0x40
	s_mul_hi_u32 s7, s3, s8
	s_mul_i32 s6, s3, s8
	s_mov_b32 s15, 0
	s_lshl_b64 s[2:3], s[6:7], 3
	s_waitcnt lgkmcnt(0)
	s_add_u32 s4, s4, s2
	s_addc_u32 s5, s5, s3
	s_lshl_b64 s[2:3], s[14:15], 3
	s_delay_alu instid0(SALU_CYCLE_1)
	s_add_u32 s2, s4, s2
	s_addc_u32 s3, s5, s3
	s_cbranch_execz .LBB64_16
	s_branch .LBB64_17
.LBB64_15:
                                        ; implicit-def: $sgpr2_sgpr3
.LBB64_16:
	s_load_b64 s[0:1], s[0:1], 0x48
	s_lshl_b64 s[2:3], s[8:9], 3
	s_waitcnt lgkmcnt(0)
	s_add_u32 s2, s0, s2
	s_addc_u32 s3, s1, s3
.LBB64_17:
	v_mov_b32_e32 v0, 0
	s_waitcnt lgkmcnt(0)
	global_store_b64 v0, v[1:2], s[2:3]
.LBB64_18:
	s_nop 0
	s_sendmsg sendmsg(MSG_DEALLOC_VGPRS)
	s_endpgm
	.section	.rodata,"a",@progbits
	.p2align	6, 0x0
	.amdhsa_kernel _ZL23rocblas_dot_kernel_inc1ILb0ELi512ELi2ELb0EdPKddEviT4_llS2_lliPT5_PT3_
		.amdhsa_group_segment_fixed_size 256
		.amdhsa_private_segment_fixed_size 0
		.amdhsa_kernarg_size 336
		.amdhsa_user_sgpr_count 14
		.amdhsa_user_sgpr_dispatch_ptr 0
		.amdhsa_user_sgpr_queue_ptr 0
		.amdhsa_user_sgpr_kernarg_segment_ptr 1
		.amdhsa_user_sgpr_dispatch_id 0
		.amdhsa_user_sgpr_private_segment_size 0
		.amdhsa_wavefront_size32 1
		.amdhsa_uses_dynamic_stack 0
		.amdhsa_enable_private_segment 0
		.amdhsa_system_sgpr_workgroup_id_x 1
		.amdhsa_system_sgpr_workgroup_id_y 0
		.amdhsa_system_sgpr_workgroup_id_z 1
		.amdhsa_system_sgpr_workgroup_info 0
		.amdhsa_system_vgpr_workitem_id 0
		.amdhsa_next_free_vgpr 11
		.amdhsa_next_free_sgpr 22
		.amdhsa_reserve_vcc 1
		.amdhsa_float_round_mode_32 0
		.amdhsa_float_round_mode_16_64 0
		.amdhsa_float_denorm_mode_32 3
		.amdhsa_float_denorm_mode_16_64 3
		.amdhsa_dx10_clamp 1
		.amdhsa_ieee_mode 1
		.amdhsa_fp16_overflow 0
		.amdhsa_workgroup_processor_mode 1
		.amdhsa_memory_ordered 1
		.amdhsa_forward_progress 0
		.amdhsa_shared_vgpr_count 0
		.amdhsa_exception_fp_ieee_invalid_op 0
		.amdhsa_exception_fp_denorm_src 0
		.amdhsa_exception_fp_ieee_div_zero 0
		.amdhsa_exception_fp_ieee_overflow 0
		.amdhsa_exception_fp_ieee_underflow 0
		.amdhsa_exception_fp_ieee_inexact 0
		.amdhsa_exception_int_div_zero 0
	.end_amdhsa_kernel
	.section	.text._ZL23rocblas_dot_kernel_inc1ILb0ELi512ELi2ELb0EdPKddEviT4_llS2_lliPT5_PT3_,"axG",@progbits,_ZL23rocblas_dot_kernel_inc1ILb0ELi512ELi2ELb0EdPKddEviT4_llS2_lliPT5_PT3_,comdat
.Lfunc_end64:
	.size	_ZL23rocblas_dot_kernel_inc1ILb0ELi512ELi2ELb0EdPKddEviT4_llS2_lliPT5_PT3_, .Lfunc_end64-_ZL23rocblas_dot_kernel_inc1ILb0ELi512ELi2ELb0EdPKddEviT4_llS2_lliPT5_PT3_
                                        ; -- End function
	.section	.AMDGPU.csdata,"",@progbits
; Kernel info:
; codeLenInByte = 1088
; NumSgprs: 24
; NumVgprs: 11
; ScratchSize: 0
; MemoryBound: 0
; FloatMode: 240
; IeeeMode: 1
; LDSByteSize: 256 bytes/workgroup (compile time only)
; SGPRBlocks: 2
; VGPRBlocks: 1
; NumSGPRsForWavesPerEU: 24
; NumVGPRsForWavesPerEU: 11
; Occupancy: 16
; WaveLimiterHint : 0
; COMPUTE_PGM_RSRC2:SCRATCH_EN: 0
; COMPUTE_PGM_RSRC2:USER_SGPR: 14
; COMPUTE_PGM_RSRC2:TRAP_HANDLER: 0
; COMPUTE_PGM_RSRC2:TGID_X_EN: 1
; COMPUTE_PGM_RSRC2:TGID_Y_EN: 0
; COMPUTE_PGM_RSRC2:TGID_Z_EN: 1
; COMPUTE_PGM_RSRC2:TIDIG_COMP_CNT: 0
	.section	.text._ZL18rocblas_dot_kernelIiLb0ELi512ELi2ELb0EdPKddEviT5_lT_lS2_lS3_liPT6_PT4_,"axG",@progbits,_ZL18rocblas_dot_kernelIiLb0ELi512ELi2ELb0EdPKddEviT5_lT_lS2_lS3_liPT6_PT4_,comdat
	.globl	_ZL18rocblas_dot_kernelIiLb0ELi512ELi2ELb0EdPKddEviT5_lT_lS2_lS3_liPT6_PT4_ ; -- Begin function _ZL18rocblas_dot_kernelIiLb0ELi512ELi2ELb0EdPKddEviT5_lT_lS2_lS3_liPT6_PT4_
	.p2align	8
	.type	_ZL18rocblas_dot_kernelIiLb0ELi512ELi2ELb0EdPKddEviT5_lT_lS2_lS3_liPT6_PT4_,@function
_ZL18rocblas_dot_kernelIiLb0ELi512ELi2ELb0EdPKddEviT5_lT_lS2_lS3_liPT6_PT4_: ; @_ZL18rocblas_dot_kernelIiLb0ELi512ELi2ELb0EdPKddEviT5_lT_lS2_lS3_liPT6_PT4_
; %bb.0:
	s_clause 0x1
	s_load_b32 s10, s[0:1], 0x0
	s_load_b32 s3, s[0:1], 0x60
	v_mov_b32_e32 v1, 0
	v_lshl_or_b32 v3, s14, 9, v0
	v_mov_b32_e32 v2, 0
	s_mov_b32 s8, s15
	s_mov_b32 s9, 0
	s_mov_b32 s2, exec_lo
	s_waitcnt lgkmcnt(0)
	v_cmpx_gt_i32_e64 s10, v3
	s_cbranch_execz .LBB65_4
; %bb.1:
	s_clause 0x5
	s_load_b128 s[4:7], s[0:1], 0x20
	s_load_b64 s[20:21], s[0:1], 0x40
	s_load_b32 s12, s[0:1], 0x38
	s_load_b128 s[16:19], s[0:1], 0x8
	s_load_b32 s11, s[0:1], 0x18
	s_load_b64 s[22:23], s[0:1], 0x30
	s_waitcnt lgkmcnt(0)
	s_mul_i32 s5, s8, s5
	s_mul_hi_u32 s13, s8, s4
	s_mul_i32 s4, s8, s4
	s_add_i32 s5, s13, s5
	v_mad_i64_i32 v[1:2], null, v3, s12, 0
	s_lshl_b64 s[4:5], s[4:5], 3
	s_mul_i32 s15, s8, s21
	s_add_u32 s13, s16, s4
	s_addc_u32 s16, s17, s5
	s_lshl_b64 s[4:5], s[18:19], 3
	s_mul_hi_u32 s21, s8, s20
	v_mad_i64_i32 v[4:5], null, v3, s11, 0
	s_add_u32 s4, s13, s4
	s_mul_i32 s20, s8, s20
	s_addc_u32 s5, s16, s5
	s_add_i32 s21, s21, s15
	v_lshlrev_b64 v[1:2], 3, v[1:2]
	s_lshl_b64 s[16:17], s[20:21], 3
	s_delay_alu instid0(VALU_DEP_2) | instskip(SKIP_3) | instid1(SALU_CYCLE_1)
	v_lshlrev_b64 v[3:4], 3, v[4:5]
	s_add_u32 s13, s6, s16
	s_addc_u32 s15, s7, s17
	s_lshl_b64 s[6:7], s[22:23], 3
	s_add_u32 s6, s13, s6
	s_addc_u32 s7, s15, s7
	v_add_co_u32 v1, vcc_lo, s6, v1
	v_add_co_ci_u32_e32 v2, vcc_lo, s7, v2, vcc_lo
	v_add_co_u32 v3, vcc_lo, s4, v3
	v_add_co_ci_u32_e32 v4, vcc_lo, s5, v4, vcc_lo
	global_load_b64 v[1:2], v[1:2], off
	global_load_b64 v[3:4], v[3:4], off
	s_add_i32 s13, s14, s3
	s_waitcnt vmcnt(0)
	v_fma_f64 v[1:2], v[1:2], v[3:4], 0
	v_lshl_or_b32 v3, s13, 9, v0
	s_delay_alu instid0(VALU_DEP_1)
	v_cmp_gt_i32_e32 vcc_lo, s10, v3
	s_and_saveexec_b32 s10, vcc_lo
	s_cbranch_execz .LBB65_3
; %bb.2:
	v_mad_i64_i32 v[4:5], null, v3, s12, 0
	v_mad_i64_i32 v[6:7], null, v3, s11, 0
	s_delay_alu instid0(VALU_DEP_2) | instskip(NEXT) | instid1(VALU_DEP_2)
	v_lshlrev_b64 v[3:4], 3, v[4:5]
	v_lshlrev_b64 v[5:6], 3, v[6:7]
	s_delay_alu instid0(VALU_DEP_2) | instskip(NEXT) | instid1(VALU_DEP_3)
	v_add_co_u32 v3, vcc_lo, s6, v3
	v_add_co_ci_u32_e32 v4, vcc_lo, s7, v4, vcc_lo
	s_delay_alu instid0(VALU_DEP_3) | instskip(NEXT) | instid1(VALU_DEP_4)
	v_add_co_u32 v5, vcc_lo, s4, v5
	v_add_co_ci_u32_e32 v6, vcc_lo, s5, v6, vcc_lo
	global_load_b64 v[3:4], v[3:4], off
	global_load_b64 v[5:6], v[5:6], off
	s_waitcnt vmcnt(0)
	v_fma_f64 v[1:2], v[3:4], v[5:6], v[1:2]
.LBB65_3:
	s_or_b32 exec_lo, exec_lo, s10
.LBB65_4:
	s_delay_alu instid0(SALU_CYCLE_1) | instskip(SKIP_2) | instid1(VALU_DEP_2)
	s_or_b32 exec_lo, exec_lo, s2
	v_and_b32_e32 v10, 31, v0
	v_cmp_gt_u32_e32 vcc_lo, 32, v0
	v_lshlrev_b32_e32 v5, 3, v10
	s_and_saveexec_b32 s2, vcc_lo
	s_cbranch_execz .LBB65_6
; %bb.5:
	v_mov_b32_e32 v3, 0
	s_delay_alu instid0(VALU_DEP_1)
	v_mov_b32_e32 v4, v3
	ds_store_b64 v5, v[3:4]
.LBB65_6:
	s_or_b32 exec_lo, exec_lo, s2
	v_mbcnt_lo_u32_b32 v9, -1, 0
	s_mov_b32 s4, exec_lo
	s_waitcnt lgkmcnt(0)
	s_barrier
	buffer_gl0_inv
	v_cmp_gt_u32_e64 s2, 16, v9
	s_delay_alu instid0(VALU_DEP_1) | instskip(SKIP_1) | instid1(VALU_DEP_2)
	v_cndmask_b32_e64 v3, 0, 1, s2
	v_cmp_gt_u32_e64 s2, 24, v9
	v_lshlrev_b32_e32 v3, 4, v3
	s_delay_alu instid0(VALU_DEP_1)
	v_add_lshl_u32 v4, v3, v9, 2
	ds_bpermute_b32 v3, v4, v1
	ds_bpermute_b32 v4, v4, v2
	s_waitcnt lgkmcnt(0)
	v_add_f64 v[1:2], v[1:2], v[3:4]
	v_cndmask_b32_e64 v3, 0, 1, s2
	v_cmp_gt_u32_e64 s2, 28, v9
	s_delay_alu instid0(VALU_DEP_2) | instskip(NEXT) | instid1(VALU_DEP_1)
	v_lshlrev_b32_e32 v3, 3, v3
	v_add_lshl_u32 v6, v3, v9, 2
	ds_bpermute_b32 v3, v6, v1
	ds_bpermute_b32 v4, v6, v2
	s_waitcnt lgkmcnt(0)
	v_add_f64 v[1:2], v[1:2], v[3:4]
	v_cndmask_b32_e64 v3, 0, 1, s2
	v_cmp_gt_u32_e64 s2, 30, v9
	s_delay_alu instid0(VALU_DEP_2) | instskip(NEXT) | instid1(VALU_DEP_1)
	v_lshlrev_b32_e32 v3, 2, v3
	v_add_lshl_u32 v7, v3, v9, 2
	ds_bpermute_b32 v3, v7, v1
	ds_bpermute_b32 v4, v7, v2
	s_waitcnt lgkmcnt(0)
	v_add_f64 v[1:2], v[1:2], v[3:4]
	v_cndmask_b32_e64 v3, 0, 1, s2
	v_cmp_ne_u32_e64 s2, 31, v9
	s_delay_alu instid0(VALU_DEP_2) | instskip(NEXT) | instid1(VALU_DEP_1)
	v_lshlrev_b32_e32 v3, 1, v3
	v_add_lshl_u32 v8, v3, v9, 2
	ds_bpermute_b32 v3, v8, v1
	ds_bpermute_b32 v4, v8, v2
	s_waitcnt lgkmcnt(0)
	v_add_f64 v[1:2], v[1:2], v[3:4]
	v_add_co_ci_u32_e64 v3, s2, 0, v9, s2
	s_delay_alu instid0(VALU_DEP_1)
	v_lshlrev_b32_e32 v9, 2, v3
	ds_bpermute_b32 v3, v9, v1
	ds_bpermute_b32 v4, v9, v2
	v_cmpx_eq_u32_e32 0, v10
	s_cbranch_execz .LBB65_8
; %bb.7:
	s_waitcnt lgkmcnt(0)
	v_add_f64 v[1:2], v[1:2], v[3:4]
	v_lshrrev_b32_e32 v3, 2, v0
	s_delay_alu instid0(VALU_DEP_1)
	v_and_b32_e32 v3, 0x78, v3
	ds_store_b64 v3, v[1:2]
.LBB65_8:
	s_or_b32 exec_lo, exec_lo, s4
	v_mov_b32_e32 v1, 0
	v_mov_b32_e32 v2, 0
	s_mov_b32 s4, exec_lo
	s_waitcnt lgkmcnt(0)
	s_barrier
	buffer_gl0_inv
	v_cmpx_gt_u32_e32 16, v0
	s_cbranch_execz .LBB65_10
; %bb.9:
	ds_load_b64 v[1:2], v5
.LBB65_10:
	s_or_b32 exec_lo, exec_lo, s4
	s_and_saveexec_b32 s2, vcc_lo
	s_cbranch_execz .LBB65_12
; %bb.11:
	s_waitcnt lgkmcnt(0)
	ds_bpermute_b32 v3, v6, v1
	ds_bpermute_b32 v4, v6, v2
	s_waitcnt lgkmcnt(0)
	v_add_f64 v[1:2], v[1:2], v[3:4]
	ds_bpermute_b32 v3, v7, v1
	ds_bpermute_b32 v4, v7, v2
	s_waitcnt lgkmcnt(0)
	v_add_f64 v[1:2], v[1:2], v[3:4]
	;; [unrolled: 4-line block ×4, first 2 shown]
.LBB65_12:
	s_or_b32 exec_lo, exec_lo, s2
	s_delay_alu instid0(SALU_CYCLE_1)
	s_mov_b32 s2, exec_lo
	v_cmpx_eq_u32_e32 0, v0
	s_cbranch_execz .LBB65_18
; %bb.13:
	s_cmp_lg_u32 s3, 1
	s_cbranch_scc0 .LBB65_15
; %bb.14:
	s_load_b64 s[4:5], s[0:1], 0x50
	s_mul_hi_u32 s7, s3, s8
	s_mul_i32 s6, s3, s8
	s_mov_b32 s15, 0
	s_lshl_b64 s[2:3], s[6:7], 3
	s_waitcnt lgkmcnt(0)
	s_add_u32 s4, s4, s2
	s_addc_u32 s5, s5, s3
	s_lshl_b64 s[2:3], s[14:15], 3
	s_delay_alu instid0(SALU_CYCLE_1)
	s_add_u32 s2, s4, s2
	s_addc_u32 s3, s5, s3
	s_cbranch_execz .LBB65_16
	s_branch .LBB65_17
.LBB65_15:
                                        ; implicit-def: $sgpr2_sgpr3
.LBB65_16:
	s_load_b64 s[0:1], s[0:1], 0x58
	s_lshl_b64 s[2:3], s[8:9], 3
	s_waitcnt lgkmcnt(0)
	s_add_u32 s2, s0, s2
	s_addc_u32 s3, s1, s3
.LBB65_17:
	v_mov_b32_e32 v0, 0
	s_waitcnt lgkmcnt(0)
	global_store_b64 v0, v[1:2], s[2:3]
.LBB65_18:
	s_nop 0
	s_sendmsg sendmsg(MSG_DEALLOC_VGPRS)
	s_endpgm
	.section	.rodata,"a",@progbits
	.p2align	6, 0x0
	.amdhsa_kernel _ZL18rocblas_dot_kernelIiLb0ELi512ELi2ELb0EdPKddEviT5_lT_lS2_lS3_liPT6_PT4_
		.amdhsa_group_segment_fixed_size 256
		.amdhsa_private_segment_fixed_size 0
		.amdhsa_kernarg_size 352
		.amdhsa_user_sgpr_count 14
		.amdhsa_user_sgpr_dispatch_ptr 0
		.amdhsa_user_sgpr_queue_ptr 0
		.amdhsa_user_sgpr_kernarg_segment_ptr 1
		.amdhsa_user_sgpr_dispatch_id 0
		.amdhsa_user_sgpr_private_segment_size 0
		.amdhsa_wavefront_size32 1
		.amdhsa_uses_dynamic_stack 0
		.amdhsa_enable_private_segment 0
		.amdhsa_system_sgpr_workgroup_id_x 1
		.amdhsa_system_sgpr_workgroup_id_y 0
		.amdhsa_system_sgpr_workgroup_id_z 1
		.amdhsa_system_sgpr_workgroup_info 0
		.amdhsa_system_vgpr_workitem_id 0
		.amdhsa_next_free_vgpr 11
		.amdhsa_next_free_sgpr 24
		.amdhsa_reserve_vcc 1
		.amdhsa_float_round_mode_32 0
		.amdhsa_float_round_mode_16_64 0
		.amdhsa_float_denorm_mode_32 3
		.amdhsa_float_denorm_mode_16_64 3
		.amdhsa_dx10_clamp 1
		.amdhsa_ieee_mode 1
		.amdhsa_fp16_overflow 0
		.amdhsa_workgroup_processor_mode 1
		.amdhsa_memory_ordered 1
		.amdhsa_forward_progress 0
		.amdhsa_shared_vgpr_count 0
		.amdhsa_exception_fp_ieee_invalid_op 0
		.amdhsa_exception_fp_denorm_src 0
		.amdhsa_exception_fp_ieee_div_zero 0
		.amdhsa_exception_fp_ieee_overflow 0
		.amdhsa_exception_fp_ieee_underflow 0
		.amdhsa_exception_fp_ieee_inexact 0
		.amdhsa_exception_int_div_zero 0
	.end_amdhsa_kernel
	.section	.text._ZL18rocblas_dot_kernelIiLb0ELi512ELi2ELb0EdPKddEviT5_lT_lS2_lS3_liPT6_PT4_,"axG",@progbits,_ZL18rocblas_dot_kernelIiLb0ELi512ELi2ELb0EdPKddEviT5_lT_lS2_lS3_liPT6_PT4_,comdat
.Lfunc_end65:
	.size	_ZL18rocblas_dot_kernelIiLb0ELi512ELi2ELb0EdPKddEviT5_lT_lS2_lS3_liPT6_PT4_, .Lfunc_end65-_ZL18rocblas_dot_kernelIiLb0ELi512ELi2ELb0EdPKddEviT5_lT_lS2_lS3_liPT6_PT4_
                                        ; -- End function
	.section	.AMDGPU.csdata,"",@progbits
; Kernel info:
; codeLenInByte = 1140
; NumSgprs: 26
; NumVgprs: 11
; ScratchSize: 0
; MemoryBound: 0
; FloatMode: 240
; IeeeMode: 1
; LDSByteSize: 256 bytes/workgroup (compile time only)
; SGPRBlocks: 3
; VGPRBlocks: 1
; NumSGPRsForWavesPerEU: 26
; NumVGPRsForWavesPerEU: 11
; Occupancy: 16
; WaveLimiterHint : 0
; COMPUTE_PGM_RSRC2:SCRATCH_EN: 0
; COMPUTE_PGM_RSRC2:USER_SGPR: 14
; COMPUTE_PGM_RSRC2:TRAP_HANDLER: 0
; COMPUTE_PGM_RSRC2:TGID_X_EN: 1
; COMPUTE_PGM_RSRC2:TGID_Y_EN: 0
; COMPUTE_PGM_RSRC2:TGID_Z_EN: 1
; COMPUTE_PGM_RSRC2:TIDIG_COMP_CNT: 0
	.section	.text._ZL24rocblas_dot_kernel_magsqIiLb0ELi512ELi2ELb0EdPKddEviT5_lT_liPT6_PT4_,"axG",@progbits,_ZL24rocblas_dot_kernel_magsqIiLb0ELi512ELi2ELb0EdPKddEviT5_lT_liPT6_PT4_,comdat
	.globl	_ZL24rocblas_dot_kernel_magsqIiLb0ELi512ELi2ELb0EdPKddEviT5_lT_liPT6_PT4_ ; -- Begin function _ZL24rocblas_dot_kernel_magsqIiLb0ELi512ELi2ELb0EdPKddEviT5_lT_liPT6_PT4_
	.p2align	8
	.type	_ZL24rocblas_dot_kernel_magsqIiLb0ELi512ELi2ELb0EdPKddEviT5_lT_liPT6_PT4_,@function
_ZL24rocblas_dot_kernel_magsqIiLb0ELi512ELi2ELb0EdPKddEviT5_lT_liPT6_PT4_: ; @_ZL24rocblas_dot_kernel_magsqIiLb0ELi512ELi2ELb0EdPKddEviT5_lT_liPT6_PT4_
; %bb.0:
	s_clause 0x1
	s_load_b32 s6, s[0:1], 0x0
	s_load_b32 s3, s[0:1], 0x40
	v_mov_b32_e32 v1, 0
	v_lshl_or_b32 v3, s14, 9, v0
	v_mov_b32_e32 v2, 0
	s_mov_b32 s4, s15
	s_mov_b32 s5, 0
	s_mov_b32 s2, exec_lo
	s_waitcnt lgkmcnt(0)
	v_cmpx_gt_i32_e64 s6, v3
	s_cbranch_execz .LBB66_4
; %bb.1:
	s_clause 0x2
	s_load_b64 s[12:13], s[0:1], 0x20
	s_load_b32 s7, s[0:1], 0x18
	s_load_b128 s[8:11], s[0:1], 0x8
	s_waitcnt lgkmcnt(0)
	s_mul_i32 s13, s4, s13
	v_mad_i64_i32 v[1:2], null, v3, s7, 0
	s_mul_hi_u32 s15, s4, s12
	s_mul_i32 s12, s4, s12
	s_add_i32 s13, s15, s13
	s_delay_alu instid0(SALU_CYCLE_1) | instskip(NEXT) | instid1(SALU_CYCLE_1)
	s_lshl_b64 s[12:13], s[12:13], 3
	s_add_u32 s12, s8, s12
	s_delay_alu instid0(VALU_DEP_1) | instskip(SKIP_2) | instid1(SALU_CYCLE_1)
	v_lshlrev_b64 v[1:2], 3, v[1:2]
	s_addc_u32 s13, s9, s13
	s_lshl_b64 s[8:9], s[10:11], 3
	s_add_u32 s8, s12, s8
	s_addc_u32 s9, s13, s9
	s_delay_alu instid0(VALU_DEP_1) | instskip(SKIP_2) | instid1(SALU_CYCLE_1)
	v_add_co_u32 v1, vcc_lo, s8, v1
	v_add_co_ci_u32_e32 v2, vcc_lo, s9, v2, vcc_lo
	s_add_i32 s10, s14, s3
	v_lshl_or_b32 v3, s10, 9, v0
	global_load_b64 v[1:2], v[1:2], off
	v_cmp_gt_i32_e32 vcc_lo, s6, v3
	s_waitcnt vmcnt(0)
	v_mul_f64 v[1:2], v[1:2], v[1:2]
	s_and_saveexec_b32 s6, vcc_lo
	s_cbranch_execz .LBB66_3
; %bb.2:
	v_mad_i64_i32 v[4:5], null, v3, s7, 0
	s_delay_alu instid0(VALU_DEP_1) | instskip(NEXT) | instid1(VALU_DEP_1)
	v_lshlrev_b64 v[3:4], 3, v[4:5]
	v_add_co_u32 v3, vcc_lo, s8, v3
	s_delay_alu instid0(VALU_DEP_2)
	v_add_co_ci_u32_e32 v4, vcc_lo, s9, v4, vcc_lo
	global_load_b64 v[3:4], v[3:4], off
	s_waitcnt vmcnt(0)
	v_fma_f64 v[1:2], v[3:4], v[3:4], v[1:2]
.LBB66_3:
	s_or_b32 exec_lo, exec_lo, s6
.LBB66_4:
	s_delay_alu instid0(SALU_CYCLE_1) | instskip(SKIP_2) | instid1(VALU_DEP_2)
	s_or_b32 exec_lo, exec_lo, s2
	v_and_b32_e32 v10, 31, v0
	v_cmp_gt_u32_e32 vcc_lo, 32, v0
	v_lshlrev_b32_e32 v5, 3, v10
	s_and_saveexec_b32 s2, vcc_lo
	s_cbranch_execz .LBB66_6
; %bb.5:
	v_mov_b32_e32 v3, 0
	s_delay_alu instid0(VALU_DEP_1)
	v_mov_b32_e32 v4, v3
	ds_store_b64 v5, v[3:4]
.LBB66_6:
	s_or_b32 exec_lo, exec_lo, s2
	v_mbcnt_lo_u32_b32 v9, -1, 0
	s_mov_b32 s6, exec_lo
	s_waitcnt lgkmcnt(0)
	s_barrier
	buffer_gl0_inv
	v_cmp_gt_u32_e64 s2, 16, v9
	s_delay_alu instid0(VALU_DEP_1) | instskip(SKIP_1) | instid1(VALU_DEP_2)
	v_cndmask_b32_e64 v3, 0, 1, s2
	v_cmp_gt_u32_e64 s2, 24, v9
	v_lshlrev_b32_e32 v3, 4, v3
	s_delay_alu instid0(VALU_DEP_1)
	v_add_lshl_u32 v4, v3, v9, 2
	ds_bpermute_b32 v3, v4, v1
	ds_bpermute_b32 v4, v4, v2
	s_waitcnt lgkmcnt(0)
	v_add_f64 v[1:2], v[1:2], v[3:4]
	v_cndmask_b32_e64 v3, 0, 1, s2
	v_cmp_gt_u32_e64 s2, 28, v9
	s_delay_alu instid0(VALU_DEP_2) | instskip(NEXT) | instid1(VALU_DEP_1)
	v_lshlrev_b32_e32 v3, 3, v3
	v_add_lshl_u32 v6, v3, v9, 2
	ds_bpermute_b32 v3, v6, v1
	ds_bpermute_b32 v4, v6, v2
	s_waitcnt lgkmcnt(0)
	v_add_f64 v[1:2], v[1:2], v[3:4]
	v_cndmask_b32_e64 v3, 0, 1, s2
	v_cmp_gt_u32_e64 s2, 30, v9
	s_delay_alu instid0(VALU_DEP_2) | instskip(NEXT) | instid1(VALU_DEP_1)
	v_lshlrev_b32_e32 v3, 2, v3
	v_add_lshl_u32 v7, v3, v9, 2
	ds_bpermute_b32 v3, v7, v1
	ds_bpermute_b32 v4, v7, v2
	s_waitcnt lgkmcnt(0)
	v_add_f64 v[1:2], v[1:2], v[3:4]
	v_cndmask_b32_e64 v3, 0, 1, s2
	v_cmp_ne_u32_e64 s2, 31, v9
	s_delay_alu instid0(VALU_DEP_2) | instskip(NEXT) | instid1(VALU_DEP_1)
	v_lshlrev_b32_e32 v3, 1, v3
	v_add_lshl_u32 v8, v3, v9, 2
	ds_bpermute_b32 v3, v8, v1
	ds_bpermute_b32 v4, v8, v2
	s_waitcnt lgkmcnt(0)
	v_add_f64 v[1:2], v[1:2], v[3:4]
	v_add_co_ci_u32_e64 v3, s2, 0, v9, s2
	s_delay_alu instid0(VALU_DEP_1)
	v_lshlrev_b32_e32 v9, 2, v3
	ds_bpermute_b32 v3, v9, v1
	ds_bpermute_b32 v4, v9, v2
	v_cmpx_eq_u32_e32 0, v10
	s_cbranch_execz .LBB66_8
; %bb.7:
	s_waitcnt lgkmcnt(0)
	v_add_f64 v[1:2], v[1:2], v[3:4]
	v_lshrrev_b32_e32 v3, 2, v0
	s_delay_alu instid0(VALU_DEP_1)
	v_and_b32_e32 v3, 0x78, v3
	ds_store_b64 v3, v[1:2]
.LBB66_8:
	s_or_b32 exec_lo, exec_lo, s6
	v_mov_b32_e32 v1, 0
	v_mov_b32_e32 v2, 0
	s_mov_b32 s6, exec_lo
	s_waitcnt lgkmcnt(0)
	s_barrier
	buffer_gl0_inv
	v_cmpx_gt_u32_e32 16, v0
	s_cbranch_execz .LBB66_10
; %bb.9:
	ds_load_b64 v[1:2], v5
.LBB66_10:
	s_or_b32 exec_lo, exec_lo, s6
	s_and_saveexec_b32 s2, vcc_lo
	s_cbranch_execz .LBB66_12
; %bb.11:
	s_waitcnt lgkmcnt(0)
	ds_bpermute_b32 v3, v6, v1
	ds_bpermute_b32 v4, v6, v2
	s_waitcnt lgkmcnt(0)
	v_add_f64 v[1:2], v[1:2], v[3:4]
	ds_bpermute_b32 v3, v7, v1
	ds_bpermute_b32 v4, v7, v2
	s_waitcnt lgkmcnt(0)
	v_add_f64 v[1:2], v[1:2], v[3:4]
	;; [unrolled: 4-line block ×4, first 2 shown]
.LBB66_12:
	s_or_b32 exec_lo, exec_lo, s2
	s_delay_alu instid0(SALU_CYCLE_1)
	s_mov_b32 s2, exec_lo
	v_cmpx_eq_u32_e32 0, v0
	s_cbranch_execz .LBB66_18
; %bb.13:
	s_cmp_lg_u32 s3, 1
	s_cbranch_scc0 .LBB66_15
; %bb.14:
	s_load_b64 s[6:7], s[0:1], 0x30
	s_mul_hi_u32 s9, s3, s4
	s_mul_i32 s8, s3, s4
	s_mov_b32 s15, 0
	s_lshl_b64 s[2:3], s[8:9], 3
	s_waitcnt lgkmcnt(0)
	s_add_u32 s6, s6, s2
	s_addc_u32 s7, s7, s3
	s_lshl_b64 s[2:3], s[14:15], 3
	s_delay_alu instid0(SALU_CYCLE_1)
	s_add_u32 s2, s6, s2
	s_addc_u32 s3, s7, s3
	s_cbranch_execz .LBB66_16
	s_branch .LBB66_17
.LBB66_15:
                                        ; implicit-def: $sgpr2_sgpr3
.LBB66_16:
	s_load_b64 s[0:1], s[0:1], 0x38
	s_lshl_b64 s[2:3], s[4:5], 3
	s_waitcnt lgkmcnt(0)
	s_add_u32 s2, s0, s2
	s_addc_u32 s3, s1, s3
.LBB66_17:
	v_mov_b32_e32 v0, 0
	s_waitcnt lgkmcnt(0)
	global_store_b64 v0, v[1:2], s[2:3]
.LBB66_18:
	s_nop 0
	s_sendmsg sendmsg(MSG_DEALLOC_VGPRS)
	s_endpgm
	.section	.rodata,"a",@progbits
	.p2align	6, 0x0
	.amdhsa_kernel _ZL24rocblas_dot_kernel_magsqIiLb0ELi512ELi2ELb0EdPKddEviT5_lT_liPT6_PT4_
		.amdhsa_group_segment_fixed_size 256
		.amdhsa_private_segment_fixed_size 0
		.amdhsa_kernarg_size 320
		.amdhsa_user_sgpr_count 14
		.amdhsa_user_sgpr_dispatch_ptr 0
		.amdhsa_user_sgpr_queue_ptr 0
		.amdhsa_user_sgpr_kernarg_segment_ptr 1
		.amdhsa_user_sgpr_dispatch_id 0
		.amdhsa_user_sgpr_private_segment_size 0
		.amdhsa_wavefront_size32 1
		.amdhsa_uses_dynamic_stack 0
		.amdhsa_enable_private_segment 0
		.amdhsa_system_sgpr_workgroup_id_x 1
		.amdhsa_system_sgpr_workgroup_id_y 0
		.amdhsa_system_sgpr_workgroup_id_z 1
		.amdhsa_system_sgpr_workgroup_info 0
		.amdhsa_system_vgpr_workitem_id 0
		.amdhsa_next_free_vgpr 11
		.amdhsa_next_free_sgpr 16
		.amdhsa_reserve_vcc 1
		.amdhsa_float_round_mode_32 0
		.amdhsa_float_round_mode_16_64 0
		.amdhsa_float_denorm_mode_32 3
		.amdhsa_float_denorm_mode_16_64 3
		.amdhsa_dx10_clamp 1
		.amdhsa_ieee_mode 1
		.amdhsa_fp16_overflow 0
		.amdhsa_workgroup_processor_mode 1
		.amdhsa_memory_ordered 1
		.amdhsa_forward_progress 0
		.amdhsa_shared_vgpr_count 0
		.amdhsa_exception_fp_ieee_invalid_op 0
		.amdhsa_exception_fp_denorm_src 0
		.amdhsa_exception_fp_ieee_div_zero 0
		.amdhsa_exception_fp_ieee_overflow 0
		.amdhsa_exception_fp_ieee_underflow 0
		.amdhsa_exception_fp_ieee_inexact 0
		.amdhsa_exception_int_div_zero 0
	.end_amdhsa_kernel
	.section	.text._ZL24rocblas_dot_kernel_magsqIiLb0ELi512ELi2ELb0EdPKddEviT5_lT_liPT6_PT4_,"axG",@progbits,_ZL24rocblas_dot_kernel_magsqIiLb0ELi512ELi2ELb0EdPKddEviT5_lT_liPT6_PT4_,comdat
.Lfunc_end66:
	.size	_ZL24rocblas_dot_kernel_magsqIiLb0ELi512ELi2ELb0EdPKddEviT5_lT_liPT6_PT4_, .Lfunc_end66-_ZL24rocblas_dot_kernel_magsqIiLb0ELi512ELi2ELb0EdPKddEviT5_lT_liPT6_PT4_
                                        ; -- End function
	.section	.AMDGPU.csdata,"",@progbits
; Kernel info:
; codeLenInByte = 1004
; NumSgprs: 18
; NumVgprs: 11
; ScratchSize: 0
; MemoryBound: 0
; FloatMode: 240
; IeeeMode: 1
; LDSByteSize: 256 bytes/workgroup (compile time only)
; SGPRBlocks: 2
; VGPRBlocks: 1
; NumSGPRsForWavesPerEU: 18
; NumVGPRsForWavesPerEU: 11
; Occupancy: 16
; WaveLimiterHint : 0
; COMPUTE_PGM_RSRC2:SCRATCH_EN: 0
; COMPUTE_PGM_RSRC2:USER_SGPR: 14
; COMPUTE_PGM_RSRC2:TRAP_HANDLER: 0
; COMPUTE_PGM_RSRC2:TGID_X_EN: 1
; COMPUTE_PGM_RSRC2:TGID_Y_EN: 0
; COMPUTE_PGM_RSRC2:TGID_Z_EN: 1
; COMPUTE_PGM_RSRC2:TIDIG_COMP_CNT: 0
	.section	.text._ZL28rocblas_dot_batched_4_kernelIlLi32ELi4ELb0EddPKdEviT5_lT_lS2_lS3_liPT4_,"axG",@progbits,_ZL28rocblas_dot_batched_4_kernelIlLi32ELi4ELb0EddPKdEviT5_lT_lS2_lS3_liPT4_,comdat
	.globl	_ZL28rocblas_dot_batched_4_kernelIlLi32ELi4ELb0EddPKdEviT5_lT_lS2_lS3_liPT4_ ; -- Begin function _ZL28rocblas_dot_batched_4_kernelIlLi32ELi4ELb0EddPKdEviT5_lT_lS2_lS3_liPT4_
	.p2align	8
	.type	_ZL28rocblas_dot_batched_4_kernelIlLi32ELi4ELb0EddPKdEviT5_lT_lS2_lS3_liPT4_,@function
_ZL28rocblas_dot_batched_4_kernelIlLi32ELi4ELb0EddPKdEviT5_lT_lS2_lS3_liPT4_: ; @_ZL28rocblas_dot_batched_4_kernelIlLi32ELi4ELb0EddPKdEviT5_lT_lS2_lS3_liPT4_
; %bb.0:
	s_load_b32 s2, s[0:1], 0x48
	v_bfe_u32 v1, v0, 10, 10
	s_delay_alu instid0(VALU_DEP_1) | instskip(SKIP_1) | instid1(VALU_DEP_1)
	v_lshl_add_u32 v1, s15, 2, v1
	s_waitcnt lgkmcnt(0)
	v_cmp_gt_u32_e32 vcc_lo, s2, v1
	s_and_saveexec_b32 s2, vcc_lo
	s_cbranch_execz .LBB67_7
; %bb.1:
	s_clause 0x1
	s_load_b32 s16, s[0:1], 0x0
	s_load_b64 s[2:3], s[0:1], 0x50
	v_dual_mov_b32 v3, 0 :: v_dual_and_b32 v0, 0x3ff, v0
	v_mov_b32_e32 v2, 0
	v_mov_b32_e32 v4, 0
	s_mov_b32 s17, exec_lo
	s_waitcnt lgkmcnt(0)
	v_cmpx_gt_i32_e64 s16, v0
	s_cbranch_execz .LBB67_5
; %bb.2:
	s_clause 0x3
	s_load_b128 s[12:15], s[0:1], 0x10
	s_load_b256 s[4:11], s[0:1], 0x20
	s_load_b64 s[18:19], s[0:1], 0x40
	s_load_b64 s[0:1], s[0:1], 0x8
	s_waitcnt lgkmcnt(0)
	v_mad_u64_u32 v[5:6], null, s14, v0, 0
	v_mad_u64_u32 v[7:8], null, s4, v1, 0
	;; [unrolled: 1-line block ×4, first 2 shown]
	s_lshl_b64 s[12:13], s[12:13], 3
	s_delay_alu instid0(VALU_DEP_3) | instskip(NEXT) | instid1(VALU_DEP_3)
	v_mad_u64_u32 v[13:14], null, s15, v0, v[6:7]
	v_mad_u64_u32 v[14:15], null, s5, v1, v[8:9]
	s_delay_alu instid0(VALU_DEP_3) | instskip(SKIP_2) | instid1(VALU_DEP_4)
	v_mad_u64_u32 v[15:16], null, s11, v0, v[10:11]
	v_mov_b32_e32 v3, 0
	s_add_u32 s12, s0, s12
	v_mov_b32_e32 v6, v13
	v_mad_u64_u32 v[16:17], null, s19, v1, v[12:13]
	v_mov_b32_e32 v8, v14
	v_mov_b32_e32 v10, v15
	s_delay_alu instid0(VALU_DEP_4)
	v_lshlrev_b64 v[5:6], 3, v[5:6]
	s_addc_u32 s13, s1, s13
	s_lshl_b64 s[0:1], s[8:9], 3
	v_lshlrev_b64 v[7:8], 3, v[7:8]
	v_mov_b32_e32 v12, v16
	v_lshlrev_b64 v[9:10], 3, v[9:10]
	s_lshl_b64 s[4:5], s[14:15], 8
	s_add_u32 s0, s6, s0
	s_addc_u32 s1, s7, s1
	v_lshlrev_b64 v[11:12], 3, v[11:12]
	v_add_co_u32 v5, vcc_lo, v5, v7
	v_add_co_ci_u32_e32 v6, vcc_lo, v6, v8, vcc_lo
	v_mov_b32_e32 v4, 0
	s_delay_alu instid0(VALU_DEP_4)
	v_add_co_u32 v7, vcc_lo, v9, v11
	v_mov_b32_e32 v9, v0
	v_add_co_ci_u32_e32 v8, vcc_lo, v10, v12, vcc_lo
	v_add_co_u32 v5, vcc_lo, s12, v5
	v_add_co_ci_u32_e32 v6, vcc_lo, s13, v6, vcc_lo
	v_add_co_u32 v7, vcc_lo, s0, v7
	s_delay_alu instid0(VALU_DEP_4)
	v_add_co_ci_u32_e32 v8, vcc_lo, s1, v8, vcc_lo
	s_lshl_b64 s[6:7], s[10:11], 8
	s_mov_b32 s1, 0
	.p2align	6
.LBB67_3:                               ; =>This Inner Loop Header: Depth=1
	global_load_b64 v[10:11], v[5:6], off
	global_load_b64 v[12:13], v[7:8], off
	v_add_nc_u32_e32 v9, 32, v9
	v_add_co_u32 v5, vcc_lo, v5, s4
	v_add_co_ci_u32_e32 v6, vcc_lo, s5, v6, vcc_lo
	s_delay_alu instid0(VALU_DEP_3) | instskip(SKIP_1) | instid1(VALU_DEP_1)
	v_cmp_le_i32_e32 vcc_lo, s16, v9
	v_add_co_u32 v7, s0, v7, s6
	v_add_co_ci_u32_e64 v8, s0, s7, v8, s0
	s_or_b32 s1, vcc_lo, s1
	s_waitcnt vmcnt(0)
	v_fma_f64 v[3:4], v[10:11], v[12:13], v[3:4]
	s_and_not1_b32 exec_lo, exec_lo, s1
	s_cbranch_execnz .LBB67_3
; %bb.4:
	s_or_b32 exec_lo, exec_lo, s1
.LBB67_5:
	s_delay_alu instid0(SALU_CYCLE_1)
	s_or_b32 exec_lo, exec_lo, s17
	v_mbcnt_lo_u32_b32 v7, -1, 0
	s_barrier
	buffer_gl0_inv
	v_cmp_gt_u32_e32 vcc_lo, 16, v7
	v_cndmask_b32_e64 v5, 0, 1, vcc_lo
	v_cmp_gt_u32_e32 vcc_lo, 24, v7
	s_delay_alu instid0(VALU_DEP_2) | instskip(NEXT) | instid1(VALU_DEP_1)
	v_lshlrev_b32_e32 v5, 4, v5
	v_add_lshl_u32 v6, v5, v7, 2
	ds_bpermute_b32 v5, v6, v3
	ds_bpermute_b32 v6, v6, v4
	s_waitcnt lgkmcnt(0)
	v_add_f64 v[3:4], v[3:4], v[5:6]
	v_cndmask_b32_e64 v5, 0, 1, vcc_lo
	v_cmp_gt_u32_e32 vcc_lo, 28, v7
	s_delay_alu instid0(VALU_DEP_2) | instskip(NEXT) | instid1(VALU_DEP_1)
	v_lshlrev_b32_e32 v5, 3, v5
	v_add_lshl_u32 v6, v5, v7, 2
	ds_bpermute_b32 v5, v6, v3
	ds_bpermute_b32 v6, v6, v4
	s_waitcnt lgkmcnt(0)
	v_add_f64 v[3:4], v[3:4], v[5:6]
	;; [unrolled: 9-line block ×3, first 2 shown]
	v_cndmask_b32_e64 v5, 0, 1, vcc_lo
	v_cmp_ne_u32_e32 vcc_lo, 31, v7
	s_delay_alu instid0(VALU_DEP_2) | instskip(NEXT) | instid1(VALU_DEP_1)
	v_lshlrev_b32_e32 v5, 1, v5
	v_add_lshl_u32 v6, v5, v7, 2
	ds_bpermute_b32 v5, v6, v3
	ds_bpermute_b32 v6, v6, v4
	s_waitcnt lgkmcnt(0)
	v_add_f64 v[3:4], v[3:4], v[5:6]
	v_add_co_ci_u32_e32 v5, vcc_lo, 0, v7, vcc_lo
	v_cmp_eq_u32_e32 vcc_lo, 0, v0
	s_delay_alu instid0(VALU_DEP_2)
	v_lshlrev_b32_e32 v6, 2, v5
	ds_bpermute_b32 v5, v6, v3
	ds_bpermute_b32 v6, v6, v4
	s_and_b32 exec_lo, exec_lo, vcc_lo
	s_cbranch_execz .LBB67_7
; %bb.6:
	s_waitcnt lgkmcnt(0)
	v_add_f64 v[3:4], v[3:4], v[5:6]
	v_lshlrev_b64 v[0:1], 3, v[1:2]
	s_delay_alu instid0(VALU_DEP_1) | instskip(NEXT) | instid1(VALU_DEP_2)
	v_add_co_u32 v0, vcc_lo, s2, v0
	v_add_co_ci_u32_e32 v1, vcc_lo, s3, v1, vcc_lo
	global_store_b64 v[0:1], v[3:4], off
.LBB67_7:
	s_nop 0
	s_sendmsg sendmsg(MSG_DEALLOC_VGPRS)
	s_endpgm
	.section	.rodata,"a",@progbits
	.p2align	6, 0x0
	.amdhsa_kernel _ZL28rocblas_dot_batched_4_kernelIlLi32ELi4ELb0EddPKdEviT5_lT_lS2_lS3_liPT4_
		.amdhsa_group_segment_fixed_size 0
		.amdhsa_private_segment_fixed_size 0
		.amdhsa_kernarg_size 88
		.amdhsa_user_sgpr_count 15
		.amdhsa_user_sgpr_dispatch_ptr 0
		.amdhsa_user_sgpr_queue_ptr 0
		.amdhsa_user_sgpr_kernarg_segment_ptr 1
		.amdhsa_user_sgpr_dispatch_id 0
		.amdhsa_user_sgpr_private_segment_size 0
		.amdhsa_wavefront_size32 1
		.amdhsa_uses_dynamic_stack 0
		.amdhsa_enable_private_segment 0
		.amdhsa_system_sgpr_workgroup_id_x 1
		.amdhsa_system_sgpr_workgroup_id_y 0
		.amdhsa_system_sgpr_workgroup_id_z 0
		.amdhsa_system_sgpr_workgroup_info 0
		.amdhsa_system_vgpr_workitem_id 1
		.amdhsa_next_free_vgpr 18
		.amdhsa_next_free_sgpr 20
		.amdhsa_reserve_vcc 1
		.amdhsa_float_round_mode_32 0
		.amdhsa_float_round_mode_16_64 0
		.amdhsa_float_denorm_mode_32 3
		.amdhsa_float_denorm_mode_16_64 3
		.amdhsa_dx10_clamp 1
		.amdhsa_ieee_mode 1
		.amdhsa_fp16_overflow 0
		.amdhsa_workgroup_processor_mode 1
		.amdhsa_memory_ordered 1
		.amdhsa_forward_progress 0
		.amdhsa_shared_vgpr_count 0
		.amdhsa_exception_fp_ieee_invalid_op 0
		.amdhsa_exception_fp_denorm_src 0
		.amdhsa_exception_fp_ieee_div_zero 0
		.amdhsa_exception_fp_ieee_overflow 0
		.amdhsa_exception_fp_ieee_underflow 0
		.amdhsa_exception_fp_ieee_inexact 0
		.amdhsa_exception_int_div_zero 0
	.end_amdhsa_kernel
	.section	.text._ZL28rocblas_dot_batched_4_kernelIlLi32ELi4ELb0EddPKdEviT5_lT_lS2_lS3_liPT4_,"axG",@progbits,_ZL28rocblas_dot_batched_4_kernelIlLi32ELi4ELb0EddPKdEviT5_lT_lS2_lS3_liPT4_,comdat
.Lfunc_end67:
	.size	_ZL28rocblas_dot_batched_4_kernelIlLi32ELi4ELb0EddPKdEviT5_lT_lS2_lS3_liPT4_, .Lfunc_end67-_ZL28rocblas_dot_batched_4_kernelIlLi32ELi4ELb0EddPKdEviT5_lT_lS2_lS3_liPT4_
                                        ; -- End function
	.section	.AMDGPU.csdata,"",@progbits
; Kernel info:
; codeLenInByte = 808
; NumSgprs: 22
; NumVgprs: 18
; ScratchSize: 0
; MemoryBound: 0
; FloatMode: 240
; IeeeMode: 1
; LDSByteSize: 0 bytes/workgroup (compile time only)
; SGPRBlocks: 2
; VGPRBlocks: 2
; NumSGPRsForWavesPerEU: 22
; NumVGPRsForWavesPerEU: 18
; Occupancy: 16
; WaveLimiterHint : 0
; COMPUTE_PGM_RSRC2:SCRATCH_EN: 0
; COMPUTE_PGM_RSRC2:USER_SGPR: 15
; COMPUTE_PGM_RSRC2:TRAP_HANDLER: 0
; COMPUTE_PGM_RSRC2:TGID_X_EN: 1
; COMPUTE_PGM_RSRC2:TGID_Y_EN: 0
; COMPUTE_PGM_RSRC2:TGID_Z_EN: 0
; COMPUTE_PGM_RSRC2:TIDIG_COMP_CNT: 1
	.section	.text._ZL28rocblas_dot_batched_4_kernelIlLi64ELi4ELb0EddPKdEviT5_lT_lS2_lS3_liPT4_,"axG",@progbits,_ZL28rocblas_dot_batched_4_kernelIlLi64ELi4ELb0EddPKdEviT5_lT_lS2_lS3_liPT4_,comdat
	.globl	_ZL28rocblas_dot_batched_4_kernelIlLi64ELi4ELb0EddPKdEviT5_lT_lS2_lS3_liPT4_ ; -- Begin function _ZL28rocblas_dot_batched_4_kernelIlLi64ELi4ELb0EddPKdEviT5_lT_lS2_lS3_liPT4_
	.p2align	8
	.type	_ZL28rocblas_dot_batched_4_kernelIlLi64ELi4ELb0EddPKdEviT5_lT_lS2_lS3_liPT4_,@function
_ZL28rocblas_dot_batched_4_kernelIlLi64ELi4ELb0EddPKdEviT5_lT_lS2_lS3_liPT4_: ; @_ZL28rocblas_dot_batched_4_kernelIlLi64ELi4ELb0EddPKdEviT5_lT_lS2_lS3_liPT4_
; %bb.0:
	s_load_b32 s2, s[0:1], 0x48
	v_bfe_u32 v1, v0, 10, 10
	s_delay_alu instid0(VALU_DEP_1) | instskip(SKIP_1) | instid1(VALU_DEP_1)
	v_lshl_add_u32 v1, s15, 2, v1
	s_waitcnt lgkmcnt(0)
	v_cmp_gt_u32_e32 vcc_lo, s2, v1
	s_and_saveexec_b32 s2, vcc_lo
	s_cbranch_execz .LBB68_7
; %bb.1:
	s_clause 0x1
	s_load_b32 s16, s[0:1], 0x0
	s_load_b64 s[2:3], s[0:1], 0x50
	v_dual_mov_b32 v3, 0 :: v_dual_and_b32 v0, 0x3ff, v0
	v_mov_b32_e32 v2, 0
	v_mov_b32_e32 v4, 0
	s_mov_b32 s17, exec_lo
	s_waitcnt lgkmcnt(0)
	v_cmpx_gt_i32_e64 s16, v0
	s_cbranch_execz .LBB68_5
; %bb.2:
	s_clause 0x3
	s_load_b128 s[12:15], s[0:1], 0x10
	s_load_b256 s[4:11], s[0:1], 0x20
	s_load_b64 s[18:19], s[0:1], 0x40
	s_load_b64 s[0:1], s[0:1], 0x8
	s_waitcnt lgkmcnt(0)
	v_mad_u64_u32 v[5:6], null, s14, v0, 0
	v_mad_u64_u32 v[7:8], null, s4, v1, 0
	;; [unrolled: 1-line block ×4, first 2 shown]
	s_lshl_b64 s[12:13], s[12:13], 3
	s_delay_alu instid0(VALU_DEP_3) | instskip(NEXT) | instid1(VALU_DEP_3)
	v_mad_u64_u32 v[13:14], null, s15, v0, v[6:7]
	v_mad_u64_u32 v[14:15], null, s5, v1, v[8:9]
	s_delay_alu instid0(VALU_DEP_3) | instskip(SKIP_2) | instid1(VALU_DEP_4)
	v_mad_u64_u32 v[15:16], null, s11, v0, v[10:11]
	v_mov_b32_e32 v3, 0
	s_add_u32 s12, s0, s12
	v_mov_b32_e32 v6, v13
	v_mad_u64_u32 v[16:17], null, s19, v1, v[12:13]
	v_mov_b32_e32 v8, v14
	v_mov_b32_e32 v10, v15
	s_delay_alu instid0(VALU_DEP_4)
	v_lshlrev_b64 v[5:6], 3, v[5:6]
	s_addc_u32 s13, s1, s13
	s_lshl_b64 s[0:1], s[8:9], 3
	v_lshlrev_b64 v[7:8], 3, v[7:8]
	v_mov_b32_e32 v12, v16
	v_lshlrev_b64 v[9:10], 3, v[9:10]
	s_lshl_b64 s[4:5], s[14:15], 9
	s_add_u32 s0, s6, s0
	s_addc_u32 s1, s7, s1
	v_lshlrev_b64 v[11:12], 3, v[11:12]
	v_add_co_u32 v5, vcc_lo, v5, v7
	v_add_co_ci_u32_e32 v6, vcc_lo, v6, v8, vcc_lo
	v_mov_b32_e32 v4, 0
	s_delay_alu instid0(VALU_DEP_4)
	v_add_co_u32 v7, vcc_lo, v9, v11
	v_mov_b32_e32 v9, v0
	v_add_co_ci_u32_e32 v8, vcc_lo, v10, v12, vcc_lo
	v_add_co_u32 v5, vcc_lo, s12, v5
	v_add_co_ci_u32_e32 v6, vcc_lo, s13, v6, vcc_lo
	v_add_co_u32 v7, vcc_lo, s0, v7
	s_delay_alu instid0(VALU_DEP_4)
	v_add_co_ci_u32_e32 v8, vcc_lo, s1, v8, vcc_lo
	s_lshl_b64 s[6:7], s[10:11], 9
	s_mov_b32 s1, 0
	.p2align	6
.LBB68_3:                               ; =>This Inner Loop Header: Depth=1
	global_load_b64 v[10:11], v[5:6], off
	global_load_b64 v[12:13], v[7:8], off
	v_add_nc_u32_e32 v9, 64, v9
	v_add_co_u32 v5, vcc_lo, v5, s4
	v_add_co_ci_u32_e32 v6, vcc_lo, s5, v6, vcc_lo
	s_delay_alu instid0(VALU_DEP_3) | instskip(SKIP_1) | instid1(VALU_DEP_1)
	v_cmp_le_i32_e32 vcc_lo, s16, v9
	v_add_co_u32 v7, s0, v7, s6
	v_add_co_ci_u32_e64 v8, s0, s7, v8, s0
	s_or_b32 s1, vcc_lo, s1
	s_waitcnt vmcnt(0)
	v_fma_f64 v[3:4], v[10:11], v[12:13], v[3:4]
	s_and_not1_b32 exec_lo, exec_lo, s1
	s_cbranch_execnz .LBB68_3
; %bb.4:
	s_or_b32 exec_lo, exec_lo, s1
.LBB68_5:
	s_delay_alu instid0(SALU_CYCLE_1)
	s_or_b32 exec_lo, exec_lo, s17
	v_mbcnt_lo_u32_b32 v7, -1, 0
	s_barrier
	buffer_gl0_inv
	v_lshlrev_b32_e32 v6, 2, v7
	v_cmp_gt_u32_e32 vcc_lo, 16, v7
	ds_bpermute_b32 v5, v6, v3
	ds_bpermute_b32 v6, v6, v4
	s_waitcnt lgkmcnt(0)
	v_add_f64 v[3:4], v[3:4], v[5:6]
	v_cndmask_b32_e64 v5, 0, 1, vcc_lo
	v_cmp_gt_u32_e32 vcc_lo, 24, v7
	s_delay_alu instid0(VALU_DEP_2) | instskip(NEXT) | instid1(VALU_DEP_1)
	v_lshlrev_b32_e32 v5, 4, v5
	v_add_lshl_u32 v6, v5, v7, 2
	ds_bpermute_b32 v5, v6, v3
	ds_bpermute_b32 v6, v6, v4
	s_waitcnt lgkmcnt(0)
	v_add_f64 v[3:4], v[3:4], v[5:6]
	v_cndmask_b32_e64 v5, 0, 1, vcc_lo
	v_cmp_gt_u32_e32 vcc_lo, 28, v7
	s_delay_alu instid0(VALU_DEP_2) | instskip(NEXT) | instid1(VALU_DEP_1)
	v_lshlrev_b32_e32 v5, 3, v5
	v_add_lshl_u32 v6, v5, v7, 2
	;; [unrolled: 9-line block ×3, first 2 shown]
	ds_bpermute_b32 v5, v6, v3
	ds_bpermute_b32 v6, v6, v4
	s_waitcnt lgkmcnt(0)
	v_add_f64 v[3:4], v[3:4], v[5:6]
	v_cndmask_b32_e64 v5, 0, 1, vcc_lo
	v_cmp_ne_u32_e32 vcc_lo, 31, v7
	s_delay_alu instid0(VALU_DEP_2) | instskip(NEXT) | instid1(VALU_DEP_1)
	v_lshlrev_b32_e32 v5, 1, v5
	v_add_lshl_u32 v6, v5, v7, 2
	ds_bpermute_b32 v5, v6, v3
	ds_bpermute_b32 v6, v6, v4
	s_waitcnt lgkmcnt(0)
	v_add_f64 v[3:4], v[3:4], v[5:6]
	v_add_co_ci_u32_e32 v5, vcc_lo, 0, v7, vcc_lo
	v_cmp_eq_u32_e32 vcc_lo, 0, v0
	s_delay_alu instid0(VALU_DEP_2)
	v_lshlrev_b32_e32 v6, 2, v5
	ds_bpermute_b32 v5, v6, v3
	ds_bpermute_b32 v6, v6, v4
	s_and_b32 exec_lo, exec_lo, vcc_lo
	s_cbranch_execz .LBB68_7
; %bb.6:
	s_waitcnt lgkmcnt(0)
	v_add_f64 v[3:4], v[3:4], v[5:6]
	v_lshlrev_b64 v[0:1], 3, v[1:2]
	s_delay_alu instid0(VALU_DEP_1) | instskip(NEXT) | instid1(VALU_DEP_2)
	v_add_co_u32 v0, vcc_lo, s2, v0
	v_add_co_ci_u32_e32 v1, vcc_lo, s3, v1, vcc_lo
	global_store_b64 v[0:1], v[3:4], off
.LBB68_7:
	s_nop 0
	s_sendmsg sendmsg(MSG_DEALLOC_VGPRS)
	s_endpgm
	.section	.rodata,"a",@progbits
	.p2align	6, 0x0
	.amdhsa_kernel _ZL28rocblas_dot_batched_4_kernelIlLi64ELi4ELb0EddPKdEviT5_lT_lS2_lS3_liPT4_
		.amdhsa_group_segment_fixed_size 0
		.amdhsa_private_segment_fixed_size 0
		.amdhsa_kernarg_size 88
		.amdhsa_user_sgpr_count 15
		.amdhsa_user_sgpr_dispatch_ptr 0
		.amdhsa_user_sgpr_queue_ptr 0
		.amdhsa_user_sgpr_kernarg_segment_ptr 1
		.amdhsa_user_sgpr_dispatch_id 0
		.amdhsa_user_sgpr_private_segment_size 0
		.amdhsa_wavefront_size32 1
		.amdhsa_uses_dynamic_stack 0
		.amdhsa_enable_private_segment 0
		.amdhsa_system_sgpr_workgroup_id_x 1
		.amdhsa_system_sgpr_workgroup_id_y 0
		.amdhsa_system_sgpr_workgroup_id_z 0
		.amdhsa_system_sgpr_workgroup_info 0
		.amdhsa_system_vgpr_workitem_id 1
		.amdhsa_next_free_vgpr 18
		.amdhsa_next_free_sgpr 20
		.amdhsa_reserve_vcc 1
		.amdhsa_float_round_mode_32 0
		.amdhsa_float_round_mode_16_64 0
		.amdhsa_float_denorm_mode_32 3
		.amdhsa_float_denorm_mode_16_64 3
		.amdhsa_dx10_clamp 1
		.amdhsa_ieee_mode 1
		.amdhsa_fp16_overflow 0
		.amdhsa_workgroup_processor_mode 1
		.amdhsa_memory_ordered 1
		.amdhsa_forward_progress 0
		.amdhsa_shared_vgpr_count 0
		.amdhsa_exception_fp_ieee_invalid_op 0
		.amdhsa_exception_fp_denorm_src 0
		.amdhsa_exception_fp_ieee_div_zero 0
		.amdhsa_exception_fp_ieee_overflow 0
		.amdhsa_exception_fp_ieee_underflow 0
		.amdhsa_exception_fp_ieee_inexact 0
		.amdhsa_exception_int_div_zero 0
	.end_amdhsa_kernel
	.section	.text._ZL28rocblas_dot_batched_4_kernelIlLi64ELi4ELb0EddPKdEviT5_lT_lS2_lS3_liPT4_,"axG",@progbits,_ZL28rocblas_dot_batched_4_kernelIlLi64ELi4ELb0EddPKdEviT5_lT_lS2_lS3_liPT4_,comdat
.Lfunc_end68:
	.size	_ZL28rocblas_dot_batched_4_kernelIlLi64ELi4ELb0EddPKdEviT5_lT_lS2_lS3_liPT4_, .Lfunc_end68-_ZL28rocblas_dot_batched_4_kernelIlLi64ELi4ELb0EddPKdEviT5_lT_lS2_lS3_liPT4_
                                        ; -- End function
	.section	.AMDGPU.csdata,"",@progbits
; Kernel info:
; codeLenInByte = 840
; NumSgprs: 22
; NumVgprs: 18
; ScratchSize: 0
; MemoryBound: 0
; FloatMode: 240
; IeeeMode: 1
; LDSByteSize: 0 bytes/workgroup (compile time only)
; SGPRBlocks: 2
; VGPRBlocks: 2
; NumSGPRsForWavesPerEU: 22
; NumVGPRsForWavesPerEU: 18
; Occupancy: 16
; WaveLimiterHint : 0
; COMPUTE_PGM_RSRC2:SCRATCH_EN: 0
; COMPUTE_PGM_RSRC2:USER_SGPR: 15
; COMPUTE_PGM_RSRC2:TRAP_HANDLER: 0
; COMPUTE_PGM_RSRC2:TGID_X_EN: 1
; COMPUTE_PGM_RSRC2:TGID_Y_EN: 0
; COMPUTE_PGM_RSRC2:TGID_Z_EN: 0
; COMPUTE_PGM_RSRC2:TIDIG_COMP_CNT: 1
	.section	.text._ZL18rocblas_dot_kernelIlLb1ELi1024ELi32ELb0EdPKddEviT5_lT_lS2_lS3_liPT6_PT4_,"axG",@progbits,_ZL18rocblas_dot_kernelIlLb1ELi1024ELi32ELb0EdPKddEviT5_lT_lS2_lS3_liPT6_PT4_,comdat
	.globl	_ZL18rocblas_dot_kernelIlLb1ELi1024ELi32ELb0EdPKddEviT5_lT_lS2_lS3_liPT6_PT4_ ; -- Begin function _ZL18rocblas_dot_kernelIlLb1ELi1024ELi32ELb0EdPKddEviT5_lT_lS2_lS3_liPT6_PT4_
	.p2align	8
	.type	_ZL18rocblas_dot_kernelIlLb1ELi1024ELi32ELb0EdPKddEviT5_lT_lS2_lS3_liPT6_PT4_,@function
_ZL18rocblas_dot_kernelIlLb1ELi1024ELi32ELb0EdPKddEviT5_lT_lS2_lS3_liPT6_PT4_: ; @_ZL18rocblas_dot_kernelIlLb1ELi1024ELi32ELb0EdPKddEviT5_lT_lS2_lS3_liPT6_PT4_
; %bb.0:
	s_clause 0x1
	s_load_b32 s18, s[0:1], 0x0
	s_load_b64 s[2:3], s[0:1], 0x58
	v_mov_b32_e32 v1, 0
	v_mov_b32_e32 v2, 0
	s_mov_b32 s16, s15
	s_mov_b32 s17, 0
	s_mov_b32 s19, exec_lo
	s_waitcnt lgkmcnt(0)
	v_cmpx_gt_i32_e64 s18, v0
	s_cbranch_execz .LBB69_4
; %bb.1:
	s_clause 0x4
	s_load_b32 s24, s[0:1], 0x60
	s_load_b256 s[4:11], s[0:1], 0x20
	s_load_b128 s[12:15], s[0:1], 0x10
	s_load_b64 s[20:21], s[0:1], 0x40
	s_load_b64 s[22:23], s[0:1], 0x8
	s_waitcnt lgkmcnt(0)
	s_lshl_b32 s1, s24, 10
	v_mad_u64_u32 v[3:4], null, s10, v0, 0
	v_mad_u64_u32 v[1:2], null, s14, v0, 0
	s_mul_i32 s0, s5, s16
	s_mul_hi_u32 s5, s4, s16
	s_mul_i32 s4, s4, s16
	s_add_i32 s5, s5, s0
	s_lshl_b64 s[12:13], s[12:13], 3
	s_lshl_b64 s[4:5], s[4:5], 3
	s_delay_alu instid0(VALU_DEP_1)
	v_mad_u64_u32 v[5:6], null, s15, v0, v[2:3]
	s_add_u32 s12, s22, s12
	s_addc_u32 s13, s23, s13
	s_add_u32 s22, s12, s4
	s_addc_u32 s23, s13, s5
	s_ashr_i32 s27, s1, 31
	s_mul_hi_u32 s0, s14, s1
	s_delay_alu instid0(VALU_DEP_1)
	v_mad_u64_u32 v[8:9], null, s11, v0, v[4:5]
	v_mov_b32_e32 v2, v5
	s_mul_i32 s4, s14, s27
	s_mul_i32 s21, s21, s16
	s_mul_hi_u32 s25, s20, s16
	s_mul_i32 s26, s15, s1
	s_add_i32 s0, s0, s4
	s_delay_alu instid0(VALU_DEP_2)
	v_mov_b32_e32 v4, v8
	v_lshlrev_b64 v[1:2], 3, v[1:2]
	s_mul_i32 s20, s20, s16
	s_mul_i32 s24, s14, s1
	s_add_i32 s21, s25, s21
	s_add_i32 s25, s0, s26
	s_lshl_b64 s[8:9], s[8:9], 3
	v_lshlrev_b64 v[5:6], 3, v[3:4]
	s_lshl_b64 s[12:13], s[20:21], 3
	s_lshl_b64 s[4:5], s[24:25], 3
	s_add_u32 s0, s6, s8
	s_addc_u32 s6, s7, s9
	v_add_co_u32 v3, vcc_lo, s22, v1
	s_add_u32 s0, s0, s12
	s_mul_i32 s7, s10, s27
	s_mul_hi_u32 s8, s10, s1
	v_add_co_ci_u32_e32 v4, vcc_lo, s23, v2, vcc_lo
	v_mov_b32_e32 v1, 0
	s_addc_u32 s9, s6, s13
	v_add_co_u32 v5, vcc_lo, s0, v5
	s_add_i32 s6, s8, s7
	s_mul_i32 s7, s11, s1
	v_or_b32_e32 v7, s1, v0
	v_mov_b32_e32 v2, 0
	v_add_co_ci_u32_e32 v6, vcc_lo, s9, v6, vcc_lo
	s_add_i32 s7, s6, s7
	s_mul_i32 s6, s10, s1
	s_mov_b32 s8, s17
	s_lshl_b64 s[6:7], s[6:7], 3
	s_mov_b32 s9, s17
	.p2align	6
.LBB69_2:                               ; =>This Inner Loop Header: Depth=1
	global_load_b64 v[8:9], v[5:6], off
	global_load_b64 v[10:11], v[3:4], off
	s_add_i32 s10, s9, 1
	v_cmp_le_i32_e32 vcc_lo, s18, v7
	v_add_co_u32 v3, s0, v3, s4
	s_cmp_gt_u32 s9, 30
	v_add_co_ci_u32_e64 v4, s0, s5, v4, s0
	s_cselect_b32 s9, -1, 0
	v_add_co_u32 v5, s0, v5, s6
	s_or_b32 s9, s9, vcc_lo
	v_add_nc_u32_e32 v7, s1, v7
	v_add_co_ci_u32_e64 v6, vcc_lo, s7, v6, s0
	s_and_b32 s0, exec_lo, s9
	s_mov_b32 s9, s10
	s_or_b32 s8, s0, s8
	s_waitcnt vmcnt(0)
	v_fma_f64 v[1:2], v[8:9], v[10:11], v[1:2]
	s_and_not1_b32 exec_lo, exec_lo, s8
	s_cbranch_execnz .LBB69_2
; %bb.3:
	s_or_b32 exec_lo, exec_lo, s8
.LBB69_4:
	s_delay_alu instid0(SALU_CYCLE_1) | instskip(SKIP_2) | instid1(VALU_DEP_2)
	s_or_b32 exec_lo, exec_lo, s19
	v_and_b32_e32 v11, 31, v0
	v_cmp_gt_u32_e32 vcc_lo, 32, v0
	v_lshlrev_b32_e32 v5, 3, v11
	s_and_saveexec_b32 s0, vcc_lo
	s_cbranch_execz .LBB69_6
; %bb.5:
	v_mov_b32_e32 v3, 0
	s_delay_alu instid0(VALU_DEP_1)
	v_mov_b32_e32 v4, v3
	ds_store_b64 v5, v[3:4]
.LBB69_6:
	s_or_b32 exec_lo, exec_lo, s0
	v_mbcnt_lo_u32_b32 v10, -1, 0
	s_mov_b32 s1, exec_lo
	s_waitcnt lgkmcnt(0)
	s_barrier
	buffer_gl0_inv
	v_cmp_gt_u32_e64 s0, 16, v10
	s_delay_alu instid0(VALU_DEP_1) | instskip(SKIP_1) | instid1(VALU_DEP_2)
	v_cndmask_b32_e64 v3, 0, 1, s0
	v_cmp_gt_u32_e64 s0, 24, v10
	v_lshlrev_b32_e32 v3, 4, v3
	s_delay_alu instid0(VALU_DEP_1)
	v_add_lshl_u32 v6, v3, v10, 2
	ds_bpermute_b32 v3, v6, v1
	ds_bpermute_b32 v4, v6, v2
	s_waitcnt lgkmcnt(0)
	v_add_f64 v[1:2], v[1:2], v[3:4]
	v_cndmask_b32_e64 v3, 0, 1, s0
	v_cmp_gt_u32_e64 s0, 28, v10
	s_delay_alu instid0(VALU_DEP_2) | instskip(NEXT) | instid1(VALU_DEP_1)
	v_lshlrev_b32_e32 v3, 3, v3
	v_add_lshl_u32 v7, v3, v10, 2
	ds_bpermute_b32 v3, v7, v1
	ds_bpermute_b32 v4, v7, v2
	s_waitcnt lgkmcnt(0)
	v_add_f64 v[1:2], v[1:2], v[3:4]
	v_cndmask_b32_e64 v3, 0, 1, s0
	v_cmp_gt_u32_e64 s0, 30, v10
	s_delay_alu instid0(VALU_DEP_2) | instskip(NEXT) | instid1(VALU_DEP_1)
	v_lshlrev_b32_e32 v3, 2, v3
	v_add_lshl_u32 v8, v3, v10, 2
	ds_bpermute_b32 v3, v8, v1
	ds_bpermute_b32 v4, v8, v2
	s_waitcnt lgkmcnt(0)
	v_add_f64 v[1:2], v[1:2], v[3:4]
	v_cndmask_b32_e64 v3, 0, 1, s0
	v_cmp_ne_u32_e64 s0, 31, v10
	s_delay_alu instid0(VALU_DEP_2) | instskip(NEXT) | instid1(VALU_DEP_1)
	v_lshlrev_b32_e32 v3, 1, v3
	v_add_lshl_u32 v9, v3, v10, 2
	ds_bpermute_b32 v3, v9, v1
	ds_bpermute_b32 v4, v9, v2
	s_waitcnt lgkmcnt(0)
	v_add_f64 v[1:2], v[1:2], v[3:4]
	v_add_co_ci_u32_e64 v3, s0, 0, v10, s0
	s_delay_alu instid0(VALU_DEP_1)
	v_lshlrev_b32_e32 v10, 2, v3
	ds_bpermute_b32 v3, v10, v1
	ds_bpermute_b32 v4, v10, v2
	v_cmpx_eq_u32_e32 0, v11
	s_cbranch_execz .LBB69_8
; %bb.7:
	s_waitcnt lgkmcnt(0)
	v_add_f64 v[1:2], v[1:2], v[3:4]
	v_lshrrev_b32_e32 v3, 2, v0
	s_delay_alu instid0(VALU_DEP_1)
	v_and_b32_e32 v3, 0xf8, v3
	ds_store_b64 v3, v[1:2]
.LBB69_8:
	s_or_b32 exec_lo, exec_lo, s1
	v_mov_b32_e32 v1, 0
	v_mov_b32_e32 v2, 0
	s_waitcnt lgkmcnt(0)
	s_barrier
	buffer_gl0_inv
	s_and_saveexec_b32 s0, vcc_lo
	s_cbranch_execz .LBB69_10
; %bb.9:
	ds_load_b64 v[1:2], v5
.LBB69_10:
	s_or_b32 exec_lo, exec_lo, s0
	s_and_saveexec_b32 s0, vcc_lo
	s_cbranch_execz .LBB69_12
; %bb.11:
	s_waitcnt lgkmcnt(0)
	ds_bpermute_b32 v3, v6, v1
	ds_bpermute_b32 v4, v6, v2
	s_waitcnt lgkmcnt(0)
	v_add_f64 v[1:2], v[1:2], v[3:4]
	ds_bpermute_b32 v3, v7, v1
	ds_bpermute_b32 v4, v7, v2
	s_waitcnt lgkmcnt(0)
	v_add_f64 v[1:2], v[1:2], v[3:4]
	;; [unrolled: 4-line block ×5, first 2 shown]
.LBB69_12:
	s_or_b32 exec_lo, exec_lo, s0
	s_delay_alu instid0(SALU_CYCLE_1)
	s_mov_b32 s0, exec_lo
	v_cmpx_eq_u32_e32 0, v0
	s_cbranch_execz .LBB69_14
; %bb.13:
	s_lshl_b64 s[0:1], s[16:17], 3
	v_mov_b32_e32 v0, 0
	s_add_u32 s0, s2, s0
	s_addc_u32 s1, s3, s1
	s_waitcnt lgkmcnt(0)
	global_store_b64 v0, v[1:2], s[0:1]
.LBB69_14:
	s_nop 0
	s_sendmsg sendmsg(MSG_DEALLOC_VGPRS)
	s_endpgm
	.section	.rodata,"a",@progbits
	.p2align	6, 0x0
	.amdhsa_kernel _ZL18rocblas_dot_kernelIlLb1ELi1024ELi32ELb0EdPKddEviT5_lT_lS2_lS3_liPT6_PT4_
		.amdhsa_group_segment_fixed_size 256
		.amdhsa_private_segment_fixed_size 0
		.amdhsa_kernarg_size 352
		.amdhsa_user_sgpr_count 14
		.amdhsa_user_sgpr_dispatch_ptr 0
		.amdhsa_user_sgpr_queue_ptr 0
		.amdhsa_user_sgpr_kernarg_segment_ptr 1
		.amdhsa_user_sgpr_dispatch_id 0
		.amdhsa_user_sgpr_private_segment_size 0
		.amdhsa_wavefront_size32 1
		.amdhsa_uses_dynamic_stack 0
		.amdhsa_enable_private_segment 0
		.amdhsa_system_sgpr_workgroup_id_x 1
		.amdhsa_system_sgpr_workgroup_id_y 0
		.amdhsa_system_sgpr_workgroup_id_z 1
		.amdhsa_system_sgpr_workgroup_info 0
		.amdhsa_system_vgpr_workitem_id 0
		.amdhsa_next_free_vgpr 12
		.amdhsa_next_free_sgpr 28
		.amdhsa_reserve_vcc 1
		.amdhsa_float_round_mode_32 0
		.amdhsa_float_round_mode_16_64 0
		.amdhsa_float_denorm_mode_32 3
		.amdhsa_float_denorm_mode_16_64 3
		.amdhsa_dx10_clamp 1
		.amdhsa_ieee_mode 1
		.amdhsa_fp16_overflow 0
		.amdhsa_workgroup_processor_mode 1
		.amdhsa_memory_ordered 1
		.amdhsa_forward_progress 0
		.amdhsa_shared_vgpr_count 0
		.amdhsa_exception_fp_ieee_invalid_op 0
		.amdhsa_exception_fp_denorm_src 0
		.amdhsa_exception_fp_ieee_div_zero 0
		.amdhsa_exception_fp_ieee_overflow 0
		.amdhsa_exception_fp_ieee_underflow 0
		.amdhsa_exception_fp_ieee_inexact 0
		.amdhsa_exception_int_div_zero 0
	.end_amdhsa_kernel
	.section	.text._ZL18rocblas_dot_kernelIlLb1ELi1024ELi32ELb0EdPKddEviT5_lT_lS2_lS3_liPT6_PT4_,"axG",@progbits,_ZL18rocblas_dot_kernelIlLb1ELi1024ELi32ELb0EdPKddEviT5_lT_lS2_lS3_liPT6_PT4_,comdat
.Lfunc_end69:
	.size	_ZL18rocblas_dot_kernelIlLb1ELi1024ELi32ELb0EdPKddEviT5_lT_lS2_lS3_liPT6_PT4_, .Lfunc_end69-_ZL18rocblas_dot_kernelIlLb1ELi1024ELi32ELb0EdPKddEviT5_lT_lS2_lS3_liPT6_PT4_
                                        ; -- End function
	.section	.AMDGPU.csdata,"",@progbits
; Kernel info:
; codeLenInByte = 1136
; NumSgprs: 30
; NumVgprs: 12
; ScratchSize: 0
; MemoryBound: 0
; FloatMode: 240
; IeeeMode: 1
; LDSByteSize: 256 bytes/workgroup (compile time only)
; SGPRBlocks: 3
; VGPRBlocks: 1
; NumSGPRsForWavesPerEU: 30
; NumVGPRsForWavesPerEU: 12
; Occupancy: 16
; WaveLimiterHint : 0
; COMPUTE_PGM_RSRC2:SCRATCH_EN: 0
; COMPUTE_PGM_RSRC2:USER_SGPR: 14
; COMPUTE_PGM_RSRC2:TRAP_HANDLER: 0
; COMPUTE_PGM_RSRC2:TGID_X_EN: 1
; COMPUTE_PGM_RSRC2:TGID_Y_EN: 0
; COMPUTE_PGM_RSRC2:TGID_Z_EN: 1
; COMPUTE_PGM_RSRC2:TIDIG_COMP_CNT: 0
	.section	.text._ZL24rocblas_dot_kernel_magsqIlLb1ELi1024ELi32ELb0EdPKddEviT5_lT_liPT6_PT4_,"axG",@progbits,_ZL24rocblas_dot_kernel_magsqIlLb1ELi1024ELi32ELb0EdPKddEviT5_lT_liPT6_PT4_,comdat
	.globl	_ZL24rocblas_dot_kernel_magsqIlLb1ELi1024ELi32ELb0EdPKddEviT5_lT_liPT6_PT4_ ; -- Begin function _ZL24rocblas_dot_kernel_magsqIlLb1ELi1024ELi32ELb0EdPKddEviT5_lT_liPT6_PT4_
	.p2align	8
	.type	_ZL24rocblas_dot_kernel_magsqIlLb1ELi1024ELi32ELb0EdPKddEviT5_lT_liPT6_PT4_,@function
_ZL24rocblas_dot_kernel_magsqIlLb1ELi1024ELi32ELb0EdPKddEviT5_lT_liPT6_PT4_: ; @_ZL24rocblas_dot_kernel_magsqIlLb1ELi1024ELi32ELb0EdPKddEviT5_lT_liPT6_PT4_
; %bb.0:
	s_clause 0x1
	s_load_b32 s10, s[0:1], 0x0
	s_load_b64 s[2:3], s[0:1], 0x38
	v_mov_b32_e32 v1, 0
	v_mov_b32_e32 v2, 0
	s_mov_b32 s8, s15
	s_mov_b32 s9, 0
	s_mov_b32 s11, exec_lo
	s_waitcnt lgkmcnt(0)
	v_cmpx_gt_i32_e64 s10, v0
	s_cbranch_execz .LBB70_4
; %bb.1:
	s_clause 0x3
	s_load_b128 s[4:7], s[0:1], 0x10
	s_load_b32 s16, s[0:1], 0x40
	s_load_b64 s[12:13], s[0:1], 0x20
	s_load_b64 s[14:15], s[0:1], 0x8
	s_waitcnt lgkmcnt(0)
	v_mad_u64_u32 v[3:4], null, s6, v0, 0
	s_mul_i32 s0, s13, s8
	s_mul_hi_u32 s13, s12, s8
	s_mul_i32 s12, s12, s8
	s_add_i32 s13, s13, s0
	s_lshl_b64 s[4:5], s[4:5], 3
	s_lshl_b32 s1, s16, 10
	s_delay_alu instid0(VALU_DEP_1)
	v_mad_u64_u32 v[6:7], null, s7, v0, v[4:5]
	v_mov_b32_e32 v1, 0
	s_lshl_b64 s[12:13], s[12:13], 3
	s_add_u32 s0, s14, s4
	s_addc_u32 s4, s15, s5
	s_add_u32 s0, s0, s12
	s_addc_u32 s12, s4, s13
	s_delay_alu instid0(VALU_DEP_2)
	v_mov_b32_e32 v4, v6
	s_ashr_i32 s4, s1, 31
	s_mul_hi_u32 s5, s6, s1
	s_mul_i32 s4, s6, s4
	s_mul_i32 s7, s7, s1
	v_lshlrev_b64 v[3:4], 3, v[3:4]
	s_add_i32 s5, s5, s4
	v_mov_b32_e32 v2, 0
	v_or_b32_e32 v5, s1, v0
	s_mul_i32 s4, s6, s1
	s_add_i32 s5, s5, s7
	v_add_co_u32 v3, vcc_lo, s0, v3
	v_add_co_ci_u32_e32 v4, vcc_lo, s12, v4, vcc_lo
	s_lshl_b64 s[4:5], s[4:5], 3
	s_mov_b32 s6, s9
	s_mov_b32 s7, s9
	.p2align	6
.LBB70_2:                               ; =>This Inner Loop Header: Depth=1
	global_load_b64 v[6:7], v[3:4], off
	s_add_i32 s12, s7, 1
	v_cmp_le_i32_e32 vcc_lo, s10, v5
	s_cmp_gt_u32 s7, 30
	v_add_co_u32 v3, s0, v3, s4
	s_cselect_b32 s7, -1, 0
	v_add_nc_u32_e32 v5, s1, v5
	s_or_b32 s7, s7, vcc_lo
	v_add_co_ci_u32_e64 v4, vcc_lo, s5, v4, s0
	s_and_b32 s0, exec_lo, s7
	s_mov_b32 s7, s12
	s_or_b32 s6, s0, s6
	s_waitcnt vmcnt(0)
	v_fma_f64 v[1:2], v[6:7], v[6:7], v[1:2]
	s_and_not1_b32 exec_lo, exec_lo, s6
	s_cbranch_execnz .LBB70_2
; %bb.3:
	s_or_b32 exec_lo, exec_lo, s6
.LBB70_4:
	s_delay_alu instid0(SALU_CYCLE_1) | instskip(SKIP_2) | instid1(VALU_DEP_2)
	s_or_b32 exec_lo, exec_lo, s11
	v_and_b32_e32 v11, 31, v0
	v_cmp_gt_u32_e32 vcc_lo, 32, v0
	v_lshlrev_b32_e32 v5, 3, v11
	s_and_saveexec_b32 s0, vcc_lo
	s_cbranch_execz .LBB70_6
; %bb.5:
	v_mov_b32_e32 v3, 0
	s_delay_alu instid0(VALU_DEP_1)
	v_mov_b32_e32 v4, v3
	ds_store_b64 v5, v[3:4]
.LBB70_6:
	s_or_b32 exec_lo, exec_lo, s0
	v_mbcnt_lo_u32_b32 v10, -1, 0
	s_mov_b32 s1, exec_lo
	s_waitcnt lgkmcnt(0)
	s_barrier
	buffer_gl0_inv
	v_cmp_gt_u32_e64 s0, 16, v10
	s_delay_alu instid0(VALU_DEP_1) | instskip(SKIP_1) | instid1(VALU_DEP_2)
	v_cndmask_b32_e64 v3, 0, 1, s0
	v_cmp_gt_u32_e64 s0, 24, v10
	v_lshlrev_b32_e32 v3, 4, v3
	s_delay_alu instid0(VALU_DEP_1)
	v_add_lshl_u32 v6, v3, v10, 2
	ds_bpermute_b32 v3, v6, v1
	ds_bpermute_b32 v4, v6, v2
	s_waitcnt lgkmcnt(0)
	v_add_f64 v[1:2], v[1:2], v[3:4]
	v_cndmask_b32_e64 v3, 0, 1, s0
	v_cmp_gt_u32_e64 s0, 28, v10
	s_delay_alu instid0(VALU_DEP_2) | instskip(NEXT) | instid1(VALU_DEP_1)
	v_lshlrev_b32_e32 v3, 3, v3
	v_add_lshl_u32 v7, v3, v10, 2
	ds_bpermute_b32 v3, v7, v1
	ds_bpermute_b32 v4, v7, v2
	s_waitcnt lgkmcnt(0)
	v_add_f64 v[1:2], v[1:2], v[3:4]
	v_cndmask_b32_e64 v3, 0, 1, s0
	v_cmp_gt_u32_e64 s0, 30, v10
	s_delay_alu instid0(VALU_DEP_2) | instskip(NEXT) | instid1(VALU_DEP_1)
	v_lshlrev_b32_e32 v3, 2, v3
	v_add_lshl_u32 v8, v3, v10, 2
	ds_bpermute_b32 v3, v8, v1
	ds_bpermute_b32 v4, v8, v2
	s_waitcnt lgkmcnt(0)
	v_add_f64 v[1:2], v[1:2], v[3:4]
	v_cndmask_b32_e64 v3, 0, 1, s0
	v_cmp_ne_u32_e64 s0, 31, v10
	s_delay_alu instid0(VALU_DEP_2) | instskip(NEXT) | instid1(VALU_DEP_1)
	v_lshlrev_b32_e32 v3, 1, v3
	v_add_lshl_u32 v9, v3, v10, 2
	ds_bpermute_b32 v3, v9, v1
	ds_bpermute_b32 v4, v9, v2
	s_waitcnt lgkmcnt(0)
	v_add_f64 v[1:2], v[1:2], v[3:4]
	v_add_co_ci_u32_e64 v3, s0, 0, v10, s0
	s_delay_alu instid0(VALU_DEP_1)
	v_lshlrev_b32_e32 v10, 2, v3
	ds_bpermute_b32 v3, v10, v1
	ds_bpermute_b32 v4, v10, v2
	v_cmpx_eq_u32_e32 0, v11
	s_cbranch_execz .LBB70_8
; %bb.7:
	s_waitcnt lgkmcnt(0)
	v_add_f64 v[1:2], v[1:2], v[3:4]
	v_lshrrev_b32_e32 v3, 2, v0
	s_delay_alu instid0(VALU_DEP_1)
	v_and_b32_e32 v3, 0xf8, v3
	ds_store_b64 v3, v[1:2]
.LBB70_8:
	s_or_b32 exec_lo, exec_lo, s1
	v_mov_b32_e32 v1, 0
	v_mov_b32_e32 v2, 0
	s_waitcnt lgkmcnt(0)
	s_barrier
	buffer_gl0_inv
	s_and_saveexec_b32 s0, vcc_lo
	s_cbranch_execz .LBB70_10
; %bb.9:
	ds_load_b64 v[1:2], v5
.LBB70_10:
	s_or_b32 exec_lo, exec_lo, s0
	s_and_saveexec_b32 s0, vcc_lo
	s_cbranch_execz .LBB70_12
; %bb.11:
	s_waitcnt lgkmcnt(0)
	ds_bpermute_b32 v3, v6, v1
	ds_bpermute_b32 v4, v6, v2
	s_waitcnt lgkmcnt(0)
	v_add_f64 v[1:2], v[1:2], v[3:4]
	ds_bpermute_b32 v3, v7, v1
	ds_bpermute_b32 v4, v7, v2
	s_waitcnt lgkmcnt(0)
	v_add_f64 v[1:2], v[1:2], v[3:4]
	;; [unrolled: 4-line block ×5, first 2 shown]
.LBB70_12:
	s_or_b32 exec_lo, exec_lo, s0
	s_delay_alu instid0(SALU_CYCLE_1)
	s_mov_b32 s0, exec_lo
	v_cmpx_eq_u32_e32 0, v0
	s_cbranch_execz .LBB70_14
; %bb.13:
	s_lshl_b64 s[0:1], s[8:9], 3
	v_mov_b32_e32 v0, 0
	s_add_u32 s0, s2, s0
	s_addc_u32 s1, s3, s1
	s_waitcnt lgkmcnt(0)
	global_store_b64 v0, v[1:2], s[0:1]
.LBB70_14:
	s_nop 0
	s_sendmsg sendmsg(MSG_DEALLOC_VGPRS)
	s_endpgm
	.section	.rodata,"a",@progbits
	.p2align	6, 0x0
	.amdhsa_kernel _ZL24rocblas_dot_kernel_magsqIlLb1ELi1024ELi32ELb0EdPKddEviT5_lT_liPT6_PT4_
		.amdhsa_group_segment_fixed_size 256
		.amdhsa_private_segment_fixed_size 0
		.amdhsa_kernarg_size 320
		.amdhsa_user_sgpr_count 14
		.amdhsa_user_sgpr_dispatch_ptr 0
		.amdhsa_user_sgpr_queue_ptr 0
		.amdhsa_user_sgpr_kernarg_segment_ptr 1
		.amdhsa_user_sgpr_dispatch_id 0
		.amdhsa_user_sgpr_private_segment_size 0
		.amdhsa_wavefront_size32 1
		.amdhsa_uses_dynamic_stack 0
		.amdhsa_enable_private_segment 0
		.amdhsa_system_sgpr_workgroup_id_x 1
		.amdhsa_system_sgpr_workgroup_id_y 0
		.amdhsa_system_sgpr_workgroup_id_z 1
		.amdhsa_system_sgpr_workgroup_info 0
		.amdhsa_system_vgpr_workitem_id 0
		.amdhsa_next_free_vgpr 12
		.amdhsa_next_free_sgpr 17
		.amdhsa_reserve_vcc 1
		.amdhsa_float_round_mode_32 0
		.amdhsa_float_round_mode_16_64 0
		.amdhsa_float_denorm_mode_32 3
		.amdhsa_float_denorm_mode_16_64 3
		.amdhsa_dx10_clamp 1
		.amdhsa_ieee_mode 1
		.amdhsa_fp16_overflow 0
		.amdhsa_workgroup_processor_mode 1
		.amdhsa_memory_ordered 1
		.amdhsa_forward_progress 0
		.amdhsa_shared_vgpr_count 0
		.amdhsa_exception_fp_ieee_invalid_op 0
		.amdhsa_exception_fp_denorm_src 0
		.amdhsa_exception_fp_ieee_div_zero 0
		.amdhsa_exception_fp_ieee_overflow 0
		.amdhsa_exception_fp_ieee_underflow 0
		.amdhsa_exception_fp_ieee_inexact 0
		.amdhsa_exception_int_div_zero 0
	.end_amdhsa_kernel
	.section	.text._ZL24rocblas_dot_kernel_magsqIlLb1ELi1024ELi32ELb0EdPKddEviT5_lT_liPT6_PT4_,"axG",@progbits,_ZL24rocblas_dot_kernel_magsqIlLb1ELi1024ELi32ELb0EdPKddEviT5_lT_liPT6_PT4_,comdat
.Lfunc_end70:
	.size	_ZL24rocblas_dot_kernel_magsqIlLb1ELi1024ELi32ELb0EdPKddEviT5_lT_liPT6_PT4_, .Lfunc_end70-_ZL24rocblas_dot_kernel_magsqIlLb1ELi1024ELi32ELb0EdPKddEviT5_lT_liPT6_PT4_
                                        ; -- End function
	.section	.AMDGPU.csdata,"",@progbits
; Kernel info:
; codeLenInByte = 992
; NumSgprs: 19
; NumVgprs: 12
; ScratchSize: 0
; MemoryBound: 0
; FloatMode: 240
; IeeeMode: 1
; LDSByteSize: 256 bytes/workgroup (compile time only)
; SGPRBlocks: 2
; VGPRBlocks: 1
; NumSGPRsForWavesPerEU: 19
; NumVGPRsForWavesPerEU: 12
; Occupancy: 16
; WaveLimiterHint : 0
; COMPUTE_PGM_RSRC2:SCRATCH_EN: 0
; COMPUTE_PGM_RSRC2:USER_SGPR: 14
; COMPUTE_PGM_RSRC2:TRAP_HANDLER: 0
; COMPUTE_PGM_RSRC2:TGID_X_EN: 1
; COMPUTE_PGM_RSRC2:TGID_Y_EN: 0
; COMPUTE_PGM_RSRC2:TGID_Z_EN: 1
; COMPUTE_PGM_RSRC2:TIDIG_COMP_CNT: 0
	.section	.text._ZL38rocblas_dot_kernel_gfx942_float_doubleIlLi1024EdPKddEviT2_lT_lS2_lS3_lPT3_PT1_,"axG",@progbits,_ZL38rocblas_dot_kernel_gfx942_float_doubleIlLi1024EdPKddEviT2_lT_lS2_lS3_lPT3_PT1_,comdat
	.globl	_ZL38rocblas_dot_kernel_gfx942_float_doubleIlLi1024EdPKddEviT2_lT_lS2_lS3_lPT3_PT1_ ; -- Begin function _ZL38rocblas_dot_kernel_gfx942_float_doubleIlLi1024EdPKddEviT2_lT_lS2_lS3_lPT3_PT1_
	.p2align	8
	.type	_ZL38rocblas_dot_kernel_gfx942_float_doubleIlLi1024EdPKddEviT2_lT_lS2_lS3_lPT3_PT1_,@function
_ZL38rocblas_dot_kernel_gfx942_float_doubleIlLi1024EdPKddEviT2_lT_lS2_lS3_lPT3_PT1_: ; @_ZL38rocblas_dot_kernel_gfx942_float_doubleIlLi1024EdPKddEviT2_lT_lS2_lS3_lPT3_PT1_
; %bb.0:
	s_endpgm
	.section	.rodata,"a",@progbits
	.p2align	6, 0x0
	.amdhsa_kernel _ZL38rocblas_dot_kernel_gfx942_float_doubleIlLi1024EdPKddEviT2_lT_lS2_lS3_lPT3_PT1_
		.amdhsa_group_segment_fixed_size 0
		.amdhsa_private_segment_fixed_size 0
		.amdhsa_kernarg_size 88
		.amdhsa_user_sgpr_count 15
		.amdhsa_user_sgpr_dispatch_ptr 0
		.amdhsa_user_sgpr_queue_ptr 0
		.amdhsa_user_sgpr_kernarg_segment_ptr 1
		.amdhsa_user_sgpr_dispatch_id 0
		.amdhsa_user_sgpr_private_segment_size 0
		.amdhsa_wavefront_size32 1
		.amdhsa_uses_dynamic_stack 0
		.amdhsa_enable_private_segment 0
		.amdhsa_system_sgpr_workgroup_id_x 1
		.amdhsa_system_sgpr_workgroup_id_y 0
		.amdhsa_system_sgpr_workgroup_id_z 0
		.amdhsa_system_sgpr_workgroup_info 0
		.amdhsa_system_vgpr_workitem_id 0
		.amdhsa_next_free_vgpr 1
		.amdhsa_next_free_sgpr 1
		.amdhsa_reserve_vcc 0
		.amdhsa_float_round_mode_32 0
		.amdhsa_float_round_mode_16_64 0
		.amdhsa_float_denorm_mode_32 3
		.amdhsa_float_denorm_mode_16_64 3
		.amdhsa_dx10_clamp 1
		.amdhsa_ieee_mode 1
		.amdhsa_fp16_overflow 0
		.amdhsa_workgroup_processor_mode 1
		.amdhsa_memory_ordered 1
		.amdhsa_forward_progress 0
		.amdhsa_shared_vgpr_count 0
		.amdhsa_exception_fp_ieee_invalid_op 0
		.amdhsa_exception_fp_denorm_src 0
		.amdhsa_exception_fp_ieee_div_zero 0
		.amdhsa_exception_fp_ieee_overflow 0
		.amdhsa_exception_fp_ieee_underflow 0
		.amdhsa_exception_fp_ieee_inexact 0
		.amdhsa_exception_int_div_zero 0
	.end_amdhsa_kernel
	.section	.text._ZL38rocblas_dot_kernel_gfx942_float_doubleIlLi1024EdPKddEviT2_lT_lS2_lS3_lPT3_PT1_,"axG",@progbits,_ZL38rocblas_dot_kernel_gfx942_float_doubleIlLi1024EdPKddEviT2_lT_lS2_lS3_lPT3_PT1_,comdat
.Lfunc_end71:
	.size	_ZL38rocblas_dot_kernel_gfx942_float_doubleIlLi1024EdPKddEviT2_lT_lS2_lS3_lPT3_PT1_, .Lfunc_end71-_ZL38rocblas_dot_kernel_gfx942_float_doubleIlLi1024EdPKddEviT2_lT_lS2_lS3_lPT3_PT1_
                                        ; -- End function
	.section	.AMDGPU.csdata,"",@progbits
; Kernel info:
; codeLenInByte = 4
; NumSgprs: 0
; NumVgprs: 0
; ScratchSize: 0
; MemoryBound: 0
; FloatMode: 240
; IeeeMode: 1
; LDSByteSize: 0 bytes/workgroup (compile time only)
; SGPRBlocks: 0
; VGPRBlocks: 0
; NumSGPRsForWavesPerEU: 1
; NumVGPRsForWavesPerEU: 1
; Occupancy: 16
; WaveLimiterHint : 0
; COMPUTE_PGM_RSRC2:SCRATCH_EN: 0
; COMPUTE_PGM_RSRC2:USER_SGPR: 15
; COMPUTE_PGM_RSRC2:TRAP_HANDLER: 0
; COMPUTE_PGM_RSRC2:TGID_X_EN: 1
; COMPUTE_PGM_RSRC2:TGID_Y_EN: 0
; COMPUTE_PGM_RSRC2:TGID_Z_EN: 0
; COMPUTE_PGM_RSRC2:TIDIG_COMP_CNT: 0
	.section	.text._ZL18rocblas_dot_kernelIlLb0ELi512ELi2ELb0EdPKddEviT5_lT_lS2_lS3_liPT6_PT4_,"axG",@progbits,_ZL18rocblas_dot_kernelIlLb0ELi512ELi2ELb0EdPKddEviT5_lT_lS2_lS3_liPT6_PT4_,comdat
	.globl	_ZL18rocblas_dot_kernelIlLb0ELi512ELi2ELb0EdPKddEviT5_lT_lS2_lS3_liPT6_PT4_ ; -- Begin function _ZL18rocblas_dot_kernelIlLb0ELi512ELi2ELb0EdPKddEviT5_lT_lS2_lS3_liPT6_PT4_
	.p2align	8
	.type	_ZL18rocblas_dot_kernelIlLb0ELi512ELi2ELb0EdPKddEviT5_lT_lS2_lS3_liPT6_PT4_,@function
_ZL18rocblas_dot_kernelIlLb0ELi512ELi2ELb0EdPKddEviT5_lT_lS2_lS3_liPT6_PT4_: ; @_ZL18rocblas_dot_kernelIlLb0ELi512ELi2ELb0EdPKddEviT5_lT_lS2_lS3_liPT6_PT4_
; %bb.0:
	s_mov_b32 s12, s15
	s_clause 0x1
	s_load_b32 s15, s[0:1], 0x0
	s_load_b32 s3, s[0:1], 0x60
	v_mov_b32_e32 v1, 0
	v_lshl_or_b32 v3, s14, 9, v0
	v_mov_b32_e32 v2, 0
	s_mov_b32 s13, 0
	s_mov_b32 s2, exec_lo
	s_waitcnt lgkmcnt(0)
	v_cmpx_gt_i32_e64 s15, v3
	s_cbranch_execz .LBB72_4
; %bb.1:
	s_clause 0x3
	s_load_b256 s[4:11], s[0:1], 0x20
	s_load_b64 s[20:21], s[0:1], 0x40
	s_load_b128 s[16:19], s[0:1], 0x10
	s_load_b64 s[22:23], s[0:1], 0x8
	v_ashrrev_i32_e32 v4, 31, v3
	s_waitcnt lgkmcnt(0)
	s_mul_i32 s5, s12, s5
	s_mul_hi_u32 s24, s12, s4
	v_mul_lo_u32 v6, v3, s11
	v_mul_lo_u32 v7, v4, s10
	v_mad_u64_u32 v[1:2], null, v3, s10, 0
	s_mul_i32 s4, s12, s4
	s_add_i32 s5, s24, s5
	v_mul_lo_u32 v8, v3, s19
	v_mul_lo_u32 v9, v4, s18
	v_mad_u64_u32 v[4:5], null, v3, s18, 0
	s_lshl_b64 s[4:5], s[4:5], 3
	s_mul_i32 s21, s12, s21
	s_add_u32 s22, s22, s4
	s_addc_u32 s23, s23, s5
	s_lshl_b64 s[4:5], s[16:17], 3
	s_mul_hi_u32 s25, s12, s20
	v_add3_u32 v2, v2, v6, v7
	s_add_u32 s4, s22, s4
	s_mul_i32 s20, s12, s20
	s_addc_u32 s5, s23, s5
	s_add_i32 s21, s25, s21
	v_add3_u32 v5, v5, v8, v9
	s_lshl_b64 s[16:17], s[20:21], 3
	v_lshlrev_b64 v[1:2], 3, v[1:2]
	s_add_u32 s16, s6, s16
	s_addc_u32 s17, s7, s17
	s_lshl_b64 s[6:7], s[8:9], 3
	v_lshlrev_b64 v[3:4], 3, v[4:5]
	s_add_u32 s6, s16, s6
	s_addc_u32 s7, s17, s7
	v_add_co_u32 v1, vcc_lo, s6, v1
	v_add_co_ci_u32_e32 v2, vcc_lo, s7, v2, vcc_lo
	s_delay_alu instid0(VALU_DEP_3)
	v_add_co_u32 v3, vcc_lo, s4, v3
	v_add_co_ci_u32_e32 v4, vcc_lo, s5, v4, vcc_lo
	global_load_b64 v[1:2], v[1:2], off
	global_load_b64 v[3:4], v[3:4], off
	s_add_i32 s8, s14, s3
	s_waitcnt vmcnt(0)
	v_fma_f64 v[1:2], v[1:2], v[3:4], 0
	v_lshl_or_b32 v3, s8, 9, v0
	s_mov_b32 s8, exec_lo
	s_delay_alu instid0(VALU_DEP_1)
	v_cmpx_gt_i32_e64 s15, v3
	s_cbranch_execz .LBB72_3
; %bb.2:
	v_ashrrev_i32_e32 v8, 31, v3
	v_mul_lo_u32 v9, v3, s11
	v_mad_u64_u32 v[4:5], null, v3, s10, 0
	v_mul_lo_u32 v11, v3, s19
	s_delay_alu instid0(VALU_DEP_4) | instskip(SKIP_2) | instid1(VALU_DEP_3)
	v_mul_lo_u32 v10, v8, s10
	v_mad_u64_u32 v[6:7], null, v3, s18, 0
	v_mul_lo_u32 v3, v8, s18
	v_add3_u32 v5, v5, v9, v10
	s_delay_alu instid0(VALU_DEP_2) | instskip(NEXT) | instid1(VALU_DEP_2)
	v_add3_u32 v7, v7, v11, v3
	v_lshlrev_b64 v[3:4], 3, v[4:5]
	s_delay_alu instid0(VALU_DEP_2) | instskip(NEXT) | instid1(VALU_DEP_2)
	v_lshlrev_b64 v[5:6], 3, v[6:7]
	v_add_co_u32 v3, vcc_lo, s6, v3
	s_delay_alu instid0(VALU_DEP_3) | instskip(NEXT) | instid1(VALU_DEP_3)
	v_add_co_ci_u32_e32 v4, vcc_lo, s7, v4, vcc_lo
	v_add_co_u32 v5, vcc_lo, s4, v5
	s_delay_alu instid0(VALU_DEP_4)
	v_add_co_ci_u32_e32 v6, vcc_lo, s5, v6, vcc_lo
	global_load_b64 v[3:4], v[3:4], off
	global_load_b64 v[5:6], v[5:6], off
	s_waitcnt vmcnt(0)
	v_fma_f64 v[1:2], v[3:4], v[5:6], v[1:2]
.LBB72_3:
	s_or_b32 exec_lo, exec_lo, s8
.LBB72_4:
	s_delay_alu instid0(SALU_CYCLE_1) | instskip(SKIP_2) | instid1(VALU_DEP_2)
	s_or_b32 exec_lo, exec_lo, s2
	v_and_b32_e32 v10, 31, v0
	v_cmp_gt_u32_e32 vcc_lo, 32, v0
	v_lshlrev_b32_e32 v5, 3, v10
	s_and_saveexec_b32 s2, vcc_lo
	s_cbranch_execz .LBB72_6
; %bb.5:
	v_mov_b32_e32 v3, 0
	s_delay_alu instid0(VALU_DEP_1)
	v_mov_b32_e32 v4, v3
	ds_store_b64 v5, v[3:4]
.LBB72_6:
	s_or_b32 exec_lo, exec_lo, s2
	v_mbcnt_lo_u32_b32 v9, -1, 0
	s_mov_b32 s4, exec_lo
	s_waitcnt lgkmcnt(0)
	s_barrier
	buffer_gl0_inv
	v_cmp_gt_u32_e64 s2, 16, v9
	s_delay_alu instid0(VALU_DEP_1) | instskip(SKIP_1) | instid1(VALU_DEP_2)
	v_cndmask_b32_e64 v3, 0, 1, s2
	v_cmp_gt_u32_e64 s2, 24, v9
	v_lshlrev_b32_e32 v3, 4, v3
	s_delay_alu instid0(VALU_DEP_1)
	v_add_lshl_u32 v4, v3, v9, 2
	ds_bpermute_b32 v3, v4, v1
	ds_bpermute_b32 v4, v4, v2
	s_waitcnt lgkmcnt(0)
	v_add_f64 v[1:2], v[1:2], v[3:4]
	v_cndmask_b32_e64 v3, 0, 1, s2
	v_cmp_gt_u32_e64 s2, 28, v9
	s_delay_alu instid0(VALU_DEP_2) | instskip(NEXT) | instid1(VALU_DEP_1)
	v_lshlrev_b32_e32 v3, 3, v3
	v_add_lshl_u32 v6, v3, v9, 2
	ds_bpermute_b32 v3, v6, v1
	ds_bpermute_b32 v4, v6, v2
	s_waitcnt lgkmcnt(0)
	v_add_f64 v[1:2], v[1:2], v[3:4]
	v_cndmask_b32_e64 v3, 0, 1, s2
	v_cmp_gt_u32_e64 s2, 30, v9
	s_delay_alu instid0(VALU_DEP_2) | instskip(NEXT) | instid1(VALU_DEP_1)
	v_lshlrev_b32_e32 v3, 2, v3
	v_add_lshl_u32 v7, v3, v9, 2
	ds_bpermute_b32 v3, v7, v1
	ds_bpermute_b32 v4, v7, v2
	s_waitcnt lgkmcnt(0)
	v_add_f64 v[1:2], v[1:2], v[3:4]
	v_cndmask_b32_e64 v3, 0, 1, s2
	v_cmp_ne_u32_e64 s2, 31, v9
	s_delay_alu instid0(VALU_DEP_2) | instskip(NEXT) | instid1(VALU_DEP_1)
	v_lshlrev_b32_e32 v3, 1, v3
	v_add_lshl_u32 v8, v3, v9, 2
	ds_bpermute_b32 v3, v8, v1
	ds_bpermute_b32 v4, v8, v2
	s_waitcnt lgkmcnt(0)
	v_add_f64 v[1:2], v[1:2], v[3:4]
	v_add_co_ci_u32_e64 v3, s2, 0, v9, s2
	s_delay_alu instid0(VALU_DEP_1)
	v_lshlrev_b32_e32 v9, 2, v3
	ds_bpermute_b32 v3, v9, v1
	ds_bpermute_b32 v4, v9, v2
	v_cmpx_eq_u32_e32 0, v10
	s_cbranch_execz .LBB72_8
; %bb.7:
	s_waitcnt lgkmcnt(0)
	v_add_f64 v[1:2], v[1:2], v[3:4]
	v_lshrrev_b32_e32 v3, 2, v0
	s_delay_alu instid0(VALU_DEP_1)
	v_and_b32_e32 v3, 0x78, v3
	ds_store_b64 v3, v[1:2]
.LBB72_8:
	s_or_b32 exec_lo, exec_lo, s4
	v_mov_b32_e32 v1, 0
	v_mov_b32_e32 v2, 0
	s_mov_b32 s4, exec_lo
	s_waitcnt lgkmcnt(0)
	s_barrier
	buffer_gl0_inv
	v_cmpx_gt_u32_e32 16, v0
	s_cbranch_execz .LBB72_10
; %bb.9:
	ds_load_b64 v[1:2], v5
.LBB72_10:
	s_or_b32 exec_lo, exec_lo, s4
	s_and_saveexec_b32 s2, vcc_lo
	s_cbranch_execz .LBB72_12
; %bb.11:
	s_waitcnt lgkmcnt(0)
	ds_bpermute_b32 v3, v6, v1
	ds_bpermute_b32 v4, v6, v2
	s_waitcnt lgkmcnt(0)
	v_add_f64 v[1:2], v[1:2], v[3:4]
	ds_bpermute_b32 v3, v7, v1
	ds_bpermute_b32 v4, v7, v2
	s_waitcnt lgkmcnt(0)
	v_add_f64 v[1:2], v[1:2], v[3:4]
	;; [unrolled: 4-line block ×4, first 2 shown]
.LBB72_12:
	s_or_b32 exec_lo, exec_lo, s2
	s_delay_alu instid0(SALU_CYCLE_1)
	s_mov_b32 s2, exec_lo
	v_cmpx_eq_u32_e32 0, v0
	s_cbranch_execz .LBB72_18
; %bb.13:
	s_cmp_lg_u32 s3, 1
	s_cbranch_scc0 .LBB72_15
; %bb.14:
	s_load_b64 s[4:5], s[0:1], 0x50
	s_mul_hi_u32 s7, s3, s12
	s_mul_i32 s6, s3, s12
	s_mov_b32 s15, 0
	s_lshl_b64 s[2:3], s[6:7], 3
	s_waitcnt lgkmcnt(0)
	s_add_u32 s4, s4, s2
	s_addc_u32 s5, s5, s3
	s_lshl_b64 s[2:3], s[14:15], 3
	s_delay_alu instid0(SALU_CYCLE_1)
	s_add_u32 s2, s4, s2
	s_addc_u32 s3, s5, s3
	s_cbranch_execz .LBB72_16
	s_branch .LBB72_17
.LBB72_15:
                                        ; implicit-def: $sgpr2_sgpr3
.LBB72_16:
	s_load_b64 s[0:1], s[0:1], 0x58
	s_lshl_b64 s[2:3], s[12:13], 3
	s_waitcnt lgkmcnt(0)
	s_add_u32 s2, s0, s2
	s_addc_u32 s3, s1, s3
.LBB72_17:
	v_mov_b32_e32 v0, 0
	s_waitcnt lgkmcnt(0)
	global_store_b64 v0, v[1:2], s[2:3]
.LBB72_18:
	s_nop 0
	s_sendmsg sendmsg(MSG_DEALLOC_VGPRS)
	s_endpgm
	.section	.rodata,"a",@progbits
	.p2align	6, 0x0
	.amdhsa_kernel _ZL18rocblas_dot_kernelIlLb0ELi512ELi2ELb0EdPKddEviT5_lT_lS2_lS3_liPT6_PT4_
		.amdhsa_group_segment_fixed_size 256
		.amdhsa_private_segment_fixed_size 0
		.amdhsa_kernarg_size 352
		.amdhsa_user_sgpr_count 14
		.amdhsa_user_sgpr_dispatch_ptr 0
		.amdhsa_user_sgpr_queue_ptr 0
		.amdhsa_user_sgpr_kernarg_segment_ptr 1
		.amdhsa_user_sgpr_dispatch_id 0
		.amdhsa_user_sgpr_private_segment_size 0
		.amdhsa_wavefront_size32 1
		.amdhsa_uses_dynamic_stack 0
		.amdhsa_enable_private_segment 0
		.amdhsa_system_sgpr_workgroup_id_x 1
		.amdhsa_system_sgpr_workgroup_id_y 0
		.amdhsa_system_sgpr_workgroup_id_z 1
		.amdhsa_system_sgpr_workgroup_info 0
		.amdhsa_system_vgpr_workitem_id 0
		.amdhsa_next_free_vgpr 12
		.amdhsa_next_free_sgpr 26
		.amdhsa_reserve_vcc 1
		.amdhsa_float_round_mode_32 0
		.amdhsa_float_round_mode_16_64 0
		.amdhsa_float_denorm_mode_32 3
		.amdhsa_float_denorm_mode_16_64 3
		.amdhsa_dx10_clamp 1
		.amdhsa_ieee_mode 1
		.amdhsa_fp16_overflow 0
		.amdhsa_workgroup_processor_mode 1
		.amdhsa_memory_ordered 1
		.amdhsa_forward_progress 0
		.amdhsa_shared_vgpr_count 0
		.amdhsa_exception_fp_ieee_invalid_op 0
		.amdhsa_exception_fp_denorm_src 0
		.amdhsa_exception_fp_ieee_div_zero 0
		.amdhsa_exception_fp_ieee_overflow 0
		.amdhsa_exception_fp_ieee_underflow 0
		.amdhsa_exception_fp_ieee_inexact 0
		.amdhsa_exception_int_div_zero 0
	.end_amdhsa_kernel
	.section	.text._ZL18rocblas_dot_kernelIlLb0ELi512ELi2ELb0EdPKddEviT5_lT_lS2_lS3_liPT6_PT4_,"axG",@progbits,_ZL18rocblas_dot_kernelIlLb0ELi512ELi2ELb0EdPKddEviT5_lT_lS2_lS3_liPT6_PT4_,comdat
.Lfunc_end72:
	.size	_ZL18rocblas_dot_kernelIlLb0ELi512ELi2ELb0EdPKddEviT5_lT_lS2_lS3_liPT6_PT4_, .Lfunc_end72-_ZL18rocblas_dot_kernelIlLb0ELi512ELi2ELb0EdPKddEviT5_lT_lS2_lS3_liPT6_PT4_
                                        ; -- End function
	.section	.AMDGPU.csdata,"",@progbits
; Kernel info:
; codeLenInByte = 1240
; NumSgprs: 28
; NumVgprs: 12
; ScratchSize: 0
; MemoryBound: 0
; FloatMode: 240
; IeeeMode: 1
; LDSByteSize: 256 bytes/workgroup (compile time only)
; SGPRBlocks: 3
; VGPRBlocks: 1
; NumSGPRsForWavesPerEU: 28
; NumVGPRsForWavesPerEU: 12
; Occupancy: 16
; WaveLimiterHint : 0
; COMPUTE_PGM_RSRC2:SCRATCH_EN: 0
; COMPUTE_PGM_RSRC2:USER_SGPR: 14
; COMPUTE_PGM_RSRC2:TRAP_HANDLER: 0
; COMPUTE_PGM_RSRC2:TGID_X_EN: 1
; COMPUTE_PGM_RSRC2:TGID_Y_EN: 0
; COMPUTE_PGM_RSRC2:TGID_Z_EN: 1
; COMPUTE_PGM_RSRC2:TIDIG_COMP_CNT: 0
	.section	.text._ZL24rocblas_dot_kernel_magsqIlLb0ELi512ELi2ELb0EdPKddEviT5_lT_liPT6_PT4_,"axG",@progbits,_ZL24rocblas_dot_kernel_magsqIlLb0ELi512ELi2ELb0EdPKddEviT5_lT_liPT6_PT4_,comdat
	.globl	_ZL24rocblas_dot_kernel_magsqIlLb0ELi512ELi2ELb0EdPKddEviT5_lT_liPT6_PT4_ ; -- Begin function _ZL24rocblas_dot_kernel_magsqIlLb0ELi512ELi2ELb0EdPKddEviT5_lT_liPT6_PT4_
	.p2align	8
	.type	_ZL24rocblas_dot_kernel_magsqIlLb0ELi512ELi2ELb0EdPKddEviT5_lT_liPT6_PT4_,@function
_ZL24rocblas_dot_kernel_magsqIlLb0ELi512ELi2ELb0EdPKddEviT5_lT_liPT6_PT4_: ; @_ZL24rocblas_dot_kernel_magsqIlLb0ELi512ELi2ELb0EdPKddEviT5_lT_liPT6_PT4_
; %bb.0:
	s_clause 0x1
	s_load_b32 s10, s[0:1], 0x0
	s_load_b32 s3, s[0:1], 0x40
	v_mov_b32_e32 v1, 0
	v_lshl_or_b32 v3, s14, 9, v0
	v_mov_b32_e32 v2, 0
	s_mov_b32 s8, s15
	s_mov_b32 s9, 0
	s_mov_b32 s2, exec_lo
	s_waitcnt lgkmcnt(0)
	v_cmpx_gt_i32_e64 s10, v3
	s_cbranch_execz .LBB73_4
; %bb.1:
	s_clause 0x2
	s_load_b128 s[4:7], s[0:1], 0x10
	s_load_b64 s[12:13], s[0:1], 0x20
	s_load_b64 s[16:17], s[0:1], 0x8
	v_ashrrev_i32_e32 v1, 31, v3
	s_waitcnt lgkmcnt(0)
	v_mul_lo_u32 v4, v3, s7
	s_delay_alu instid0(VALU_DEP_2)
	v_mul_lo_u32 v5, v1, s6
	v_mad_u64_u32 v[1:2], null, v3, s6, 0
	s_mul_i32 s11, s8, s13
	s_mul_hi_u32 s13, s8, s12
	s_mul_i32 s12, s8, s12
	s_add_i32 s13, s13, s11
	s_delay_alu instid0(SALU_CYCLE_1) | instskip(NEXT) | instid1(VALU_DEP_1)
	s_lshl_b64 s[12:13], s[12:13], 3
	v_add3_u32 v2, v2, v4, v5
	s_add_u32 s11, s16, s12
	s_addc_u32 s12, s17, s13
	s_lshl_b64 s[4:5], s[4:5], 3
	s_delay_alu instid0(VALU_DEP_1) | instskip(SKIP_3) | instid1(SALU_CYCLE_1)
	v_lshlrev_b64 v[1:2], 3, v[1:2]
	s_add_u32 s4, s11, s4
	s_addc_u32 s5, s12, s5
	s_add_i32 s11, s14, s3
	v_lshl_or_b32 v3, s11, 9, v0
	s_delay_alu instid0(VALU_DEP_2) | instskip(SKIP_1) | instid1(VALU_DEP_3)
	v_add_co_u32 v1, vcc_lo, s4, v1
	v_add_co_ci_u32_e32 v2, vcc_lo, s5, v2, vcc_lo
	v_cmp_gt_i32_e32 vcc_lo, s10, v3
	global_load_b64 v[1:2], v[1:2], off
	s_waitcnt vmcnt(0)
	v_mul_f64 v[1:2], v[1:2], v[1:2]
	s_and_saveexec_b32 s10, vcc_lo
	s_cbranch_execz .LBB73_3
; %bb.2:
	v_ashrrev_i32_e32 v6, 31, v3
	v_mul_lo_u32 v7, v3, s7
	v_mad_u64_u32 v[4:5], null, v3, s6, 0
	s_delay_alu instid0(VALU_DEP_3) | instskip(NEXT) | instid1(VALU_DEP_1)
	v_mul_lo_u32 v3, v6, s6
	v_add3_u32 v5, v5, v7, v3
	s_delay_alu instid0(VALU_DEP_1) | instskip(NEXT) | instid1(VALU_DEP_1)
	v_lshlrev_b64 v[3:4], 3, v[4:5]
	v_add_co_u32 v3, vcc_lo, s4, v3
	s_delay_alu instid0(VALU_DEP_2)
	v_add_co_ci_u32_e32 v4, vcc_lo, s5, v4, vcc_lo
	global_load_b64 v[3:4], v[3:4], off
	s_waitcnt vmcnt(0)
	v_fma_f64 v[1:2], v[3:4], v[3:4], v[1:2]
.LBB73_3:
	s_or_b32 exec_lo, exec_lo, s10
.LBB73_4:
	s_delay_alu instid0(SALU_CYCLE_1) | instskip(SKIP_2) | instid1(VALU_DEP_2)
	s_or_b32 exec_lo, exec_lo, s2
	v_and_b32_e32 v10, 31, v0
	v_cmp_gt_u32_e32 vcc_lo, 32, v0
	v_lshlrev_b32_e32 v5, 3, v10
	s_and_saveexec_b32 s2, vcc_lo
	s_cbranch_execz .LBB73_6
; %bb.5:
	v_mov_b32_e32 v3, 0
	s_delay_alu instid0(VALU_DEP_1)
	v_mov_b32_e32 v4, v3
	ds_store_b64 v5, v[3:4]
.LBB73_6:
	s_or_b32 exec_lo, exec_lo, s2
	v_mbcnt_lo_u32_b32 v9, -1, 0
	s_mov_b32 s4, exec_lo
	s_waitcnt lgkmcnt(0)
	s_barrier
	buffer_gl0_inv
	v_cmp_gt_u32_e64 s2, 16, v9
	s_delay_alu instid0(VALU_DEP_1) | instskip(SKIP_1) | instid1(VALU_DEP_2)
	v_cndmask_b32_e64 v3, 0, 1, s2
	v_cmp_gt_u32_e64 s2, 24, v9
	v_lshlrev_b32_e32 v3, 4, v3
	s_delay_alu instid0(VALU_DEP_1)
	v_add_lshl_u32 v4, v3, v9, 2
	ds_bpermute_b32 v3, v4, v1
	ds_bpermute_b32 v4, v4, v2
	s_waitcnt lgkmcnt(0)
	v_add_f64 v[1:2], v[1:2], v[3:4]
	v_cndmask_b32_e64 v3, 0, 1, s2
	v_cmp_gt_u32_e64 s2, 28, v9
	s_delay_alu instid0(VALU_DEP_2) | instskip(NEXT) | instid1(VALU_DEP_1)
	v_lshlrev_b32_e32 v3, 3, v3
	v_add_lshl_u32 v6, v3, v9, 2
	ds_bpermute_b32 v3, v6, v1
	ds_bpermute_b32 v4, v6, v2
	s_waitcnt lgkmcnt(0)
	v_add_f64 v[1:2], v[1:2], v[3:4]
	v_cndmask_b32_e64 v3, 0, 1, s2
	v_cmp_gt_u32_e64 s2, 30, v9
	s_delay_alu instid0(VALU_DEP_2) | instskip(NEXT) | instid1(VALU_DEP_1)
	v_lshlrev_b32_e32 v3, 2, v3
	v_add_lshl_u32 v7, v3, v9, 2
	ds_bpermute_b32 v3, v7, v1
	ds_bpermute_b32 v4, v7, v2
	s_waitcnt lgkmcnt(0)
	v_add_f64 v[1:2], v[1:2], v[3:4]
	v_cndmask_b32_e64 v3, 0, 1, s2
	v_cmp_ne_u32_e64 s2, 31, v9
	s_delay_alu instid0(VALU_DEP_2) | instskip(NEXT) | instid1(VALU_DEP_1)
	v_lshlrev_b32_e32 v3, 1, v3
	v_add_lshl_u32 v8, v3, v9, 2
	ds_bpermute_b32 v3, v8, v1
	ds_bpermute_b32 v4, v8, v2
	s_waitcnt lgkmcnt(0)
	v_add_f64 v[1:2], v[1:2], v[3:4]
	v_add_co_ci_u32_e64 v3, s2, 0, v9, s2
	s_delay_alu instid0(VALU_DEP_1)
	v_lshlrev_b32_e32 v9, 2, v3
	ds_bpermute_b32 v3, v9, v1
	ds_bpermute_b32 v4, v9, v2
	v_cmpx_eq_u32_e32 0, v10
	s_cbranch_execz .LBB73_8
; %bb.7:
	s_waitcnt lgkmcnt(0)
	v_add_f64 v[1:2], v[1:2], v[3:4]
	v_lshrrev_b32_e32 v3, 2, v0
	s_delay_alu instid0(VALU_DEP_1)
	v_and_b32_e32 v3, 0x78, v3
	ds_store_b64 v3, v[1:2]
.LBB73_8:
	s_or_b32 exec_lo, exec_lo, s4
	v_mov_b32_e32 v1, 0
	v_mov_b32_e32 v2, 0
	s_mov_b32 s4, exec_lo
	s_waitcnt lgkmcnt(0)
	s_barrier
	buffer_gl0_inv
	v_cmpx_gt_u32_e32 16, v0
	s_cbranch_execz .LBB73_10
; %bb.9:
	ds_load_b64 v[1:2], v5
.LBB73_10:
	s_or_b32 exec_lo, exec_lo, s4
	s_and_saveexec_b32 s2, vcc_lo
	s_cbranch_execz .LBB73_12
; %bb.11:
	s_waitcnt lgkmcnt(0)
	ds_bpermute_b32 v3, v6, v1
	ds_bpermute_b32 v4, v6, v2
	s_waitcnt lgkmcnt(0)
	v_add_f64 v[1:2], v[1:2], v[3:4]
	ds_bpermute_b32 v3, v7, v1
	ds_bpermute_b32 v4, v7, v2
	s_waitcnt lgkmcnt(0)
	v_add_f64 v[1:2], v[1:2], v[3:4]
	;; [unrolled: 4-line block ×4, first 2 shown]
.LBB73_12:
	s_or_b32 exec_lo, exec_lo, s2
	s_delay_alu instid0(SALU_CYCLE_1)
	s_mov_b32 s2, exec_lo
	v_cmpx_eq_u32_e32 0, v0
	s_cbranch_execz .LBB73_18
; %bb.13:
	s_cmp_lg_u32 s3, 1
	s_cbranch_scc0 .LBB73_15
; %bb.14:
	s_load_b64 s[4:5], s[0:1], 0x30
	s_mul_hi_u32 s7, s3, s8
	s_mul_i32 s6, s3, s8
	s_mov_b32 s15, 0
	s_lshl_b64 s[2:3], s[6:7], 3
	s_waitcnt lgkmcnt(0)
	s_add_u32 s4, s4, s2
	s_addc_u32 s5, s5, s3
	s_lshl_b64 s[2:3], s[14:15], 3
	s_delay_alu instid0(SALU_CYCLE_1)
	s_add_u32 s2, s4, s2
	s_addc_u32 s3, s5, s3
	s_cbranch_execz .LBB73_16
	s_branch .LBB73_17
.LBB73_15:
                                        ; implicit-def: $sgpr2_sgpr3
.LBB73_16:
	s_load_b64 s[0:1], s[0:1], 0x38
	s_lshl_b64 s[2:3], s[8:9], 3
	s_waitcnt lgkmcnt(0)
	s_add_u32 s2, s0, s2
	s_addc_u32 s3, s1, s3
.LBB73_17:
	v_mov_b32_e32 v0, 0
	s_waitcnt lgkmcnt(0)
	global_store_b64 v0, v[1:2], s[2:3]
.LBB73_18:
	s_nop 0
	s_sendmsg sendmsg(MSG_DEALLOC_VGPRS)
	s_endpgm
	.section	.rodata,"a",@progbits
	.p2align	6, 0x0
	.amdhsa_kernel _ZL24rocblas_dot_kernel_magsqIlLb0ELi512ELi2ELb0EdPKddEviT5_lT_liPT6_PT4_
		.amdhsa_group_segment_fixed_size 256
		.amdhsa_private_segment_fixed_size 0
		.amdhsa_kernarg_size 320
		.amdhsa_user_sgpr_count 14
		.amdhsa_user_sgpr_dispatch_ptr 0
		.amdhsa_user_sgpr_queue_ptr 0
		.amdhsa_user_sgpr_kernarg_segment_ptr 1
		.amdhsa_user_sgpr_dispatch_id 0
		.amdhsa_user_sgpr_private_segment_size 0
		.amdhsa_wavefront_size32 1
		.amdhsa_uses_dynamic_stack 0
		.amdhsa_enable_private_segment 0
		.amdhsa_system_sgpr_workgroup_id_x 1
		.amdhsa_system_sgpr_workgroup_id_y 0
		.amdhsa_system_sgpr_workgroup_id_z 1
		.amdhsa_system_sgpr_workgroup_info 0
		.amdhsa_system_vgpr_workitem_id 0
		.amdhsa_next_free_vgpr 11
		.amdhsa_next_free_sgpr 18
		.amdhsa_reserve_vcc 1
		.amdhsa_float_round_mode_32 0
		.amdhsa_float_round_mode_16_64 0
		.amdhsa_float_denorm_mode_32 3
		.amdhsa_float_denorm_mode_16_64 3
		.amdhsa_dx10_clamp 1
		.amdhsa_ieee_mode 1
		.amdhsa_fp16_overflow 0
		.amdhsa_workgroup_processor_mode 1
		.amdhsa_memory_ordered 1
		.amdhsa_forward_progress 0
		.amdhsa_shared_vgpr_count 0
		.amdhsa_exception_fp_ieee_invalid_op 0
		.amdhsa_exception_fp_denorm_src 0
		.amdhsa_exception_fp_ieee_div_zero 0
		.amdhsa_exception_fp_ieee_overflow 0
		.amdhsa_exception_fp_ieee_underflow 0
		.amdhsa_exception_fp_ieee_inexact 0
		.amdhsa_exception_int_div_zero 0
	.end_amdhsa_kernel
	.section	.text._ZL24rocblas_dot_kernel_magsqIlLb0ELi512ELi2ELb0EdPKddEviT5_lT_liPT6_PT4_,"axG",@progbits,_ZL24rocblas_dot_kernel_magsqIlLb0ELi512ELi2ELb0EdPKddEviT5_lT_liPT6_PT4_,comdat
.Lfunc_end73:
	.size	_ZL24rocblas_dot_kernel_magsqIlLb0ELi512ELi2ELb0EdPKddEviT5_lT_liPT6_PT4_, .Lfunc_end73-_ZL24rocblas_dot_kernel_magsqIlLb0ELi512ELi2ELb0EdPKddEviT5_lT_liPT6_PT4_
                                        ; -- End function
	.section	.AMDGPU.csdata,"",@progbits
; Kernel info:
; codeLenInByte = 1068
; NumSgprs: 20
; NumVgprs: 11
; ScratchSize: 0
; MemoryBound: 0
; FloatMode: 240
; IeeeMode: 1
; LDSByteSize: 256 bytes/workgroup (compile time only)
; SGPRBlocks: 2
; VGPRBlocks: 1
; NumSGPRsForWavesPerEU: 20
; NumVGPRsForWavesPerEU: 11
; Occupancy: 16
; WaveLimiterHint : 0
; COMPUTE_PGM_RSRC2:SCRATCH_EN: 0
; COMPUTE_PGM_RSRC2:USER_SGPR: 14
; COMPUTE_PGM_RSRC2:TRAP_HANDLER: 0
; COMPUTE_PGM_RSRC2:TGID_X_EN: 1
; COMPUTE_PGM_RSRC2:TGID_Y_EN: 0
; COMPUTE_PGM_RSRC2:TGID_Z_EN: 1
; COMPUTE_PGM_RSRC2:TIDIG_COMP_CNT: 0
	.section	.text._ZL28rocblas_dot_batched_4_kernelIiLi32ELi4ELb0E19rocblas_complex_numIfES1_PKS1_EviT5_lT_lS4_lS5_liPT4_,"axG",@progbits,_ZL28rocblas_dot_batched_4_kernelIiLi32ELi4ELb0E19rocblas_complex_numIfES1_PKS1_EviT5_lT_lS4_lS5_liPT4_,comdat
	.globl	_ZL28rocblas_dot_batched_4_kernelIiLi32ELi4ELb0E19rocblas_complex_numIfES1_PKS1_EviT5_lT_lS4_lS5_liPT4_ ; -- Begin function _ZL28rocblas_dot_batched_4_kernelIiLi32ELi4ELb0E19rocblas_complex_numIfES1_PKS1_EviT5_lT_lS4_lS5_liPT4_
	.p2align	8
	.type	_ZL28rocblas_dot_batched_4_kernelIiLi32ELi4ELb0E19rocblas_complex_numIfES1_PKS1_EviT5_lT_lS4_lS5_liPT4_,@function
_ZL28rocblas_dot_batched_4_kernelIiLi32ELi4ELb0E19rocblas_complex_numIfES1_PKS1_EviT5_lT_lS4_lS5_liPT4_: ; @_ZL28rocblas_dot_batched_4_kernelIiLi32ELi4ELb0E19rocblas_complex_numIfES1_PKS1_EviT5_lT_lS4_lS5_liPT4_
; %bb.0:
	s_load_b32 s2, s[0:1], 0x48
	v_bfe_u32 v1, v0, 10, 10
	s_delay_alu instid0(VALU_DEP_1) | instskip(SKIP_1) | instid1(VALU_DEP_1)
	v_lshl_add_u32 v1, s15, 2, v1
	s_waitcnt lgkmcnt(0)
	v_cmp_gt_u32_e32 vcc_lo, s2, v1
	s_and_saveexec_b32 s2, vcc_lo
	s_cbranch_execz .LBB74_7
; %bb.1:
	s_clause 0x1
	s_load_b32 s10, s[0:1], 0x0
	s_load_b64 s[8:9], s[0:1], 0x50
	v_mov_b32_e32 v2, 0
	v_and_b32_e32 v0, 0x3ff, v0
	s_mov_b32 s11, exec_lo
	s_delay_alu instid0(VALU_DEP_2)
	v_mov_b32_e32 v7, v2
	v_mov_b32_e32 v8, v2
	s_waitcnt lgkmcnt(0)
	v_cmpx_gt_i32_e64 s10, v0
	s_cbranch_execz .LBB74_5
; %bb.2:
	s_clause 0x5
	s_load_b64 s[12:13], s[0:1], 0x40
	s_load_b128 s[4:7], s[0:1], 0x20
	s_load_b32 s14, s[0:1], 0x18
	s_load_b32 s16, s[0:1], 0x38
	s_load_b64 s[18:19], s[0:1], 0x30
	s_load_b128 s[0:3], s[0:1], 0x8
	v_mov_b32_e32 v8, 0
	s_waitcnt lgkmcnt(0)
	v_mad_u64_u32 v[3:4], null, s12, v1, 0
	v_mad_u64_u32 v[5:6], null, s4, v1, 0
	v_mad_i64_i32 v[10:11], null, s16, v0, 0
	s_ashr_i32 s15, s14, 31
	s_ashr_i32 s17, s16, 31
	s_delay_alu instid0(VALU_DEP_2) | instskip(SKIP_1) | instid1(VALU_DEP_3)
	v_mad_u64_u32 v[12:13], null, s13, v1, v[4:5]
	v_mov_b32_e32 v7, 0
	v_lshlrev_b64 v[10:11], 3, v[10:11]
	s_lshl_b64 s[12:13], s[18:19], 3
	s_delay_alu instid0(SALU_CYCLE_1) | instskip(SKIP_1) | instid1(VALU_DEP_3)
	s_add_u32 s6, s6, s12
	s_addc_u32 s7, s7, s13
	v_mov_b32_e32 v4, v12
	v_mad_u64_u32 v[13:14], null, s5, v1, v[6:7]
	v_mad_i64_i32 v[14:15], null, s14, v0, 0
	v_mov_b32_e32 v9, v0
	s_delay_alu instid0(VALU_DEP_4) | instskip(SKIP_2) | instid1(VALU_DEP_4)
	v_lshlrev_b64 v[3:4], 3, v[3:4]
	s_lshl_b64 s[2:3], s[2:3], 3
	s_lshl_b64 s[4:5], s[16:17], 8
	v_mov_b32_e32 v6, v13
	s_add_u32 s0, s0, s2
	s_delay_alu instid0(VALU_DEP_4) | instskip(SKIP_1) | instid1(VALU_DEP_3)
	v_lshlrev_b64 v[12:13], 3, v[14:15]
	v_add_co_u32 v3, vcc_lo, v10, v3
	v_lshlrev_b64 v[5:6], 3, v[5:6]
	v_add_co_ci_u32_e32 v4, vcc_lo, v11, v4, vcc_lo
	s_addc_u32 s1, s1, s3
	s_lshl_b64 s[2:3], s[14:15], 8
	s_delay_alu instid0(VALU_DEP_2) | instskip(NEXT) | instid1(VALU_DEP_3)
	v_add_co_u32 v5, vcc_lo, v12, v5
	v_add_co_ci_u32_e32 v6, vcc_lo, v13, v6, vcc_lo
	v_add_co_u32 v3, vcc_lo, s6, v3
	v_add_co_ci_u32_e32 v4, vcc_lo, s7, v4, vcc_lo
	s_delay_alu instid0(VALU_DEP_4) | instskip(NEXT) | instid1(VALU_DEP_4)
	v_add_co_u32 v5, vcc_lo, s0, v5
	v_add_co_ci_u32_e32 v6, vcc_lo, s1, v6, vcc_lo
	s_delay_alu instid0(VALU_DEP_4) | instskip(NEXT) | instid1(VALU_DEP_4)
	;; [unrolled: 3-line block ×3, first 2 shown]
	v_add_co_u32 v5, vcc_lo, v5, 4
	v_add_co_ci_u32_e32 v6, vcc_lo, 0, v6, vcc_lo
	s_mov_b32 s1, 0
	.p2align	6
.LBB74_3:                               ; =>This Inner Loop Header: Depth=1
	global_load_b64 v[10:11], v[5:6], off offset:-4
	global_load_b64 v[12:13], v[3:4], off offset:-4
	v_add_nc_u32_e32 v9, 32, v9
	v_add_co_u32 v3, vcc_lo, v3, s4
	v_add_co_ci_u32_e32 v4, vcc_lo, s5, v4, vcc_lo
	v_add_co_u32 v5, vcc_lo, v5, s2
	s_delay_alu instid0(VALU_DEP_4) | instskip(SKIP_1) | instid1(VALU_DEP_2)
	v_cmp_le_i32_e64 s0, s10, v9
	v_add_co_ci_u32_e32 v6, vcc_lo, s3, v6, vcc_lo
	s_or_b32 s1, s0, s1
	s_waitcnt vmcnt(0)
	v_mul_f32_e32 v14, v11, v13
	v_mul_f32_e32 v13, v10, v13
	s_delay_alu instid0(VALU_DEP_2) | instskip(NEXT) | instid1(VALU_DEP_2)
	v_fma_f32 v10, v10, v12, -v14
	v_fmac_f32_e32 v13, v11, v12
	s_delay_alu instid0(VALU_DEP_1)
	v_dual_add_f32 v7, v7, v10 :: v_dual_add_f32 v8, v8, v13
	s_and_not1_b32 exec_lo, exec_lo, s1
	s_cbranch_execnz .LBB74_3
; %bb.4:
	s_or_b32 exec_lo, exec_lo, s1
.LBB74_5:
	s_delay_alu instid0(SALU_CYCLE_1)
	s_or_b32 exec_lo, exec_lo, s11
	v_mbcnt_lo_u32_b32 v3, -1, 0
	s_barrier
	buffer_gl0_inv
	v_cmp_gt_u32_e32 vcc_lo, 16, v3
	v_cndmask_b32_e64 v4, 0, 1, vcc_lo
	v_cmp_gt_u32_e32 vcc_lo, 24, v3
	s_delay_alu instid0(VALU_DEP_2) | instskip(SKIP_2) | instid1(VALU_DEP_3)
	v_lshlrev_b32_e32 v4, 4, v4
	v_cndmask_b32_e64 v6, 0, 1, vcc_lo
	v_cmp_gt_u32_e32 vcc_lo, 28, v3
	v_add_lshl_u32 v4, v4, v3, 2
	ds_bpermute_b32 v5, v4, v7
	ds_bpermute_b32 v4, v4, v8
	s_waitcnt lgkmcnt(1)
	v_dual_add_f32 v5, v7, v5 :: v_dual_lshlrev_b32 v6, 3, v6
	s_delay_alu instid0(VALU_DEP_1)
	v_add_lshl_u32 v6, v6, v3, 2
	ds_bpermute_b32 v7, v6, v5
	s_waitcnt lgkmcnt(0)
	v_dual_add_f32 v5, v5, v7 :: v_dual_add_f32 v4, v8, v4
	v_cndmask_b32_e64 v8, 0, 1, vcc_lo
	v_cmp_gt_u32_e32 vcc_lo, 30, v3
	ds_bpermute_b32 v6, v6, v4
	v_lshlrev_b32_e32 v8, 2, v8
	s_delay_alu instid0(VALU_DEP_1)
	v_add_lshl_u32 v8, v8, v3, 2
	s_waitcnt lgkmcnt(0)
	v_add_f32_e32 v4, v4, v6
	ds_bpermute_b32 v6, v8, v5
	ds_bpermute_b32 v7, v8, v4
	v_cndmask_b32_e64 v8, 0, 1, vcc_lo
	v_cmp_ne_u32_e32 vcc_lo, 31, v3
	s_waitcnt lgkmcnt(0)
	v_dual_add_f32 v5, v5, v6 :: v_dual_add_f32 v4, v4, v7
	s_delay_alu instid0(VALU_DEP_3) | instskip(NEXT) | instid1(VALU_DEP_1)
	v_lshlrev_b32_e32 v8, 1, v8
	v_add_lshl_u32 v8, v8, v3, 2
	v_add_co_ci_u32_e32 v3, vcc_lo, 0, v3, vcc_lo
	v_cmp_eq_u32_e32 vcc_lo, 0, v0
	ds_bpermute_b32 v6, v8, v5
	ds_bpermute_b32 v7, v8, v4
	s_waitcnt lgkmcnt(1)
	v_dual_add_f32 v3, v5, v6 :: v_dual_lshlrev_b32 v8, 2, v3
	s_waitcnt lgkmcnt(0)
	v_add_f32_e32 v5, v4, v7
	ds_bpermute_b32 v4, v8, v3
	ds_bpermute_b32 v6, v8, v5
	s_and_b32 exec_lo, exec_lo, vcc_lo
	s_cbranch_execz .LBB74_7
; %bb.6:
	v_lshlrev_b64 v[0:1], 3, v[1:2]
	s_waitcnt lgkmcnt(0)
	v_add_f32_e32 v2, v5, v6
	s_delay_alu instid0(VALU_DEP_2) | instskip(NEXT) | instid1(VALU_DEP_3)
	v_add_co_u32 v5, vcc_lo, s8, v0
	v_add_co_ci_u32_e32 v6, vcc_lo, s9, v1, vcc_lo
	v_add_f32_e32 v1, v3, v4
	global_store_b64 v[5:6], v[1:2], off
.LBB74_7:
	s_nop 0
	s_sendmsg sendmsg(MSG_DEALLOC_VGPRS)
	s_endpgm
	.section	.rodata,"a",@progbits
	.p2align	6, 0x0
	.amdhsa_kernel _ZL28rocblas_dot_batched_4_kernelIiLi32ELi4ELb0E19rocblas_complex_numIfES1_PKS1_EviT5_lT_lS4_lS5_liPT4_
		.amdhsa_group_segment_fixed_size 0
		.amdhsa_private_segment_fixed_size 0
		.amdhsa_kernarg_size 88
		.amdhsa_user_sgpr_count 15
		.amdhsa_user_sgpr_dispatch_ptr 0
		.amdhsa_user_sgpr_queue_ptr 0
		.amdhsa_user_sgpr_kernarg_segment_ptr 1
		.amdhsa_user_sgpr_dispatch_id 0
		.amdhsa_user_sgpr_private_segment_size 0
		.amdhsa_wavefront_size32 1
		.amdhsa_uses_dynamic_stack 0
		.amdhsa_enable_private_segment 0
		.amdhsa_system_sgpr_workgroup_id_x 1
		.amdhsa_system_sgpr_workgroup_id_y 0
		.amdhsa_system_sgpr_workgroup_id_z 0
		.amdhsa_system_sgpr_workgroup_info 0
		.amdhsa_system_vgpr_workitem_id 1
		.amdhsa_next_free_vgpr 16
		.amdhsa_next_free_sgpr 20
		.amdhsa_reserve_vcc 1
		.amdhsa_float_round_mode_32 0
		.amdhsa_float_round_mode_16_64 0
		.amdhsa_float_denorm_mode_32 3
		.amdhsa_float_denorm_mode_16_64 3
		.amdhsa_dx10_clamp 1
		.amdhsa_ieee_mode 1
		.amdhsa_fp16_overflow 0
		.amdhsa_workgroup_processor_mode 1
		.amdhsa_memory_ordered 1
		.amdhsa_forward_progress 0
		.amdhsa_shared_vgpr_count 0
		.amdhsa_exception_fp_ieee_invalid_op 0
		.amdhsa_exception_fp_denorm_src 0
		.amdhsa_exception_fp_ieee_div_zero 0
		.amdhsa_exception_fp_ieee_overflow 0
		.amdhsa_exception_fp_ieee_underflow 0
		.amdhsa_exception_fp_ieee_inexact 0
		.amdhsa_exception_int_div_zero 0
	.end_amdhsa_kernel
	.section	.text._ZL28rocblas_dot_batched_4_kernelIiLi32ELi4ELb0E19rocblas_complex_numIfES1_PKS1_EviT5_lT_lS4_lS5_liPT4_,"axG",@progbits,_ZL28rocblas_dot_batched_4_kernelIiLi32ELi4ELb0E19rocblas_complex_numIfES1_PKS1_EviT5_lT_lS4_lS5_liPT4_,comdat
.Lfunc_end74:
	.size	_ZL28rocblas_dot_batched_4_kernelIiLi32ELi4ELb0E19rocblas_complex_numIfES1_PKS1_EviT5_lT_lS4_lS5_liPT4_, .Lfunc_end74-_ZL28rocblas_dot_batched_4_kernelIiLi32ELi4ELb0E19rocblas_complex_numIfES1_PKS1_EviT5_lT_lS4_lS5_liPT4_
                                        ; -- End function
	.section	.AMDGPU.csdata,"",@progbits
; Kernel info:
; codeLenInByte = 880
; NumSgprs: 22
; NumVgprs: 16
; ScratchSize: 0
; MemoryBound: 0
; FloatMode: 240
; IeeeMode: 1
; LDSByteSize: 0 bytes/workgroup (compile time only)
; SGPRBlocks: 2
; VGPRBlocks: 1
; NumSGPRsForWavesPerEU: 22
; NumVGPRsForWavesPerEU: 16
; Occupancy: 16
; WaveLimiterHint : 0
; COMPUTE_PGM_RSRC2:SCRATCH_EN: 0
; COMPUTE_PGM_RSRC2:USER_SGPR: 15
; COMPUTE_PGM_RSRC2:TRAP_HANDLER: 0
; COMPUTE_PGM_RSRC2:TGID_X_EN: 1
; COMPUTE_PGM_RSRC2:TGID_Y_EN: 0
; COMPUTE_PGM_RSRC2:TGID_Z_EN: 0
; COMPUTE_PGM_RSRC2:TIDIG_COMP_CNT: 1
	.section	.text._ZL28rocblas_dot_batched_4_kernelIiLi64ELi4ELb0E19rocblas_complex_numIfES1_PKS1_EviT5_lT_lS4_lS5_liPT4_,"axG",@progbits,_ZL28rocblas_dot_batched_4_kernelIiLi64ELi4ELb0E19rocblas_complex_numIfES1_PKS1_EviT5_lT_lS4_lS5_liPT4_,comdat
	.globl	_ZL28rocblas_dot_batched_4_kernelIiLi64ELi4ELb0E19rocblas_complex_numIfES1_PKS1_EviT5_lT_lS4_lS5_liPT4_ ; -- Begin function _ZL28rocblas_dot_batched_4_kernelIiLi64ELi4ELb0E19rocblas_complex_numIfES1_PKS1_EviT5_lT_lS4_lS5_liPT4_
	.p2align	8
	.type	_ZL28rocblas_dot_batched_4_kernelIiLi64ELi4ELb0E19rocblas_complex_numIfES1_PKS1_EviT5_lT_lS4_lS5_liPT4_,@function
_ZL28rocblas_dot_batched_4_kernelIiLi64ELi4ELb0E19rocblas_complex_numIfES1_PKS1_EviT5_lT_lS4_lS5_liPT4_: ; @_ZL28rocblas_dot_batched_4_kernelIiLi64ELi4ELb0E19rocblas_complex_numIfES1_PKS1_EviT5_lT_lS4_lS5_liPT4_
; %bb.0:
	s_load_b32 s2, s[0:1], 0x48
	v_bfe_u32 v1, v0, 10, 10
	s_delay_alu instid0(VALU_DEP_1) | instskip(SKIP_1) | instid1(VALU_DEP_1)
	v_lshl_add_u32 v1, s15, 2, v1
	s_waitcnt lgkmcnt(0)
	v_cmp_gt_u32_e32 vcc_lo, s2, v1
	s_and_saveexec_b32 s2, vcc_lo
	s_cbranch_execz .LBB75_7
; %bb.1:
	s_clause 0x1
	s_load_b32 s10, s[0:1], 0x0
	s_load_b64 s[8:9], s[0:1], 0x50
	v_mov_b32_e32 v2, 0
	v_and_b32_e32 v0, 0x3ff, v0
	s_mov_b32 s11, exec_lo
	s_delay_alu instid0(VALU_DEP_2)
	v_mov_b32_e32 v7, v2
	v_mov_b32_e32 v9, v2
	s_waitcnt lgkmcnt(0)
	v_cmpx_gt_i32_e64 s10, v0
	s_cbranch_execz .LBB75_5
; %bb.2:
	s_clause 0x4
	s_load_b64 s[12:13], s[0:1], 0x40
	s_load_b128 s[4:7], s[0:1], 0x20
	s_load_b32 s14, s[0:1], 0x18
	s_load_b32 s16, s[0:1], 0x38
	s_load_b64 s[18:19], s[0:1], 0x30
	v_dual_mov_b32 v7, 0 :: v_dual_mov_b32 v8, v0
	s_load_b128 s[0:3], s[0:1], 0x8
	s_waitcnt lgkmcnt(0)
	v_mad_u64_u32 v[3:4], null, s12, v1, 0
	v_mad_u64_u32 v[5:6], null, s4, v1, 0
	v_mad_i64_i32 v[9:10], null, s16, v0, 0
	s_ashr_i32 s15, s14, 31
	s_ashr_i32 s17, s16, 31
	s_delay_alu instid0(VALU_DEP_2) | instskip(NEXT) | instid1(VALU_DEP_3)
	v_mad_u64_u32 v[11:12], null, s13, v1, v[4:5]
	v_mad_u64_u32 v[12:13], null, s5, v1, v[6:7]
	v_mad_i64_i32 v[13:14], null, s14, v0, 0
	s_delay_alu instid0(VALU_DEP_4) | instskip(SKIP_1) | instid1(VALU_DEP_4)
	v_lshlrev_b64 v[9:10], 3, v[9:10]
	s_lshl_b64 s[12:13], s[18:19], 3
	v_mov_b32_e32 v4, v11
	s_add_u32 s6, s6, s12
	s_delay_alu instid0(VALU_DEP_4) | instskip(SKIP_1) | instid1(VALU_DEP_4)
	v_mov_b32_e32 v6, v12
	s_addc_u32 s7, s7, s13
	v_lshlrev_b64 v[11:12], 3, v[13:14]
	v_lshlrev_b64 v[3:4], 3, v[3:4]
	s_lshl_b64 s[2:3], s[2:3], 3
	v_lshlrev_b64 v[5:6], 3, v[5:6]
	s_lshl_b64 s[4:5], s[16:17], 9
	s_add_u32 s0, s0, s2
	s_addc_u32 s1, s1, s3
	v_add_co_u32 v3, vcc_lo, v9, v3
	v_mov_b32_e32 v9, 0
	v_add_co_ci_u32_e32 v4, vcc_lo, v10, v4, vcc_lo
	v_add_co_u32 v5, vcc_lo, v11, v5
	v_add_co_ci_u32_e32 v6, vcc_lo, v12, v6, vcc_lo
	v_add_co_u32 v3, vcc_lo, s6, v3
	s_delay_alu instid0(VALU_DEP_4) | instskip(NEXT) | instid1(VALU_DEP_4)
	v_add_co_ci_u32_e32 v4, vcc_lo, s7, v4, vcc_lo
	v_add_co_u32 v5, vcc_lo, s0, v5
	s_delay_alu instid0(VALU_DEP_4) | instskip(NEXT) | instid1(VALU_DEP_4)
	v_add_co_ci_u32_e32 v6, vcc_lo, s1, v6, vcc_lo
	v_add_co_u32 v3, vcc_lo, v3, 4
	s_delay_alu instid0(VALU_DEP_4) | instskip(NEXT) | instid1(VALU_DEP_4)
	v_add_co_ci_u32_e32 v4, vcc_lo, 0, v4, vcc_lo
	v_add_co_u32 v5, vcc_lo, v5, 4
	s_delay_alu instid0(VALU_DEP_4)
	v_add_co_ci_u32_e32 v6, vcc_lo, 0, v6, vcc_lo
	s_lshl_b64 s[2:3], s[14:15], 9
	s_mov_b32 s1, 0
	.p2align	6
.LBB75_3:                               ; =>This Inner Loop Header: Depth=1
	global_load_b64 v[10:11], v[5:6], off offset:-4
	global_load_b64 v[12:13], v[3:4], off offset:-4
	v_add_nc_u32_e32 v8, 64, v8
	v_add_co_u32 v3, vcc_lo, v3, s4
	v_add_co_ci_u32_e32 v4, vcc_lo, s5, v4, vcc_lo
	v_add_co_u32 v5, vcc_lo, v5, s2
	v_add_co_ci_u32_e32 v6, vcc_lo, s3, v6, vcc_lo
	s_waitcnt vmcnt(0)
	v_mul_f32_e32 v14, v11, v13
	v_mul_f32_e32 v13, v10, v13
	v_cmp_le_i32_e64 s0, s10, v8
	s_delay_alu instid0(VALU_DEP_3) | instskip(NEXT) | instid1(VALU_DEP_3)
	v_fma_f32 v10, v10, v12, -v14
	v_fmac_f32_e32 v13, v11, v12
	s_delay_alu instid0(VALU_DEP_3) | instskip(NEXT) | instid1(VALU_DEP_2)
	s_or_b32 s1, s0, s1
	v_add_f32_e32 v7, v7, v10
	s_delay_alu instid0(VALU_DEP_2)
	v_add_f32_e32 v9, v9, v13
	s_and_not1_b32 exec_lo, exec_lo, s1
	s_cbranch_execnz .LBB75_3
; %bb.4:
	s_or_b32 exec_lo, exec_lo, s1
.LBB75_5:
	s_delay_alu instid0(SALU_CYCLE_1)
	s_or_b32 exec_lo, exec_lo, s11
	v_mbcnt_lo_u32_b32 v3, -1, 0
	s_barrier
	buffer_gl0_inv
	v_lshlrev_b32_e32 v4, 2, v3
	v_cmp_gt_u32_e32 vcc_lo, 16, v3
	ds_bpermute_b32 v5, v4, v7
	v_cndmask_b32_e64 v6, 0, 1, vcc_lo
	v_cmp_gt_u32_e32 vcc_lo, 24, v3
	v_cndmask_b32_e64 v8, 0, 1, vcc_lo
	v_cmp_gt_u32_e32 vcc_lo, 28, v3
	s_waitcnt lgkmcnt(0)
	v_add_f32_e32 v5, v7, v5
	ds_bpermute_b32 v4, v4, v9
	v_lshlrev_b32_e32 v6, 4, v6
	s_delay_alu instid0(VALU_DEP_1)
	v_add_lshl_u32 v6, v6, v3, 2
	ds_bpermute_b32 v7, v6, v5
	s_waitcnt lgkmcnt(1)
	v_add_f32_e32 v4, v9, v4
	ds_bpermute_b32 v6, v6, v4
	s_waitcnt lgkmcnt(1)
	v_dual_add_f32 v5, v5, v7 :: v_dual_lshlrev_b32 v8, 3, v8
	s_delay_alu instid0(VALU_DEP_1)
	v_add_lshl_u32 v8, v8, v3, 2
	s_waitcnt lgkmcnt(0)
	v_add_f32_e32 v4, v4, v6
	ds_bpermute_b32 v6, v8, v5
	ds_bpermute_b32 v7, v8, v4
	v_cndmask_b32_e64 v8, 0, 1, vcc_lo
	v_cmp_gt_u32_e32 vcc_lo, 30, v3
	s_waitcnt lgkmcnt(1)
	s_delay_alu instid0(VALU_DEP_2) | instskip(NEXT) | instid1(VALU_DEP_1)
	v_dual_add_f32 v5, v5, v6 :: v_dual_lshlrev_b32 v8, 2, v8
	v_add_lshl_u32 v8, v8, v3, 2
	ds_bpermute_b32 v6, v8, v5
	s_waitcnt lgkmcnt(0)
	v_dual_add_f32 v5, v5, v6 :: v_dual_add_f32 v4, v4, v7
	ds_bpermute_b32 v7, v8, v4
	v_cndmask_b32_e64 v8, 0, 1, vcc_lo
	v_cmp_ne_u32_e32 vcc_lo, 31, v3
	s_waitcnt lgkmcnt(0)
	v_add_f32_e32 v4, v4, v7
	s_delay_alu instid0(VALU_DEP_3) | instskip(NEXT) | instid1(VALU_DEP_1)
	v_lshlrev_b32_e32 v8, 1, v8
	v_add_lshl_u32 v8, v8, v3, 2
	v_add_co_ci_u32_e32 v3, vcc_lo, 0, v3, vcc_lo
	v_cmp_eq_u32_e32 vcc_lo, 0, v0
	ds_bpermute_b32 v6, v8, v5
	ds_bpermute_b32 v7, v8, v4
	s_waitcnt lgkmcnt(1)
	v_dual_add_f32 v3, v5, v6 :: v_dual_lshlrev_b32 v8, 2, v3
	s_waitcnt lgkmcnt(0)
	v_add_f32_e32 v5, v4, v7
	ds_bpermute_b32 v4, v8, v3
	ds_bpermute_b32 v6, v8, v5
	s_and_b32 exec_lo, exec_lo, vcc_lo
	s_cbranch_execz .LBB75_7
; %bb.6:
	v_lshlrev_b64 v[0:1], 3, v[1:2]
	s_waitcnt lgkmcnt(0)
	v_add_f32_e32 v2, v5, v6
	s_delay_alu instid0(VALU_DEP_2) | instskip(NEXT) | instid1(VALU_DEP_3)
	v_add_co_u32 v5, vcc_lo, s8, v0
	v_add_co_ci_u32_e32 v6, vcc_lo, s9, v1, vcc_lo
	v_add_f32_e32 v1, v3, v4
	global_store_b64 v[5:6], v[1:2], off
.LBB75_7:
	s_nop 0
	s_sendmsg sendmsg(MSG_DEALLOC_VGPRS)
	s_endpgm
	.section	.rodata,"a",@progbits
	.p2align	6, 0x0
	.amdhsa_kernel _ZL28rocblas_dot_batched_4_kernelIiLi64ELi4ELb0E19rocblas_complex_numIfES1_PKS1_EviT5_lT_lS4_lS5_liPT4_
		.amdhsa_group_segment_fixed_size 0
		.amdhsa_private_segment_fixed_size 0
		.amdhsa_kernarg_size 88
		.amdhsa_user_sgpr_count 15
		.amdhsa_user_sgpr_dispatch_ptr 0
		.amdhsa_user_sgpr_queue_ptr 0
		.amdhsa_user_sgpr_kernarg_segment_ptr 1
		.amdhsa_user_sgpr_dispatch_id 0
		.amdhsa_user_sgpr_private_segment_size 0
		.amdhsa_wavefront_size32 1
		.amdhsa_uses_dynamic_stack 0
		.amdhsa_enable_private_segment 0
		.amdhsa_system_sgpr_workgroup_id_x 1
		.amdhsa_system_sgpr_workgroup_id_y 0
		.amdhsa_system_sgpr_workgroup_id_z 0
		.amdhsa_system_sgpr_workgroup_info 0
		.amdhsa_system_vgpr_workitem_id 1
		.amdhsa_next_free_vgpr 15
		.amdhsa_next_free_sgpr 20
		.amdhsa_reserve_vcc 1
		.amdhsa_float_round_mode_32 0
		.amdhsa_float_round_mode_16_64 0
		.amdhsa_float_denorm_mode_32 3
		.amdhsa_float_denorm_mode_16_64 3
		.amdhsa_dx10_clamp 1
		.amdhsa_ieee_mode 1
		.amdhsa_fp16_overflow 0
		.amdhsa_workgroup_processor_mode 1
		.amdhsa_memory_ordered 1
		.amdhsa_forward_progress 0
		.amdhsa_shared_vgpr_count 0
		.amdhsa_exception_fp_ieee_invalid_op 0
		.amdhsa_exception_fp_denorm_src 0
		.amdhsa_exception_fp_ieee_div_zero 0
		.amdhsa_exception_fp_ieee_overflow 0
		.amdhsa_exception_fp_ieee_underflow 0
		.amdhsa_exception_fp_ieee_inexact 0
		.amdhsa_exception_int_div_zero 0
	.end_amdhsa_kernel
	.section	.text._ZL28rocblas_dot_batched_4_kernelIiLi64ELi4ELb0E19rocblas_complex_numIfES1_PKS1_EviT5_lT_lS4_lS5_liPT4_,"axG",@progbits,_ZL28rocblas_dot_batched_4_kernelIiLi64ELi4ELb0E19rocblas_complex_numIfES1_PKS1_EviT5_lT_lS4_lS5_liPT4_,comdat
.Lfunc_end75:
	.size	_ZL28rocblas_dot_batched_4_kernelIiLi64ELi4ELb0E19rocblas_complex_numIfES1_PKS1_EviT5_lT_lS4_lS5_liPT4_, .Lfunc_end75-_ZL28rocblas_dot_batched_4_kernelIiLi64ELi4ELb0E19rocblas_complex_numIfES1_PKS1_EviT5_lT_lS4_lS5_liPT4_
                                        ; -- End function
	.section	.AMDGPU.csdata,"",@progbits
; Kernel info:
; codeLenInByte = 916
; NumSgprs: 22
; NumVgprs: 15
; ScratchSize: 0
; MemoryBound: 0
; FloatMode: 240
; IeeeMode: 1
; LDSByteSize: 0 bytes/workgroup (compile time only)
; SGPRBlocks: 2
; VGPRBlocks: 1
; NumSGPRsForWavesPerEU: 22
; NumVGPRsForWavesPerEU: 15
; Occupancy: 16
; WaveLimiterHint : 0
; COMPUTE_PGM_RSRC2:SCRATCH_EN: 0
; COMPUTE_PGM_RSRC2:USER_SGPR: 15
; COMPUTE_PGM_RSRC2:TRAP_HANDLER: 0
; COMPUTE_PGM_RSRC2:TGID_X_EN: 1
; COMPUTE_PGM_RSRC2:TGID_Y_EN: 0
; COMPUTE_PGM_RSRC2:TGID_Z_EN: 0
; COMPUTE_PGM_RSRC2:TIDIG_COMP_CNT: 1
	.section	.text._ZL26rocblas_dot_kernel_inc1by2ILb1ELi1024ELi32ELb0E19rocblas_complex_numIfEPKS1_S1_EviT4_llS4_lliPT5_PT3_,"axG",@progbits,_ZL26rocblas_dot_kernel_inc1by2ILb1ELi1024ELi32ELb0E19rocblas_complex_numIfEPKS1_S1_EviT4_llS4_lliPT5_PT3_,comdat
	.globl	_ZL26rocblas_dot_kernel_inc1by2ILb1ELi1024ELi32ELb0E19rocblas_complex_numIfEPKS1_S1_EviT4_llS4_lliPT5_PT3_ ; -- Begin function _ZL26rocblas_dot_kernel_inc1by2ILb1ELi1024ELi32ELb0E19rocblas_complex_numIfEPKS1_S1_EviT4_llS4_lliPT5_PT3_
	.p2align	8
	.type	_ZL26rocblas_dot_kernel_inc1by2ILb1ELi1024ELi32ELb0E19rocblas_complex_numIfEPKS1_S1_EviT4_llS4_lliPT5_PT3_,@function
_ZL26rocblas_dot_kernel_inc1by2ILb1ELi1024ELi32ELb0E19rocblas_complex_numIfEPKS1_S1_EviT4_llS4_lliPT5_PT3_: ; @_ZL26rocblas_dot_kernel_inc1by2ILb1ELi1024ELi32ELb0E19rocblas_complex_numIfEPKS1_S1_EviT4_llS4_lliPT5_PT3_
; %bb.0:
	s_clause 0x1
	s_load_b32 s6, s[0:1], 0x0
	s_load_b64 s[2:3], s[0:1], 0x48
	v_mov_b32_e32 v5, 0
	v_mov_b32_e32 v7, 0
	s_mov_b32 s4, s15
	s_mov_b32 s5, 0
	s_mov_b32 s7, exec_lo
	s_waitcnt lgkmcnt(0)
	v_cmpx_gt_i32_e64 s6, v0
	s_cbranch_execz .LBB76_4
; %bb.1:
	s_clause 0x3
	s_load_b128 s[8:11], s[0:1], 0x28
	s_load_b128 s[12:15], s[0:1], 0x10
	s_load_b64 s[16:17], s[0:1], 0x20
	s_load_b64 s[0:1], s[0:1], 0x8
	v_lshlrev_b32_e32 v1, 3, v0
	v_or_b32_e32 v6, 0x400, v0
	v_mov_b32_e32 v5, 0
	v_mov_b32_e32 v7, 0
	s_waitcnt lgkmcnt(0)
	s_mul_i32 s11, s11, s4
	s_mul_hi_u32 s18, s10, s4
	s_mul_i32 s10, s10, s4
	s_add_i32 s11, s18, s11
	s_lshl_b64 s[8:9], s[8:9], 3
	s_lshl_b64 s[10:11], s[10:11], 3
	s_mul_i32 s15, s15, s4
	s_add_u32 s8, s10, s8
	s_mul_hi_u32 s18, s14, s4
	s_addc_u32 s9, s11, s9
	s_add_u32 s16, s16, s8
	s_mul_i32 s14, s14, s4
	s_addc_u32 s17, s17, s9
	s_add_i32 s15, s18, s15
	s_lshl_b64 s[8:9], s[12:13], 3
	s_lshl_b64 s[10:11], s[14:15], 3
	s_delay_alu instid0(SALU_CYCLE_1) | instskip(SKIP_4) | instid1(VALU_DEP_1)
	s_add_u32 s8, s10, s8
	s_addc_u32 s9, s11, s9
	s_add_u32 s0, s0, s8
	s_addc_u32 s1, s1, s9
	v_add_co_u32 v3, s0, s0, v1
	v_add_co_ci_u32_e64 v4, null, s1, 0, s0
	v_add_co_u32 v1, s0, s16, v1
	s_delay_alu instid0(VALU_DEP_3) | instskip(SKIP_1) | instid1(VALU_DEP_4)
	v_add_co_u32 v3, vcc_lo, v3, 4
	v_add_co_ci_u32_e64 v2, null, s17, 0, s0
	v_add_co_ci_u32_e32 v4, vcc_lo, 0, v4, vcc_lo
	s_mov_b32 s1, s5
	s_mov_b32 s8, s5
	s_set_inst_prefetch_distance 0x1
	.p2align	6
.LBB76_2:                               ; =>This Inner Loop Header: Depth=1
	global_load_b64 v[8:9], v[1:2], off
	global_load_b64 v[10:11], v[3:4], off offset:-4
	v_cmp_le_i32_e32 vcc_lo, s6, v6
	v_add_nc_u32_e32 v6, 0x400, v6
	v_add_co_u32 v1, s0, 0x2000, v1
	s_delay_alu instid0(VALU_DEP_1)
	v_add_co_ci_u32_e64 v2, s0, 0, v2, s0
	s_add_i32 s9, s8, 1
	v_add_co_u32 v3, s0, 0x2000, v3
	s_cmp_gt_u32 s8, 30
	v_add_co_ci_u32_e64 v4, s0, 0, v4, s0
	s_cselect_b32 s0, -1, 0
	s_mov_b32 s8, s9
	s_or_b32 s0, s0, vcc_lo
	s_delay_alu instid0(SALU_CYCLE_1) | instskip(NEXT) | instid1(SALU_CYCLE_1)
	s_and_b32 s0, exec_lo, s0
	s_or_b32 s1, s0, s1
	s_waitcnt vmcnt(0)
	v_mul_f32_e32 v12, v11, v9
	v_mul_f32_e32 v9, v10, v9
	s_delay_alu instid0(VALU_DEP_2) | instskip(NEXT) | instid1(VALU_DEP_2)
	v_fma_f32 v10, v10, v8, -v12
	v_fmac_f32_e32 v9, v11, v8
	s_delay_alu instid0(VALU_DEP_2) | instskip(NEXT) | instid1(VALU_DEP_2)
	v_add_f32_e32 v7, v7, v10
	v_add_f32_e32 v5, v5, v9
	s_and_not1_b32 exec_lo, exec_lo, s1
	s_cbranch_execnz .LBB76_2
; %bb.3:
	s_set_inst_prefetch_distance 0x2
	s_or_b32 exec_lo, exec_lo, s1
.LBB76_4:
	s_delay_alu instid0(SALU_CYCLE_1) | instskip(SKIP_2) | instid1(VALU_DEP_2)
	s_or_b32 exec_lo, exec_lo, s7
	v_and_b32_e32 v1, 31, v0
	v_cmp_gt_u32_e32 vcc_lo, 32, v0
	v_lshlrev_b32_e32 v3, 3, v1
	s_and_saveexec_b32 s0, vcc_lo
	s_cbranch_execz .LBB76_6
; %bb.5:
	v_mov_b32_e32 v8, 0
	s_delay_alu instid0(VALU_DEP_1)
	v_mov_b32_e32 v9, v8
	ds_store_b64 v3, v[8:9]
.LBB76_6:
	s_or_b32 exec_lo, exec_lo, s0
	v_mbcnt_lo_u32_b32 v2, -1, 0
	s_mov_b32 s1, exec_lo
	s_waitcnt lgkmcnt(0)
	s_barrier
	buffer_gl0_inv
	v_cmp_gt_u32_e64 s0, 16, v2
	s_delay_alu instid0(VALU_DEP_1) | instskip(SKIP_1) | instid1(VALU_DEP_2)
	v_cndmask_b32_e64 v4, 0, 1, s0
	v_cmp_gt_u32_e64 s0, 24, v2
	v_lshlrev_b32_e32 v4, 4, v4
	s_delay_alu instid0(VALU_DEP_2) | instskip(SKIP_1) | instid1(VALU_DEP_3)
	v_cndmask_b32_e64 v6, 0, 1, s0
	v_cmp_gt_u32_e64 s0, 28, v2
	v_add_lshl_u32 v4, v4, v2, 2
	ds_bpermute_b32 v8, v4, v7
	ds_bpermute_b32 v9, v4, v5
	s_waitcnt lgkmcnt(1)
	v_dual_add_f32 v7, v7, v8 :: v_dual_lshlrev_b32 v6, 3, v6
	s_delay_alu instid0(VALU_DEP_1)
	v_add_lshl_u32 v6, v6, v2, 2
	s_waitcnt lgkmcnt(0)
	v_add_f32_e32 v8, v5, v9
	v_cndmask_b32_e64 v5, 0, 1, s0
	v_cmp_gt_u32_e64 s0, 30, v2
	ds_bpermute_b32 v9, v6, v7
	s_waitcnt lgkmcnt(0)
	v_add_f32_e32 v9, v7, v9
	v_cndmask_b32_e64 v7, 0, 1, s0
	v_cmp_ne_u32_e64 s0, 31, v2
	s_delay_alu instid0(VALU_DEP_2)
	v_lshlrev_b32_e32 v7, 1, v7
	ds_bpermute_b32 v10, v6, v8
	v_lshlrev_b32_e32 v5, 2, v5
	v_add_lshl_u32 v7, v7, v2, 2
	s_waitcnt lgkmcnt(0)
	v_add_f32_e32 v8, v8, v10
	s_delay_alu instid0(VALU_DEP_3)
	v_add_lshl_u32 v5, v5, v2, 2
	v_add_co_ci_u32_e64 v2, s0, 0, v2, s0
	ds_bpermute_b32 v10, v5, v9
	ds_bpermute_b32 v11, v5, v8
	s_waitcnt lgkmcnt(0)
	v_dual_add_f32 v9, v9, v10 :: v_dual_add_f32 v10, v8, v11
	ds_bpermute_b32 v11, v7, v9
	ds_bpermute_b32 v12, v7, v10
	v_lshlrev_b32_e32 v8, 2, v2
	s_waitcnt lgkmcnt(0)
	v_dual_add_f32 v2, v9, v11 :: v_dual_add_f32 v9, v10, v12
	ds_bpermute_b32 v10, v8, v2
	ds_bpermute_b32 v11, v8, v9
	v_cmpx_eq_u32_e32 0, v1
	s_cbranch_execz .LBB76_8
; %bb.7:
	v_lshrrev_b32_e32 v12, 2, v0
	s_waitcnt lgkmcnt(0)
	v_dual_add_f32 v1, v2, v10 :: v_dual_add_f32 v2, v9, v11
	s_delay_alu instid0(VALU_DEP_2)
	v_and_b32_e32 v9, 0xf8, v12
	ds_store_b64 v9, v[1:2]
.LBB76_8:
	s_or_b32 exec_lo, exec_lo, s1
	v_dual_mov_b32 v2, 0 :: v_dual_mov_b32 v1, 0
	s_waitcnt lgkmcnt(0)
	s_barrier
	buffer_gl0_inv
	s_and_saveexec_b32 s0, vcc_lo
	s_cbranch_execz .LBB76_10
; %bb.9:
	ds_load_b64 v[1:2], v3
.LBB76_10:
	s_or_b32 exec_lo, exec_lo, s0
	s_and_saveexec_b32 s0, vcc_lo
	s_cbranch_execz .LBB76_12
; %bb.11:
	s_waitcnt lgkmcnt(0)
	ds_bpermute_b32 v3, v4, v1
	ds_bpermute_b32 v4, v4, v2
	s_waitcnt lgkmcnt(0)
	v_dual_add_f32 v1, v1, v3 :: v_dual_add_f32 v2, v2, v4
	ds_bpermute_b32 v3, v6, v1
	ds_bpermute_b32 v4, v6, v2
	s_waitcnt lgkmcnt(0)
	v_dual_add_f32 v1, v1, v3 :: v_dual_add_f32 v2, v2, v4
	;; [unrolled: 4-line block ×5, first 2 shown]
.LBB76_12:
	s_or_b32 exec_lo, exec_lo, s0
	s_delay_alu instid0(SALU_CYCLE_1)
	s_mov_b32 s0, exec_lo
	v_cmpx_eq_u32_e32 0, v0
	s_cbranch_execz .LBB76_14
; %bb.13:
	s_lshl_b64 s[0:1], s[4:5], 3
	v_mov_b32_e32 v0, 0
	s_add_u32 s0, s2, s0
	s_addc_u32 s1, s3, s1
	s_waitcnt lgkmcnt(0)
	global_store_b64 v0, v[1:2], s[0:1]
.LBB76_14:
	s_nop 0
	s_sendmsg sendmsg(MSG_DEALLOC_VGPRS)
	s_endpgm
	.section	.rodata,"a",@progbits
	.p2align	6, 0x0
	.amdhsa_kernel _ZL26rocblas_dot_kernel_inc1by2ILb1ELi1024ELi32ELb0E19rocblas_complex_numIfEPKS1_S1_EviT4_llS4_lliPT5_PT3_
		.amdhsa_group_segment_fixed_size 256
		.amdhsa_private_segment_fixed_size 0
		.amdhsa_kernarg_size 80
		.amdhsa_user_sgpr_count 14
		.amdhsa_user_sgpr_dispatch_ptr 0
		.amdhsa_user_sgpr_queue_ptr 0
		.amdhsa_user_sgpr_kernarg_segment_ptr 1
		.amdhsa_user_sgpr_dispatch_id 0
		.amdhsa_user_sgpr_private_segment_size 0
		.amdhsa_wavefront_size32 1
		.amdhsa_uses_dynamic_stack 0
		.amdhsa_enable_private_segment 0
		.amdhsa_system_sgpr_workgroup_id_x 1
		.amdhsa_system_sgpr_workgroup_id_y 0
		.amdhsa_system_sgpr_workgroup_id_z 1
		.amdhsa_system_sgpr_workgroup_info 0
		.amdhsa_system_vgpr_workitem_id 0
		.amdhsa_next_free_vgpr 13
		.amdhsa_next_free_sgpr 19
		.amdhsa_reserve_vcc 1
		.amdhsa_float_round_mode_32 0
		.amdhsa_float_round_mode_16_64 0
		.amdhsa_float_denorm_mode_32 3
		.amdhsa_float_denorm_mode_16_64 3
		.amdhsa_dx10_clamp 1
		.amdhsa_ieee_mode 1
		.amdhsa_fp16_overflow 0
		.amdhsa_workgroup_processor_mode 1
		.amdhsa_memory_ordered 1
		.amdhsa_forward_progress 0
		.amdhsa_shared_vgpr_count 0
		.amdhsa_exception_fp_ieee_invalid_op 0
		.amdhsa_exception_fp_denorm_src 0
		.amdhsa_exception_fp_ieee_div_zero 0
		.amdhsa_exception_fp_ieee_overflow 0
		.amdhsa_exception_fp_ieee_underflow 0
		.amdhsa_exception_fp_ieee_inexact 0
		.amdhsa_exception_int_div_zero 0
	.end_amdhsa_kernel
	.section	.text._ZL26rocblas_dot_kernel_inc1by2ILb1ELi1024ELi32ELb0E19rocblas_complex_numIfEPKS1_S1_EviT4_llS4_lliPT5_PT3_,"axG",@progbits,_ZL26rocblas_dot_kernel_inc1by2ILb1ELi1024ELi32ELb0E19rocblas_complex_numIfEPKS1_S1_EviT4_llS4_lliPT5_PT3_,comdat
.Lfunc_end76:
	.size	_ZL26rocblas_dot_kernel_inc1by2ILb1ELi1024ELi32ELb0E19rocblas_complex_numIfEPKS1_S1_EviT4_llS4_lliPT5_PT3_, .Lfunc_end76-_ZL26rocblas_dot_kernel_inc1by2ILb1ELi1024ELi32ELb0E19rocblas_complex_numIfEPKS1_S1_EviT4_llS4_lliPT5_PT3_
                                        ; -- End function
	.section	.AMDGPU.csdata,"",@progbits
; Kernel info:
; codeLenInByte = 1092
; NumSgprs: 21
; NumVgprs: 13
; ScratchSize: 0
; MemoryBound: 0
; FloatMode: 240
; IeeeMode: 1
; LDSByteSize: 256 bytes/workgroup (compile time only)
; SGPRBlocks: 2
; VGPRBlocks: 1
; NumSGPRsForWavesPerEU: 21
; NumVGPRsForWavesPerEU: 13
; Occupancy: 16
; WaveLimiterHint : 0
; COMPUTE_PGM_RSRC2:SCRATCH_EN: 0
; COMPUTE_PGM_RSRC2:USER_SGPR: 14
; COMPUTE_PGM_RSRC2:TRAP_HANDLER: 0
; COMPUTE_PGM_RSRC2:TGID_X_EN: 1
; COMPUTE_PGM_RSRC2:TGID_Y_EN: 0
; COMPUTE_PGM_RSRC2:TGID_Z_EN: 1
; COMPUTE_PGM_RSRC2:TIDIG_COMP_CNT: 0
	.section	.text._ZL18rocblas_dot_kernelIiLb1ELi1024ELi32ELb0E19rocblas_complex_numIfEPKS1_S1_EviT5_lT_lS4_lS5_liPT6_PT4_,"axG",@progbits,_ZL18rocblas_dot_kernelIiLb1ELi1024ELi32ELb0E19rocblas_complex_numIfEPKS1_S1_EviT5_lT_lS4_lS5_liPT6_PT4_,comdat
	.globl	_ZL18rocblas_dot_kernelIiLb1ELi1024ELi32ELb0E19rocblas_complex_numIfEPKS1_S1_EviT5_lT_lS4_lS5_liPT6_PT4_ ; -- Begin function _ZL18rocblas_dot_kernelIiLb1ELi1024ELi32ELb0E19rocblas_complex_numIfEPKS1_S1_EviT5_lT_lS4_lS5_liPT6_PT4_
	.p2align	8
	.type	_ZL18rocblas_dot_kernelIiLb1ELi1024ELi32ELb0E19rocblas_complex_numIfEPKS1_S1_EviT5_lT_lS4_lS5_liPT6_PT4_,@function
_ZL18rocblas_dot_kernelIiLb1ELi1024ELi32ELb0E19rocblas_complex_numIfEPKS1_S1_EviT5_lT_lS4_lS5_liPT6_PT4_: ; @_ZL18rocblas_dot_kernelIiLb1ELi1024ELi32ELb0E19rocblas_complex_numIfEPKS1_S1_EviT5_lT_lS4_lS5_liPT6_PT4_
; %bb.0:
	s_clause 0x1
	s_load_b32 s10, s[0:1], 0x0
	s_load_b64 s[2:3], s[0:1], 0x58
	v_dual_mov_b32 v5, 0 :: v_dual_mov_b32 v6, 0
	s_mov_b32 s8, s15
	s_mov_b32 s9, 0
	s_mov_b32 s11, exec_lo
	s_waitcnt lgkmcnt(0)
	v_cmpx_gt_i32_e64 s10, v0
	s_cbranch_execz .LBB77_4
; %bb.1:
	s_clause 0x6
	s_load_b32 s20, s[0:1], 0x60
	s_load_b128 s[4:7], s[0:1], 0x20
	s_load_b32 s22, s[0:1], 0x18
	s_load_b128 s[12:15], s[0:1], 0x8
	s_load_b64 s[16:17], s[0:1], 0x40
	s_load_b32 s23, s[0:1], 0x38
	s_load_b64 s[18:19], s[0:1], 0x30
	v_dual_mov_b32 v5, 0 :: v_dual_mov_b32 v6, 0
	s_waitcnt lgkmcnt(0)
	s_lshl_b32 s1, s20, 10
	s_mul_i32 s0, s5, s8
	v_mad_i64_i32 v[1:2], null, s22, v0, 0
	s_mul_hi_u32 s5, s4, s8
	s_mul_i32 s4, s4, s8
	s_add_i32 s5, s5, s0
	s_lshl_b64 s[14:15], s[14:15], 3
	v_mad_i64_i32 v[3:4], null, s23, v0, 0
	s_delay_alu instid0(VALU_DEP_2)
	v_lshlrev_b64 v[1:2], 3, v[1:2]
	s_lshl_b64 s[4:5], s[4:5], 3
	s_add_u32 s0, s12, s14
	s_addc_u32 s12, s13, s15
	s_add_u32 s0, s0, s4
	s_mul_i32 s17, s17, s8
	s_mul_hi_u32 s24, s16, s8
	s_addc_u32 s12, s12, s5
	v_add_co_u32 v1, vcc_lo, s0, v1
	s_mul_i32 s16, s16, s8
	s_mul_hi_i32 s21, s22, s1
	s_mul_i32 s20, s22, s1
	s_add_i32 s17, s24, s17
	v_add_co_ci_u32_e32 v2, vcc_lo, s12, v2, vcc_lo
	s_lshl_b64 s[14:15], s[18:19], 3
	v_lshlrev_b64 v[3:4], 3, v[3:4]
	s_lshl_b64 s[4:5], s[20:21], 3
	s_lshl_b64 s[12:13], s[16:17], 3
	s_add_u32 s0, s6, s14
	v_add_co_u32 v1, vcc_lo, v1, 4
	s_addc_u32 s6, s7, s15
	s_add_u32 s0, s0, s12
	v_add_co_ci_u32_e32 v2, vcc_lo, 0, v2, vcc_lo
	s_addc_u32 s6, s6, s13
	v_add_co_u32 v3, vcc_lo, s0, v3
	v_or_b32_e32 v7, s1, v0
	v_add_co_ci_u32_e32 v4, vcc_lo, s6, v4, vcc_lo
	s_mul_hi_i32 s7, s23, s1
	s_mul_i32 s6, s23, s1
	s_mov_b32 s12, s9
	s_lshl_b64 s[6:7], s[6:7], 3
	s_mov_b32 s13, s9
	.p2align	6
.LBB77_2:                               ; =>This Inner Loop Header: Depth=1
	global_load_b64 v[8:9], v[3:4], off
	global_load_b64 v[10:11], v[1:2], off offset:-4
	v_cmp_le_i32_e32 vcc_lo, s10, v7
	v_add_nc_u32_e32 v7, s1, v7
	v_add_co_u32 v1, s0, v1, s4
	s_delay_alu instid0(VALU_DEP_1)
	v_add_co_ci_u32_e64 v2, s0, s5, v2, s0
	s_add_i32 s14, s13, 1
	v_add_co_u32 v3, s0, v3, s6
	s_cmp_gt_u32 s13, 30
	v_add_co_ci_u32_e64 v4, s0, s7, v4, s0
	s_cselect_b32 s0, -1, 0
	s_mov_b32 s13, s14
	s_or_b32 s0, s0, vcc_lo
	s_delay_alu instid0(SALU_CYCLE_1) | instskip(NEXT) | instid1(SALU_CYCLE_1)
	s_and_b32 s0, exec_lo, s0
	s_or_b32 s12, s0, s12
	s_waitcnt vmcnt(0)
	v_mul_f32_e32 v12, v11, v9
	v_mul_f32_e32 v9, v10, v9
	s_delay_alu instid0(VALU_DEP_2) | instskip(NEXT) | instid1(VALU_DEP_1)
	v_fma_f32 v10, v10, v8, -v12
	v_dual_fmac_f32 v9, v11, v8 :: v_dual_add_f32 v6, v6, v10
	s_delay_alu instid0(VALU_DEP_1)
	v_add_f32_e32 v5, v5, v9
	s_and_not1_b32 exec_lo, exec_lo, s12
	s_cbranch_execnz .LBB77_2
; %bb.3:
	s_or_b32 exec_lo, exec_lo, s12
.LBB77_4:
	s_delay_alu instid0(SALU_CYCLE_1) | instskip(SKIP_2) | instid1(VALU_DEP_2)
	s_or_b32 exec_lo, exec_lo, s11
	v_and_b32_e32 v1, 31, v0
	v_cmp_gt_u32_e32 vcc_lo, 32, v0
	v_lshlrev_b32_e32 v3, 3, v1
	s_and_saveexec_b32 s0, vcc_lo
	s_cbranch_execz .LBB77_6
; %bb.5:
	v_mov_b32_e32 v7, 0
	s_delay_alu instid0(VALU_DEP_1)
	v_mov_b32_e32 v8, v7
	ds_store_b64 v3, v[7:8]
.LBB77_6:
	s_or_b32 exec_lo, exec_lo, s0
	v_mbcnt_lo_u32_b32 v2, -1, 0
	s_mov_b32 s1, exec_lo
	s_waitcnt lgkmcnt(0)
	s_barrier
	buffer_gl0_inv
	v_cmp_gt_u32_e64 s0, 16, v2
	s_delay_alu instid0(VALU_DEP_1) | instskip(SKIP_1) | instid1(VALU_DEP_2)
	v_cndmask_b32_e64 v4, 0, 1, s0
	v_cmp_gt_u32_e64 s0, 24, v2
	v_lshlrev_b32_e32 v4, 4, v4
	s_delay_alu instid0(VALU_DEP_2) | instskip(SKIP_1) | instid1(VALU_DEP_3)
	v_cndmask_b32_e64 v7, 0, 1, s0
	v_cmp_gt_u32_e64 s0, 28, v2
	v_add_lshl_u32 v4, v4, v2, 2
	ds_bpermute_b32 v8, v4, v6
	ds_bpermute_b32 v9, v4, v5
	s_waitcnt lgkmcnt(1)
	v_dual_add_f32 v6, v6, v8 :: v_dual_lshlrev_b32 v7, 3, v7
	s_delay_alu instid0(VALU_DEP_1)
	v_add_lshl_u32 v7, v7, v2, 2
	s_waitcnt lgkmcnt(0)
	v_add_f32_e32 v8, v5, v9
	v_cndmask_b32_e64 v5, 0, 1, s0
	v_cmp_gt_u32_e64 s0, 30, v2
	ds_bpermute_b32 v9, v7, v6
	ds_bpermute_b32 v10, v7, v8
	v_lshlrev_b32_e32 v5, 2, v5
	s_waitcnt lgkmcnt(0)
	v_dual_add_f32 v9, v6, v9 :: v_dual_add_f32 v8, v8, v10
	s_delay_alu instid0(VALU_DEP_2)
	v_add_lshl_u32 v5, v5, v2, 2
	v_cndmask_b32_e64 v6, 0, 1, s0
	v_cmp_ne_u32_e64 s0, 31, v2
	ds_bpermute_b32 v10, v5, v9
	ds_bpermute_b32 v11, v5, v8
	v_lshlrev_b32_e32 v6, 1, v6
	s_delay_alu instid0(VALU_DEP_1) | instskip(SKIP_3) | instid1(VALU_DEP_2)
	v_add_lshl_u32 v6, v6, v2, 2
	v_add_co_ci_u32_e64 v2, s0, 0, v2, s0
	s_waitcnt lgkmcnt(0)
	v_dual_add_f32 v9, v9, v10 :: v_dual_add_f32 v10, v8, v11
	v_lshlrev_b32_e32 v8, 2, v2
	ds_bpermute_b32 v11, v6, v9
	ds_bpermute_b32 v12, v6, v10
	s_waitcnt lgkmcnt(0)
	v_dual_add_f32 v2, v9, v11 :: v_dual_add_f32 v9, v10, v12
	ds_bpermute_b32 v10, v8, v2
	ds_bpermute_b32 v11, v8, v9
	v_cmpx_eq_u32_e32 0, v1
	s_cbranch_execz .LBB77_8
; %bb.7:
	v_lshrrev_b32_e32 v12, 2, v0
	s_waitcnt lgkmcnt(0)
	v_dual_add_f32 v1, v2, v10 :: v_dual_add_f32 v2, v9, v11
	s_delay_alu instid0(VALU_DEP_2)
	v_and_b32_e32 v9, 0xf8, v12
	ds_store_b64 v9, v[1:2]
.LBB77_8:
	s_or_b32 exec_lo, exec_lo, s1
	v_dual_mov_b32 v2, 0 :: v_dual_mov_b32 v1, 0
	s_waitcnt lgkmcnt(0)
	s_barrier
	buffer_gl0_inv
	s_and_saveexec_b32 s0, vcc_lo
	s_cbranch_execz .LBB77_10
; %bb.9:
	ds_load_b64 v[1:2], v3
.LBB77_10:
	s_or_b32 exec_lo, exec_lo, s0
	s_and_saveexec_b32 s0, vcc_lo
	s_cbranch_execz .LBB77_12
; %bb.11:
	s_waitcnt lgkmcnt(0)
	ds_bpermute_b32 v3, v4, v1
	ds_bpermute_b32 v4, v4, v2
	s_waitcnt lgkmcnt(0)
	v_dual_add_f32 v1, v1, v3 :: v_dual_add_f32 v2, v2, v4
	ds_bpermute_b32 v3, v7, v1
	ds_bpermute_b32 v4, v7, v2
	s_waitcnt lgkmcnt(0)
	v_dual_add_f32 v1, v1, v3 :: v_dual_add_f32 v2, v2, v4
	;; [unrolled: 4-line block ×5, first 2 shown]
.LBB77_12:
	s_or_b32 exec_lo, exec_lo, s0
	s_delay_alu instid0(SALU_CYCLE_1)
	s_mov_b32 s0, exec_lo
	v_cmpx_eq_u32_e32 0, v0
	s_cbranch_execz .LBB77_14
; %bb.13:
	s_lshl_b64 s[0:1], s[8:9], 3
	v_mov_b32_e32 v0, 0
	s_add_u32 s0, s2, s0
	s_addc_u32 s1, s3, s1
	s_waitcnt lgkmcnt(0)
	global_store_b64 v0, v[1:2], s[0:1]
.LBB77_14:
	s_nop 0
	s_sendmsg sendmsg(MSG_DEALLOC_VGPRS)
	s_endpgm
	.section	.rodata,"a",@progbits
	.p2align	6, 0x0
	.amdhsa_kernel _ZL18rocblas_dot_kernelIiLb1ELi1024ELi32ELb0E19rocblas_complex_numIfEPKS1_S1_EviT5_lT_lS4_lS5_liPT6_PT4_
		.amdhsa_group_segment_fixed_size 256
		.amdhsa_private_segment_fixed_size 0
		.amdhsa_kernarg_size 352
		.amdhsa_user_sgpr_count 14
		.amdhsa_user_sgpr_dispatch_ptr 0
		.amdhsa_user_sgpr_queue_ptr 0
		.amdhsa_user_sgpr_kernarg_segment_ptr 1
		.amdhsa_user_sgpr_dispatch_id 0
		.amdhsa_user_sgpr_private_segment_size 0
		.amdhsa_wavefront_size32 1
		.amdhsa_uses_dynamic_stack 0
		.amdhsa_enable_private_segment 0
		.amdhsa_system_sgpr_workgroup_id_x 1
		.amdhsa_system_sgpr_workgroup_id_y 0
		.amdhsa_system_sgpr_workgroup_id_z 1
		.amdhsa_system_sgpr_workgroup_info 0
		.amdhsa_system_vgpr_workitem_id 0
		.amdhsa_next_free_vgpr 13
		.amdhsa_next_free_sgpr 25
		.amdhsa_reserve_vcc 1
		.amdhsa_float_round_mode_32 0
		.amdhsa_float_round_mode_16_64 0
		.amdhsa_float_denorm_mode_32 3
		.amdhsa_float_denorm_mode_16_64 3
		.amdhsa_dx10_clamp 1
		.amdhsa_ieee_mode 1
		.amdhsa_fp16_overflow 0
		.amdhsa_workgroup_processor_mode 1
		.amdhsa_memory_ordered 1
		.amdhsa_forward_progress 0
		.amdhsa_shared_vgpr_count 0
		.amdhsa_exception_fp_ieee_invalid_op 0
		.amdhsa_exception_fp_denorm_src 0
		.amdhsa_exception_fp_ieee_div_zero 0
		.amdhsa_exception_fp_ieee_overflow 0
		.amdhsa_exception_fp_ieee_underflow 0
		.amdhsa_exception_fp_ieee_inexact 0
		.amdhsa_exception_int_div_zero 0
	.end_amdhsa_kernel
	.section	.text._ZL18rocblas_dot_kernelIiLb1ELi1024ELi32ELb0E19rocblas_complex_numIfEPKS1_S1_EviT5_lT_lS4_lS5_liPT6_PT4_,"axG",@progbits,_ZL18rocblas_dot_kernelIiLb1ELi1024ELi32ELb0E19rocblas_complex_numIfEPKS1_S1_EviT5_lT_lS4_lS5_liPT6_PT4_,comdat
.Lfunc_end77:
	.size	_ZL18rocblas_dot_kernelIiLb1ELi1024ELi32ELb0E19rocblas_complex_numIfEPKS1_S1_EviT5_lT_lS4_lS5_liPT6_PT4_, .Lfunc_end77-_ZL18rocblas_dot_kernelIiLb1ELi1024ELi32ELb0E19rocblas_complex_numIfEPKS1_S1_EviT5_lT_lS4_lS5_liPT6_PT4_
                                        ; -- End function
	.section	.AMDGPU.csdata,"",@progbits
; Kernel info:
; codeLenInByte = 1132
; NumSgprs: 27
; NumVgprs: 13
; ScratchSize: 0
; MemoryBound: 0
; FloatMode: 240
; IeeeMode: 1
; LDSByteSize: 256 bytes/workgroup (compile time only)
; SGPRBlocks: 3
; VGPRBlocks: 1
; NumSGPRsForWavesPerEU: 27
; NumVGPRsForWavesPerEU: 13
; Occupancy: 16
; WaveLimiterHint : 0
; COMPUTE_PGM_RSRC2:SCRATCH_EN: 0
; COMPUTE_PGM_RSRC2:USER_SGPR: 14
; COMPUTE_PGM_RSRC2:TRAP_HANDLER: 0
; COMPUTE_PGM_RSRC2:TGID_X_EN: 1
; COMPUTE_PGM_RSRC2:TGID_Y_EN: 0
; COMPUTE_PGM_RSRC2:TGID_Z_EN: 1
; COMPUTE_PGM_RSRC2:TIDIG_COMP_CNT: 0
	.section	.text._ZL24rocblas_dot_kernel_magsqIiLb1ELi1024ELi32ELb0E19rocblas_complex_numIfEPKS1_S1_EviT5_lT_liPT6_PT4_,"axG",@progbits,_ZL24rocblas_dot_kernel_magsqIiLb1ELi1024ELi32ELb0E19rocblas_complex_numIfEPKS1_S1_EviT5_lT_liPT6_PT4_,comdat
	.globl	_ZL24rocblas_dot_kernel_magsqIiLb1ELi1024ELi32ELb0E19rocblas_complex_numIfEPKS1_S1_EviT5_lT_liPT6_PT4_ ; -- Begin function _ZL24rocblas_dot_kernel_magsqIiLb1ELi1024ELi32ELb0E19rocblas_complex_numIfEPKS1_S1_EviT5_lT_liPT6_PT4_
	.p2align	8
	.type	_ZL24rocblas_dot_kernel_magsqIiLb1ELi1024ELi32ELb0E19rocblas_complex_numIfEPKS1_S1_EviT5_lT_liPT6_PT4_,@function
_ZL24rocblas_dot_kernel_magsqIiLb1ELi1024ELi32ELb0E19rocblas_complex_numIfEPKS1_S1_EviT5_lT_liPT6_PT4_: ; @_ZL24rocblas_dot_kernel_magsqIiLb1ELi1024ELi32ELb0E19rocblas_complex_numIfEPKS1_S1_EviT5_lT_liPT6_PT4_
; %bb.0:
	s_clause 0x1
	s_load_b32 s8, s[0:1], 0x0
	s_load_b64 s[2:3], s[0:1], 0x38
	v_mov_b32_e32 v3, 0
	v_mov_b32_e32 v5, 0
	s_mov_b32 s4, s15
	s_mov_b32 s5, 0
	s_mov_b32 s9, exec_lo
	s_waitcnt lgkmcnt(0)
	v_cmpx_gt_i32_e64 s8, v0
	s_cbranch_execz .LBB78_4
; %bb.1:
	s_clause 0x3
	s_load_b32 s10, s[0:1], 0x40
	s_load_b64 s[6:7], s[0:1], 0x20
	s_load_b32 s16, s[0:1], 0x18
	s_load_b128 s[12:15], s[0:1], 0x8
	v_mov_b32_e32 v3, 0
	v_mov_b32_e32 v5, 0
	s_waitcnt lgkmcnt(0)
	s_lshl_b32 s1, s10, 10
	s_mul_i32 s0, s7, s4
	v_mad_i64_i32 v[1:2], null, s16, v0, 0
	s_mul_hi_u32 s7, s6, s4
	s_mul_i32 s6, s6, s4
	s_add_i32 s7, s7, s0
	s_lshl_b64 s[10:11], s[14:15], 3
	s_lshl_b64 s[6:7], s[6:7], 3
	s_add_u32 s0, s12, s10
	s_delay_alu instid0(VALU_DEP_1)
	v_lshlrev_b64 v[1:2], 3, v[1:2]
	s_addc_u32 s10, s13, s11
	s_add_u32 s0, s0, s6
	s_addc_u32 s6, s10, s7
	v_or_b32_e32 v4, s1, v0
	s_mul_hi_i32 s15, s16, s1
	v_add_co_u32 v1, vcc_lo, s0, v1
	v_add_co_ci_u32_e32 v2, vcc_lo, s6, v2, vcc_lo
	s_mul_i32 s14, s16, s1
	s_mov_b32 s10, s5
	s_lshl_b64 s[6:7], s[14:15], 3
	s_mov_b32 s11, s5
	.p2align	6
.LBB78_2:                               ; =>This Inner Loop Header: Depth=1
	global_load_b64 v[6:7], v[1:2], off
	s_add_i32 s12, s11, 1
	v_cmp_le_i32_e32 vcc_lo, s8, v4
	v_add_co_u32 v1, s0, v1, s6
	v_add_nc_u32_e32 v4, s1, v4
	s_cmp_gt_u32 s11, 30
	v_add_co_ci_u32_e64 v2, s0, s7, v2, s0
	s_cselect_b32 s0, -1, 0
	s_mov_b32 s11, s12
	s_or_b32 s0, s0, vcc_lo
	s_delay_alu instid0(SALU_CYCLE_1) | instskip(NEXT) | instid1(SALU_CYCLE_1)
	s_and_b32 s0, exec_lo, s0
	s_or_b32 s10, s0, s10
	s_waitcnt vmcnt(0)
	v_mul_f32_e32 v8, v7, v7
	v_mul_f32_e32 v7, v6, v7
	s_delay_alu instid0(VALU_DEP_2) | instskip(NEXT) | instid1(VALU_DEP_2)
	v_fma_f32 v6, v6, v6, -v8
	v_fmac_f32_e32 v3, 2.0, v7
	s_delay_alu instid0(VALU_DEP_2)
	v_add_f32_e32 v5, v5, v6
	s_and_not1_b32 exec_lo, exec_lo, s10
	s_cbranch_execnz .LBB78_2
; %bb.3:
	s_or_b32 exec_lo, exec_lo, s10
.LBB78_4:
	s_delay_alu instid0(SALU_CYCLE_1) | instskip(SKIP_2) | instid1(VALU_DEP_2)
	s_or_b32 exec_lo, exec_lo, s9
	v_and_b32_e32 v1, 31, v0
	v_cmp_gt_u32_e32 vcc_lo, 32, v0
	v_lshlrev_b32_e32 v4, 3, v1
	s_and_saveexec_b32 s0, vcc_lo
	s_cbranch_execz .LBB78_6
; %bb.5:
	v_mov_b32_e32 v6, 0
	s_delay_alu instid0(VALU_DEP_1)
	v_mov_b32_e32 v7, v6
	ds_store_b64 v4, v[6:7]
.LBB78_6:
	s_or_b32 exec_lo, exec_lo, s0
	v_mbcnt_lo_u32_b32 v2, -1, 0
	s_mov_b32 s1, exec_lo
	s_waitcnt lgkmcnt(0)
	s_barrier
	buffer_gl0_inv
	v_cmp_gt_u32_e64 s0, 16, v2
	s_delay_alu instid0(VALU_DEP_1) | instskip(SKIP_1) | instid1(VALU_DEP_2)
	v_cndmask_b32_e64 v6, 0, 1, s0
	v_cmp_gt_u32_e64 s0, 24, v2
	v_lshlrev_b32_e32 v6, 4, v6
	s_delay_alu instid0(VALU_DEP_2) | instskip(SKIP_1) | instid1(VALU_DEP_3)
	v_cndmask_b32_e64 v7, 0, 1, s0
	v_cmp_gt_u32_e64 s0, 28, v2
	v_add_lshl_u32 v6, v6, v2, 2
	ds_bpermute_b32 v8, v6, v5
	ds_bpermute_b32 v9, v6, v3
	v_lshlrev_b32_e32 v7, 3, v7
	s_waitcnt lgkmcnt(0)
	v_dual_add_f32 v5, v5, v8 :: v_dual_add_f32 v8, v3, v9
	s_delay_alu instid0(VALU_DEP_2)
	v_add_lshl_u32 v7, v7, v2, 2
	v_cndmask_b32_e64 v3, 0, 1, s0
	v_cmp_gt_u32_e64 s0, 30, v2
	ds_bpermute_b32 v10, v7, v8
	ds_bpermute_b32 v9, v7, v5
	s_waitcnt lgkmcnt(1)
	v_dual_add_f32 v8, v8, v10 :: v_dual_lshlrev_b32 v3, 2, v3
	s_delay_alu instid0(VALU_DEP_1)
	v_add_lshl_u32 v3, v3, v2, 2
	ds_bpermute_b32 v11, v3, v8
	s_waitcnt lgkmcnt(1)
	v_add_f32_e32 v9, v5, v9
	v_cndmask_b32_e64 v5, 0, 1, s0
	v_cmp_ne_u32_e64 s0, 31, v2
	ds_bpermute_b32 v10, v3, v9
	s_waitcnt lgkmcnt(0)
	v_dual_add_f32 v9, v9, v10 :: v_dual_add_f32 v10, v8, v11
	v_lshlrev_b32_e32 v5, 1, v5
	s_delay_alu instid0(VALU_DEP_1)
	v_add_lshl_u32 v5, v5, v2, 2
	v_add_co_ci_u32_e64 v2, s0, 0, v2, s0
	ds_bpermute_b32 v11, v5, v9
	ds_bpermute_b32 v12, v5, v10
	v_lshlrev_b32_e32 v8, 2, v2
	s_waitcnt lgkmcnt(0)
	v_dual_add_f32 v2, v9, v11 :: v_dual_add_f32 v9, v10, v12
	ds_bpermute_b32 v10, v8, v2
	ds_bpermute_b32 v11, v8, v9
	v_cmpx_eq_u32_e32 0, v1
	s_cbranch_execz .LBB78_8
; %bb.7:
	v_lshrrev_b32_e32 v12, 2, v0
	s_waitcnt lgkmcnt(0)
	v_dual_add_f32 v1, v2, v10 :: v_dual_add_f32 v2, v9, v11
	s_delay_alu instid0(VALU_DEP_2)
	v_and_b32_e32 v9, 0xf8, v12
	ds_store_b64 v9, v[1:2]
.LBB78_8:
	s_or_b32 exec_lo, exec_lo, s1
	v_dual_mov_b32 v2, 0 :: v_dual_mov_b32 v1, 0
	s_waitcnt lgkmcnt(0)
	s_barrier
	buffer_gl0_inv
	s_and_saveexec_b32 s0, vcc_lo
	s_cbranch_execz .LBB78_10
; %bb.9:
	ds_load_b64 v[1:2], v4
.LBB78_10:
	s_or_b32 exec_lo, exec_lo, s0
	s_and_saveexec_b32 s0, vcc_lo
	s_cbranch_execz .LBB78_12
; %bb.11:
	s_waitcnt lgkmcnt(0)
	ds_bpermute_b32 v4, v6, v1
	ds_bpermute_b32 v6, v6, v2
	s_waitcnt lgkmcnt(0)
	v_dual_add_f32 v1, v1, v4 :: v_dual_add_f32 v2, v2, v6
	ds_bpermute_b32 v4, v7, v1
	ds_bpermute_b32 v6, v7, v2
	s_waitcnt lgkmcnt(0)
	v_dual_add_f32 v1, v1, v4 :: v_dual_add_f32 v2, v2, v6
	;; [unrolled: 4-line block ×5, first 2 shown]
.LBB78_12:
	s_or_b32 exec_lo, exec_lo, s0
	s_delay_alu instid0(SALU_CYCLE_1)
	s_mov_b32 s0, exec_lo
	v_cmpx_eq_u32_e32 0, v0
	s_cbranch_execz .LBB78_14
; %bb.13:
	s_lshl_b64 s[0:1], s[4:5], 3
	v_mov_b32_e32 v0, 0
	s_add_u32 s0, s2, s0
	s_addc_u32 s1, s3, s1
	s_waitcnt lgkmcnt(0)
	global_store_b64 v0, v[1:2], s[0:1]
.LBB78_14:
	s_nop 0
	s_sendmsg sendmsg(MSG_DEALLOC_VGPRS)
	s_endpgm
	.section	.rodata,"a",@progbits
	.p2align	6, 0x0
	.amdhsa_kernel _ZL24rocblas_dot_kernel_magsqIiLb1ELi1024ELi32ELb0E19rocblas_complex_numIfEPKS1_S1_EviT5_lT_liPT6_PT4_
		.amdhsa_group_segment_fixed_size 256
		.amdhsa_private_segment_fixed_size 0
		.amdhsa_kernarg_size 320
		.amdhsa_user_sgpr_count 14
		.amdhsa_user_sgpr_dispatch_ptr 0
		.amdhsa_user_sgpr_queue_ptr 0
		.amdhsa_user_sgpr_kernarg_segment_ptr 1
		.amdhsa_user_sgpr_dispatch_id 0
		.amdhsa_user_sgpr_private_segment_size 0
		.amdhsa_wavefront_size32 1
		.amdhsa_uses_dynamic_stack 0
		.amdhsa_enable_private_segment 0
		.amdhsa_system_sgpr_workgroup_id_x 1
		.amdhsa_system_sgpr_workgroup_id_y 0
		.amdhsa_system_sgpr_workgroup_id_z 1
		.amdhsa_system_sgpr_workgroup_info 0
		.amdhsa_system_vgpr_workitem_id 0
		.amdhsa_next_free_vgpr 13
		.amdhsa_next_free_sgpr 17
		.amdhsa_reserve_vcc 1
		.amdhsa_float_round_mode_32 0
		.amdhsa_float_round_mode_16_64 0
		.amdhsa_float_denorm_mode_32 3
		.amdhsa_float_denorm_mode_16_64 3
		.amdhsa_dx10_clamp 1
		.amdhsa_ieee_mode 1
		.amdhsa_fp16_overflow 0
		.amdhsa_workgroup_processor_mode 1
		.amdhsa_memory_ordered 1
		.amdhsa_forward_progress 0
		.amdhsa_shared_vgpr_count 0
		.amdhsa_exception_fp_ieee_invalid_op 0
		.amdhsa_exception_fp_denorm_src 0
		.amdhsa_exception_fp_ieee_div_zero 0
		.amdhsa_exception_fp_ieee_overflow 0
		.amdhsa_exception_fp_ieee_underflow 0
		.amdhsa_exception_fp_ieee_inexact 0
		.amdhsa_exception_int_div_zero 0
	.end_amdhsa_kernel
	.section	.text._ZL24rocblas_dot_kernel_magsqIiLb1ELi1024ELi32ELb0E19rocblas_complex_numIfEPKS1_S1_EviT5_lT_liPT6_PT4_,"axG",@progbits,_ZL24rocblas_dot_kernel_magsqIiLb1ELi1024ELi32ELb0E19rocblas_complex_numIfEPKS1_S1_EviT5_lT_liPT6_PT4_,comdat
.Lfunc_end78:
	.size	_ZL24rocblas_dot_kernel_magsqIiLb1ELi1024ELi32ELb0E19rocblas_complex_numIfEPKS1_S1_EviT5_lT_liPT6_PT4_, .Lfunc_end78-_ZL24rocblas_dot_kernel_magsqIiLb1ELi1024ELi32ELb0E19rocblas_complex_numIfEPKS1_S1_EviT5_lT_liPT6_PT4_
                                        ; -- End function
	.section	.AMDGPU.csdata,"",@progbits
; Kernel info:
; codeLenInByte = 984
; NumSgprs: 19
; NumVgprs: 13
; ScratchSize: 0
; MemoryBound: 0
; FloatMode: 240
; IeeeMode: 1
; LDSByteSize: 256 bytes/workgroup (compile time only)
; SGPRBlocks: 2
; VGPRBlocks: 1
; NumSGPRsForWavesPerEU: 19
; NumVGPRsForWavesPerEU: 13
; Occupancy: 16
; WaveLimiterHint : 0
; COMPUTE_PGM_RSRC2:SCRATCH_EN: 0
; COMPUTE_PGM_RSRC2:USER_SGPR: 14
; COMPUTE_PGM_RSRC2:TRAP_HANDLER: 0
; COMPUTE_PGM_RSRC2:TGID_X_EN: 1
; COMPUTE_PGM_RSRC2:TGID_Y_EN: 0
; COMPUTE_PGM_RSRC2:TGID_Z_EN: 1
; COMPUTE_PGM_RSRC2:TIDIG_COMP_CNT: 0
	.section	.text._ZL38rocblas_dot_kernel_gfx942_float_doubleIiLi1024E19rocblas_complex_numIfEPKS1_S1_EviT2_lT_lS4_lS5_lPT3_PT1_,"axG",@progbits,_ZL38rocblas_dot_kernel_gfx942_float_doubleIiLi1024E19rocblas_complex_numIfEPKS1_S1_EviT2_lT_lS4_lS5_lPT3_PT1_,comdat
	.globl	_ZL38rocblas_dot_kernel_gfx942_float_doubleIiLi1024E19rocblas_complex_numIfEPKS1_S1_EviT2_lT_lS4_lS5_lPT3_PT1_ ; -- Begin function _ZL38rocblas_dot_kernel_gfx942_float_doubleIiLi1024E19rocblas_complex_numIfEPKS1_S1_EviT2_lT_lS4_lS5_lPT3_PT1_
	.p2align	8
	.type	_ZL38rocblas_dot_kernel_gfx942_float_doubleIiLi1024E19rocblas_complex_numIfEPKS1_S1_EviT2_lT_lS4_lS5_lPT3_PT1_,@function
_ZL38rocblas_dot_kernel_gfx942_float_doubleIiLi1024E19rocblas_complex_numIfEPKS1_S1_EviT2_lT_lS4_lS5_lPT3_PT1_: ; @_ZL38rocblas_dot_kernel_gfx942_float_doubleIiLi1024E19rocblas_complex_numIfEPKS1_S1_EviT2_lT_lS4_lS5_lPT3_PT1_
; %bb.0:
	s_endpgm
	.section	.rodata,"a",@progbits
	.p2align	6, 0x0
	.amdhsa_kernel _ZL38rocblas_dot_kernel_gfx942_float_doubleIiLi1024E19rocblas_complex_numIfEPKS1_S1_EviT2_lT_lS4_lS5_lPT3_PT1_
		.amdhsa_group_segment_fixed_size 0
		.amdhsa_private_segment_fixed_size 0
		.amdhsa_kernarg_size 88
		.amdhsa_user_sgpr_count 15
		.amdhsa_user_sgpr_dispatch_ptr 0
		.amdhsa_user_sgpr_queue_ptr 0
		.amdhsa_user_sgpr_kernarg_segment_ptr 1
		.amdhsa_user_sgpr_dispatch_id 0
		.amdhsa_user_sgpr_private_segment_size 0
		.amdhsa_wavefront_size32 1
		.amdhsa_uses_dynamic_stack 0
		.amdhsa_enable_private_segment 0
		.amdhsa_system_sgpr_workgroup_id_x 1
		.amdhsa_system_sgpr_workgroup_id_y 0
		.amdhsa_system_sgpr_workgroup_id_z 0
		.amdhsa_system_sgpr_workgroup_info 0
		.amdhsa_system_vgpr_workitem_id 0
		.amdhsa_next_free_vgpr 1
		.amdhsa_next_free_sgpr 1
		.amdhsa_reserve_vcc 0
		.amdhsa_float_round_mode_32 0
		.amdhsa_float_round_mode_16_64 0
		.amdhsa_float_denorm_mode_32 3
		.amdhsa_float_denorm_mode_16_64 3
		.amdhsa_dx10_clamp 1
		.amdhsa_ieee_mode 1
		.amdhsa_fp16_overflow 0
		.amdhsa_workgroup_processor_mode 1
		.amdhsa_memory_ordered 1
		.amdhsa_forward_progress 0
		.amdhsa_shared_vgpr_count 0
		.amdhsa_exception_fp_ieee_invalid_op 0
		.amdhsa_exception_fp_denorm_src 0
		.amdhsa_exception_fp_ieee_div_zero 0
		.amdhsa_exception_fp_ieee_overflow 0
		.amdhsa_exception_fp_ieee_underflow 0
		.amdhsa_exception_fp_ieee_inexact 0
		.amdhsa_exception_int_div_zero 0
	.end_amdhsa_kernel
	.section	.text._ZL38rocblas_dot_kernel_gfx942_float_doubleIiLi1024E19rocblas_complex_numIfEPKS1_S1_EviT2_lT_lS4_lS5_lPT3_PT1_,"axG",@progbits,_ZL38rocblas_dot_kernel_gfx942_float_doubleIiLi1024E19rocblas_complex_numIfEPKS1_S1_EviT2_lT_lS4_lS5_lPT3_PT1_,comdat
.Lfunc_end79:
	.size	_ZL38rocblas_dot_kernel_gfx942_float_doubleIiLi1024E19rocblas_complex_numIfEPKS1_S1_EviT2_lT_lS4_lS5_lPT3_PT1_, .Lfunc_end79-_ZL38rocblas_dot_kernel_gfx942_float_doubleIiLi1024E19rocblas_complex_numIfEPKS1_S1_EviT2_lT_lS4_lS5_lPT3_PT1_
                                        ; -- End function
	.section	.AMDGPU.csdata,"",@progbits
; Kernel info:
; codeLenInByte = 4
; NumSgprs: 0
; NumVgprs: 0
; ScratchSize: 0
; MemoryBound: 0
; FloatMode: 240
; IeeeMode: 1
; LDSByteSize: 0 bytes/workgroup (compile time only)
; SGPRBlocks: 0
; VGPRBlocks: 0
; NumSGPRsForWavesPerEU: 1
; NumVGPRsForWavesPerEU: 1
; Occupancy: 16
; WaveLimiterHint : 0
; COMPUTE_PGM_RSRC2:SCRATCH_EN: 0
; COMPUTE_PGM_RSRC2:USER_SGPR: 15
; COMPUTE_PGM_RSRC2:TRAP_HANDLER: 0
; COMPUTE_PGM_RSRC2:TGID_X_EN: 1
; COMPUTE_PGM_RSRC2:TGID_Y_EN: 0
; COMPUTE_PGM_RSRC2:TGID_Z_EN: 0
; COMPUTE_PGM_RSRC2:TIDIG_COMP_CNT: 0
	.section	.text._ZL30rocblas_reduction_kernel_part2ILi1024ELi4E25rocblas_finalize_identity19rocblas_complex_numIfES2_EviPT2_PT3_,"axG",@progbits,_ZL30rocblas_reduction_kernel_part2ILi1024ELi4E25rocblas_finalize_identity19rocblas_complex_numIfES2_EviPT2_PT3_,comdat
	.globl	_ZL30rocblas_reduction_kernel_part2ILi1024ELi4E25rocblas_finalize_identity19rocblas_complex_numIfES2_EviPT2_PT3_ ; -- Begin function _ZL30rocblas_reduction_kernel_part2ILi1024ELi4E25rocblas_finalize_identity19rocblas_complex_numIfES2_EviPT2_PT3_
	.p2align	8
	.type	_ZL30rocblas_reduction_kernel_part2ILi1024ELi4E25rocblas_finalize_identity19rocblas_complex_numIfES2_EviPT2_PT3_,@function
_ZL30rocblas_reduction_kernel_part2ILi1024ELi4E25rocblas_finalize_identity19rocblas_complex_numIfES2_EviPT2_PT3_: ; @_ZL30rocblas_reduction_kernel_part2ILi1024ELi4E25rocblas_finalize_identity19rocblas_complex_numIfES2_EviPT2_PT3_
; %bb.0:
	s_clause 0x1
	s_load_b32 s10, s[0:1], 0x0
	s_load_b128 s[4:7], s[0:1], 0x8
	v_dual_mov_b32 v3, 0 :: v_dual_mov_b32 v4, 0
	v_lshlrev_b32_e32 v5, 2, v0
	s_mov_b32 s2, s15
	s_mov_b32 s3, 0
	s_mov_b32 s11, exec_lo
	s_waitcnt lgkmcnt(0)
	s_ashr_i32 s0, s10, 31
	s_mul_hi_u32 s8, s10, s15
	s_lshr_b32 s1, s0, 30
	s_mul_i32 s0, s0, s15
	s_add_i32 s1, s10, s1
	s_add_i32 s9, s8, s0
	s_and_b32 s1, s1, -4
	s_mul_i32 s8, s10, s15
	v_cmpx_gt_i32_e64 s1, v5
	s_cbranch_execz .LBB80_4
; %bb.1:
	v_dual_mov_b32 v4, 0 :: v_dual_lshlrev_b32 v1, 5, v0
	s_lshl_b64 s[12:13], s[8:9], 3
	v_mov_b32_e32 v3, 0
	s_add_u32 s0, s4, s12
	s_addc_u32 s12, s5, s13
	v_add_co_u32 v1, s0, s0, v1
	s_delay_alu instid0(VALU_DEP_1) | instskip(SKIP_1) | instid1(VALU_DEP_2)
	v_add_co_ci_u32_e64 v2, null, s12, 0, s0
	s_mov_b32 s12, s3
	v_add_co_u32 v1, vcc_lo, v1, 28
	s_delay_alu instid0(VALU_DEP_2)
	v_add_co_ci_u32_e32 v2, vcc_lo, 0, v2, vcc_lo
	.p2align	6
.LBB80_2:                               ; =>This Inner Loop Header: Depth=1
	s_clause 0x1
	global_load_b128 v[6:9], v[1:2], off offset:-28
	global_load_b128 v[10:13], v[1:2], off offset:-12
	v_add_co_u32 v1, vcc_lo, 0x8000, v1
	v_add_co_ci_u32_e32 v2, vcc_lo, 0, v2, vcc_lo
	s_waitcnt vmcnt(1)
	v_dual_add_f32 v4, v4, v6 :: v_dual_add_f32 v3, v3, v7
	s_delay_alu instid0(VALU_DEP_1) | instskip(SKIP_1) | instid1(VALU_DEP_1)
	v_dual_add_f32 v4, v4, v8 :: v_dual_add_f32 v3, v3, v9
	s_waitcnt vmcnt(0)
	v_dual_add_f32 v4, v4, v10 :: v_dual_add_nc_u32 v5, 0x1000, v5
	s_delay_alu instid0(VALU_DEP_2) | instskip(NEXT) | instid1(VALU_DEP_2)
	v_add_f32_e32 v3, v3, v11
	v_cmp_le_i32_e64 s0, s1, v5
	s_delay_alu instid0(VALU_DEP_2) | instskip(NEXT) | instid1(VALU_DEP_2)
	v_dual_add_f32 v4, v4, v12 :: v_dual_add_f32 v3, v3, v13
	s_or_b32 s12, s0, s12
	s_delay_alu instid0(SALU_CYCLE_1)
	s_and_not1_b32 exec_lo, exec_lo, s12
	s_cbranch_execnz .LBB80_2
; %bb.3:
	s_or_b32 exec_lo, exec_lo, s12
.LBB80_4:
	s_delay_alu instid0(SALU_CYCLE_1) | instskip(SKIP_1) | instid1(SALU_CYCLE_1)
	s_or_b32 exec_lo, exec_lo, s11
	s_sub_i32 s0, s10, s1
	v_cmp_gt_u32_e32 vcc_lo, s0, v0
	s_and_saveexec_b32 s0, vcc_lo
	s_cbranch_execz .LBB80_6
; %bb.5:
	v_xad_u32 v1, v0, -1, s10
	v_mov_b32_e32 v2, 0
	s_lshl_b64 s[8:9], s[8:9], 3
	s_delay_alu instid0(SALU_CYCLE_1) | instskip(SKIP_1) | instid1(VALU_DEP_1)
	s_add_u32 s1, s4, s8
	s_addc_u32 s4, s5, s9
	v_lshlrev_b64 v[1:2], 3, v[1:2]
	s_delay_alu instid0(VALU_DEP_1) | instskip(NEXT) | instid1(VALU_DEP_2)
	v_add_co_u32 v1, vcc_lo, s1, v1
	v_add_co_ci_u32_e32 v2, vcc_lo, s4, v2, vcc_lo
	global_load_b64 v[1:2], v[1:2], off
	s_waitcnt vmcnt(0)
	v_dual_add_f32 v4, v4, v1 :: v_dual_add_f32 v3, v3, v2
.LBB80_6:
	s_or_b32 exec_lo, exec_lo, s0
	v_and_b32_e32 v1, 31, v0
	v_cmp_gt_u32_e32 vcc_lo, 32, v0
	s_delay_alu instid0(VALU_DEP_2)
	v_lshlrev_b32_e32 v5, 3, v1
	s_and_saveexec_b32 s0, vcc_lo
	s_cbranch_execz .LBB80_8
; %bb.7:
	v_mov_b32_e32 v6, 0
	s_delay_alu instid0(VALU_DEP_1)
	v_mov_b32_e32 v7, v6
	ds_store_b64 v5, v[6:7]
.LBB80_8:
	s_or_b32 exec_lo, exec_lo, s0
	v_mbcnt_lo_u32_b32 v2, -1, 0
	s_mov_b32 s1, exec_lo
	s_waitcnt lgkmcnt(0)
	s_barrier
	buffer_gl0_inv
	v_cmp_gt_u32_e64 s0, 16, v2
	s_delay_alu instid0(VALU_DEP_1) | instskip(SKIP_1) | instid1(VALU_DEP_2)
	v_cndmask_b32_e64 v6, 0, 1, s0
	v_cmp_gt_u32_e64 s0, 24, v2
	v_lshlrev_b32_e32 v6, 4, v6
	s_delay_alu instid0(VALU_DEP_2) | instskip(SKIP_1) | instid1(VALU_DEP_3)
	v_cndmask_b32_e64 v7, 0, 1, s0
	v_cmp_gt_u32_e64 s0, 28, v2
	v_add_lshl_u32 v6, v6, v2, 2
	ds_bpermute_b32 v8, v6, v4
	ds_bpermute_b32 v9, v6, v3
	s_waitcnt lgkmcnt(1)
	v_dual_add_f32 v4, v4, v8 :: v_dual_lshlrev_b32 v7, 3, v7
	s_delay_alu instid0(VALU_DEP_1)
	v_add_lshl_u32 v7, v7, v2, 2
	s_waitcnt lgkmcnt(0)
	v_add_f32_e32 v8, v3, v9
	v_cndmask_b32_e64 v3, 0, 1, s0
	v_cmp_gt_u32_e64 s0, 30, v2
	ds_bpermute_b32 v9, v7, v4
	v_lshlrev_b32_e32 v3, 2, v3
	ds_bpermute_b32 v10, v7, v8
	v_add_lshl_u32 v3, v3, v2, 2
	s_waitcnt lgkmcnt(1)
	v_add_f32_e32 v9, v4, v9
	v_cndmask_b32_e64 v4, 0, 1, s0
	v_cmp_ne_u32_e64 s0, 31, v2
	s_waitcnt lgkmcnt(0)
	v_add_f32_e32 v8, v8, v10
	ds_bpermute_b32 v10, v3, v9
	v_lshlrev_b32_e32 v4, 1, v4
	ds_bpermute_b32 v11, v3, v8
	s_waitcnt lgkmcnt(1)
	v_add_f32_e32 v9, v9, v10
	v_add_lshl_u32 v4, v4, v2, 2
	v_add_co_ci_u32_e64 v2, s0, 0, v2, s0
	s_waitcnt lgkmcnt(0)
	v_add_f32_e32 v10, v8, v11
	ds_bpermute_b32 v11, v4, v9
	v_lshlrev_b32_e32 v8, 2, v2
	ds_bpermute_b32 v12, v4, v10
	s_waitcnt lgkmcnt(0)
	v_dual_add_f32 v2, v9, v11 :: v_dual_add_f32 v9, v10, v12
	ds_bpermute_b32 v10, v8, v2
	ds_bpermute_b32 v11, v8, v9
	v_cmpx_eq_u32_e32 0, v1
	s_cbranch_execz .LBB80_10
; %bb.9:
	v_lshrrev_b32_e32 v12, 2, v0
	s_waitcnt lgkmcnt(0)
	v_dual_add_f32 v1, v2, v10 :: v_dual_add_f32 v2, v9, v11
	s_delay_alu instid0(VALU_DEP_2)
	v_and_b32_e32 v9, 0xf8, v12
	ds_store_b64 v9, v[1:2]
.LBB80_10:
	s_or_b32 exec_lo, exec_lo, s1
	v_dual_mov_b32 v2, 0 :: v_dual_mov_b32 v1, 0
	s_waitcnt lgkmcnt(0)
	s_barrier
	buffer_gl0_inv
	s_and_saveexec_b32 s0, vcc_lo
	s_cbranch_execz .LBB80_12
; %bb.11:
	ds_load_b64 v[1:2], v5
.LBB80_12:
	s_or_b32 exec_lo, exec_lo, s0
	s_and_saveexec_b32 s0, vcc_lo
	s_cbranch_execz .LBB80_14
; %bb.13:
	s_waitcnt lgkmcnt(0)
	ds_bpermute_b32 v5, v6, v1
	ds_bpermute_b32 v6, v6, v2
	s_waitcnt lgkmcnt(0)
	v_dual_add_f32 v1, v1, v5 :: v_dual_add_f32 v2, v2, v6
	ds_bpermute_b32 v5, v7, v1
	ds_bpermute_b32 v6, v7, v2
	s_waitcnt lgkmcnt(0)
	v_dual_add_f32 v1, v1, v5 :: v_dual_add_f32 v2, v2, v6
	;; [unrolled: 4-line block ×5, first 2 shown]
.LBB80_14:
	s_or_b32 exec_lo, exec_lo, s0
	s_delay_alu instid0(SALU_CYCLE_1)
	s_mov_b32 s0, exec_lo
	v_cmpx_eq_u32_e32 0, v0
	s_cbranch_execz .LBB80_16
; %bb.15:
	s_lshl_b64 s[0:1], s[2:3], 3
	v_mov_b32_e32 v0, 0
	s_add_u32 s0, s6, s0
	s_addc_u32 s1, s7, s1
	s_waitcnt lgkmcnt(0)
	global_store_b64 v0, v[1:2], s[0:1]
.LBB80_16:
	s_nop 0
	s_sendmsg sendmsg(MSG_DEALLOC_VGPRS)
	s_endpgm
	.section	.rodata,"a",@progbits
	.p2align	6, 0x0
	.amdhsa_kernel _ZL30rocblas_reduction_kernel_part2ILi1024ELi4E25rocblas_finalize_identity19rocblas_complex_numIfES2_EviPT2_PT3_
		.amdhsa_group_segment_fixed_size 256
		.amdhsa_private_segment_fixed_size 0
		.amdhsa_kernarg_size 24
		.amdhsa_user_sgpr_count 15
		.amdhsa_user_sgpr_dispatch_ptr 0
		.amdhsa_user_sgpr_queue_ptr 0
		.amdhsa_user_sgpr_kernarg_segment_ptr 1
		.amdhsa_user_sgpr_dispatch_id 0
		.amdhsa_user_sgpr_private_segment_size 0
		.amdhsa_wavefront_size32 1
		.amdhsa_uses_dynamic_stack 0
		.amdhsa_enable_private_segment 0
		.amdhsa_system_sgpr_workgroup_id_x 1
		.amdhsa_system_sgpr_workgroup_id_y 0
		.amdhsa_system_sgpr_workgroup_id_z 0
		.amdhsa_system_sgpr_workgroup_info 0
		.amdhsa_system_vgpr_workitem_id 0
		.amdhsa_next_free_vgpr 14
		.amdhsa_next_free_sgpr 16
		.amdhsa_reserve_vcc 1
		.amdhsa_float_round_mode_32 0
		.amdhsa_float_round_mode_16_64 0
		.amdhsa_float_denorm_mode_32 3
		.amdhsa_float_denorm_mode_16_64 3
		.amdhsa_dx10_clamp 1
		.amdhsa_ieee_mode 1
		.amdhsa_fp16_overflow 0
		.amdhsa_workgroup_processor_mode 1
		.amdhsa_memory_ordered 1
		.amdhsa_forward_progress 0
		.amdhsa_shared_vgpr_count 0
		.amdhsa_exception_fp_ieee_invalid_op 0
		.amdhsa_exception_fp_denorm_src 0
		.amdhsa_exception_fp_ieee_div_zero 0
		.amdhsa_exception_fp_ieee_overflow 0
		.amdhsa_exception_fp_ieee_underflow 0
		.amdhsa_exception_fp_ieee_inexact 0
		.amdhsa_exception_int_div_zero 0
	.end_amdhsa_kernel
	.section	.text._ZL30rocblas_reduction_kernel_part2ILi1024ELi4E25rocblas_finalize_identity19rocblas_complex_numIfES2_EviPT2_PT3_,"axG",@progbits,_ZL30rocblas_reduction_kernel_part2ILi1024ELi4E25rocblas_finalize_identity19rocblas_complex_numIfES2_EviPT2_PT3_,comdat
.Lfunc_end80:
	.size	_ZL30rocblas_reduction_kernel_part2ILi1024ELi4E25rocblas_finalize_identity19rocblas_complex_numIfES2_EviPT2_PT3_, .Lfunc_end80-_ZL30rocblas_reduction_kernel_part2ILi1024ELi4E25rocblas_finalize_identity19rocblas_complex_numIfES2_EviPT2_PT3_
                                        ; -- End function
	.section	.AMDGPU.csdata,"",@progbits
; Kernel info:
; codeLenInByte = 1044
; NumSgprs: 18
; NumVgprs: 14
; ScratchSize: 0
; MemoryBound: 0
; FloatMode: 240
; IeeeMode: 1
; LDSByteSize: 256 bytes/workgroup (compile time only)
; SGPRBlocks: 2
; VGPRBlocks: 1
; NumSGPRsForWavesPerEU: 18
; NumVGPRsForWavesPerEU: 14
; Occupancy: 16
; WaveLimiterHint : 0
; COMPUTE_PGM_RSRC2:SCRATCH_EN: 0
; COMPUTE_PGM_RSRC2:USER_SGPR: 15
; COMPUTE_PGM_RSRC2:TRAP_HANDLER: 0
; COMPUTE_PGM_RSRC2:TGID_X_EN: 1
; COMPUTE_PGM_RSRC2:TGID_Y_EN: 0
; COMPUTE_PGM_RSRC2:TGID_Z_EN: 0
; COMPUTE_PGM_RSRC2:TIDIG_COMP_CNT: 0
	.section	.text._ZL23rocblas_dot_kernel_inc1ILb0ELi512ELi2ELb0E19rocblas_complex_numIfEPKS1_S1_EviT4_llS4_lliPT5_PT3_,"axG",@progbits,_ZL23rocblas_dot_kernel_inc1ILb0ELi512ELi2ELb0E19rocblas_complex_numIfEPKS1_S1_EviT4_llS4_lliPT5_PT3_,comdat
	.globl	_ZL23rocblas_dot_kernel_inc1ILb0ELi512ELi2ELb0E19rocblas_complex_numIfEPKS1_S1_EviT4_llS4_lliPT5_PT3_ ; -- Begin function _ZL23rocblas_dot_kernel_inc1ILb0ELi512ELi2ELb0E19rocblas_complex_numIfEPKS1_S1_EviT4_llS4_lliPT5_PT3_
	.p2align	8
	.type	_ZL23rocblas_dot_kernel_inc1ILb0ELi512ELi2ELb0E19rocblas_complex_numIfEPKS1_S1_EviT4_llS4_lliPT5_PT3_,@function
_ZL23rocblas_dot_kernel_inc1ILb0ELi512ELi2ELb0E19rocblas_complex_numIfEPKS1_S1_EviT4_llS4_lliPT5_PT3_: ; @_ZL23rocblas_dot_kernel_inc1ILb0ELi512ELi2ELb0E19rocblas_complex_numIfEPKS1_S1_EviT4_llS4_lliPT5_PT3_
; %bb.0:
	s_clause 0x1
	s_load_b32 s10, s[0:1], 0x0
	s_load_b32 s3, s[0:1], 0x50
	v_lshl_or_b32 v1, s14, 9, v0
	v_dual_mov_b32 v5, 0 :: v_dual_mov_b32 v6, 0
	s_mov_b32 s8, s15
	s_mov_b32 s9, 0
	s_mov_b32 s2, exec_lo
	s_waitcnt lgkmcnt(0)
	v_cmpx_gt_i32_e64 s10, v1
	s_cbranch_execz .LBB81_4
; %bb.1:
	s_clause 0x3
	s_load_b128 s[16:19], s[0:1], 0x10
	s_load_b128 s[4:7], s[0:1], 0x28
	s_load_b64 s[12:13], s[0:1], 0x8
	s_load_b64 s[20:21], s[0:1], 0x20
	v_ashrrev_i32_e32 v2, 31, v1
	s_delay_alu instid0(VALU_DEP_1)
	v_lshlrev_b64 v[1:2], 3, v[1:2]
	s_waitcnt lgkmcnt(0)
	s_mul_i32 s11, s8, s19
	s_mul_hi_u32 s15, s8, s18
	s_mul_i32 s18, s8, s18
	s_add_i32 s19, s15, s11
	s_mul_i32 s11, s8, s7
	s_lshl_b64 s[18:19], s[18:19], 3
	s_mul_hi_u32 s15, s8, s6
	s_add_u32 s7, s12, s18
	s_addc_u32 s18, s13, s19
	s_lshl_b64 s[12:13], s[16:17], 3
	s_mul_i32 s16, s8, s6
	s_add_u32 s6, s7, s12
	s_addc_u32 s7, s18, s13
	s_add_i32 s17, s15, s11
	v_add_co_u32 v3, vcc_lo, s6, v1
	s_lshl_b64 s[12:13], s[16:17], 3
	v_add_co_ci_u32_e32 v4, vcc_lo, s7, v2, vcc_lo
	s_add_u32 s11, s20, s12
	s_addc_u32 s12, s21, s13
	s_lshl_b64 s[4:5], s[4:5], 3
	s_delay_alu instid0(SALU_CYCLE_1)
	s_add_u32 s4, s11, s4
	s_addc_u32 s5, s12, s5
	v_add_co_u32 v1, vcc_lo, s4, v1
	v_add_co_ci_u32_e32 v2, vcc_lo, s5, v2, vcc_lo
	global_load_b64 v[3:4], v[3:4], off
	global_load_b64 v[1:2], v[1:2], off
	s_add_i32 s11, s14, s3
	s_waitcnt vmcnt(0)
	v_mul_f32_e32 v5, v4, v2
	v_mul_f32_e32 v2, v3, v2
	s_delay_alu instid0(VALU_DEP_2) | instskip(NEXT) | instid1(VALU_DEP_1)
	v_fma_f32 v3, v3, v1, -v5
	v_dual_add_f32 v5, 0, v3 :: v_dual_fmac_f32 v2, v4, v1
	v_lshl_or_b32 v1, s11, 9, v0
	s_delay_alu instid0(VALU_DEP_2) | instskip(NEXT) | instid1(VALU_DEP_2)
	v_add_f32_e32 v6, 0, v2
	v_cmp_gt_i32_e32 vcc_lo, s10, v1
	s_and_saveexec_b32 s10, vcc_lo
	s_cbranch_execz .LBB81_3
; %bb.2:
	v_ashrrev_i32_e32 v2, 31, v1
	s_delay_alu instid0(VALU_DEP_1) | instskip(NEXT) | instid1(VALU_DEP_1)
	v_lshlrev_b64 v[1:2], 3, v[1:2]
	v_add_co_u32 v3, vcc_lo, s6, v1
	s_delay_alu instid0(VALU_DEP_2)
	v_add_co_ci_u32_e32 v4, vcc_lo, s7, v2, vcc_lo
	v_add_co_u32 v1, vcc_lo, s4, v1
	v_add_co_ci_u32_e32 v2, vcc_lo, s5, v2, vcc_lo
	global_load_b64 v[3:4], v[3:4], off
	global_load_b64 v[1:2], v[1:2], off
	s_waitcnt vmcnt(0)
	v_mul_f32_e32 v7, v3, v2
	v_mul_f32_e32 v2, v4, v2
	s_delay_alu instid0(VALU_DEP_2) | instskip(NEXT) | instid1(VALU_DEP_2)
	v_fmac_f32_e32 v7, v4, v1
	v_fma_f32 v1, v3, v1, -v2
	s_delay_alu instid0(VALU_DEP_1)
	v_dual_add_f32 v6, v6, v7 :: v_dual_add_f32 v5, v5, v1
.LBB81_3:
	s_or_b32 exec_lo, exec_lo, s10
.LBB81_4:
	s_delay_alu instid0(SALU_CYCLE_1) | instskip(SKIP_2) | instid1(VALU_DEP_2)
	s_or_b32 exec_lo, exec_lo, s2
	v_and_b32_e32 v1, 31, v0
	v_cmp_gt_u32_e32 vcc_lo, 32, v0
	v_lshlrev_b32_e32 v3, 3, v1
	s_and_saveexec_b32 s2, vcc_lo
	s_cbranch_execz .LBB81_6
; %bb.5:
	v_mov_b32_e32 v7, 0
	s_delay_alu instid0(VALU_DEP_1)
	v_mov_b32_e32 v8, v7
	ds_store_b64 v3, v[7:8]
.LBB81_6:
	s_or_b32 exec_lo, exec_lo, s2
	v_mbcnt_lo_u32_b32 v2, -1, 0
	s_mov_b32 s4, exec_lo
	s_waitcnt lgkmcnt(0)
	s_barrier
	buffer_gl0_inv
	v_cmp_gt_u32_e64 s2, 16, v2
	s_delay_alu instid0(VALU_DEP_1) | instskip(SKIP_1) | instid1(VALU_DEP_2)
	v_cndmask_b32_e64 v4, 0, 1, s2
	v_cmp_gt_u32_e64 s2, 24, v2
	v_lshlrev_b32_e32 v4, 4, v4
	s_delay_alu instid0(VALU_DEP_1) | instskip(SKIP_4) | instid1(VALU_DEP_2)
	v_add_lshl_u32 v4, v4, v2, 2
	ds_bpermute_b32 v7, v4, v5
	ds_bpermute_b32 v8, v4, v6
	v_cndmask_b32_e64 v4, 0, 1, s2
	v_cmp_gt_u32_e64 s2, 28, v2
	v_lshlrev_b32_e32 v4, 3, v4
	s_delay_alu instid0(VALU_DEP_1)
	v_add_lshl_u32 v4, v4, v2, 2
	s_waitcnt lgkmcnt(1)
	v_add_f32_e32 v7, v5, v7
	v_cndmask_b32_e64 v5, 0, 1, s2
	s_waitcnt lgkmcnt(0)
	v_add_f32_e32 v6, v6, v8
	v_cmp_gt_u32_e64 s2, 30, v2
	ds_bpermute_b32 v8, v4, v7
	v_lshlrev_b32_e32 v5, 2, v5
	ds_bpermute_b32 v9, v4, v6
	v_add_lshl_u32 v5, v5, v2, 2
	s_waitcnt lgkmcnt(0)
	v_dual_add_f32 v7, v7, v8 :: v_dual_add_f32 v8, v6, v9
	v_cndmask_b32_e64 v6, 0, 1, s2
	v_cmp_ne_u32_e64 s2, 31, v2
	ds_bpermute_b32 v9, v5, v7
	ds_bpermute_b32 v10, v5, v8
	v_lshlrev_b32_e32 v6, 1, v6
	s_delay_alu instid0(VALU_DEP_1)
	v_add_lshl_u32 v6, v6, v2, 2
	v_add_co_ci_u32_e64 v2, s2, 0, v2, s2
	s_waitcnt lgkmcnt(0)
	v_dual_add_f32 v9, v7, v9 :: v_dual_add_f32 v8, v8, v10
	ds_bpermute_b32 v10, v6, v9
	ds_bpermute_b32 v11, v6, v8
	v_lshlrev_b32_e32 v7, 2, v2
	s_waitcnt lgkmcnt(1)
	v_add_f32_e32 v2, v9, v10
	s_waitcnt lgkmcnt(0)
	v_add_f32_e32 v8, v8, v11
	ds_bpermute_b32 v9, v7, v2
	ds_bpermute_b32 v10, v7, v8
	v_cmpx_eq_u32_e32 0, v1
	s_cbranch_execz .LBB81_8
; %bb.7:
	v_lshrrev_b32_e32 v11, 2, v0
	s_waitcnt lgkmcnt(0)
	v_dual_add_f32 v1, v2, v9 :: v_dual_add_f32 v2, v8, v10
	s_delay_alu instid0(VALU_DEP_2)
	v_and_b32_e32 v8, 0x78, v11
	ds_store_b64 v8, v[1:2]
.LBB81_8:
	s_or_b32 exec_lo, exec_lo, s4
	v_dual_mov_b32 v2, 0 :: v_dual_mov_b32 v1, 0
	s_mov_b32 s4, exec_lo
	s_waitcnt lgkmcnt(0)
	s_barrier
	buffer_gl0_inv
	v_cmpx_gt_u32_e32 16, v0
	s_cbranch_execz .LBB81_10
; %bb.9:
	ds_load_b64 v[1:2], v3
.LBB81_10:
	s_or_b32 exec_lo, exec_lo, s4
	s_and_saveexec_b32 s2, vcc_lo
	s_cbranch_execz .LBB81_12
; %bb.11:
	s_waitcnt lgkmcnt(0)
	ds_bpermute_b32 v3, v4, v1
	ds_bpermute_b32 v4, v4, v2
	s_waitcnt lgkmcnt(0)
	v_dual_add_f32 v1, v1, v3 :: v_dual_add_f32 v2, v2, v4
	ds_bpermute_b32 v3, v5, v1
	ds_bpermute_b32 v4, v5, v2
	s_waitcnt lgkmcnt(0)
	v_dual_add_f32 v1, v1, v3 :: v_dual_add_f32 v2, v2, v4
	;; [unrolled: 4-line block ×4, first 2 shown]
.LBB81_12:
	s_or_b32 exec_lo, exec_lo, s2
	s_delay_alu instid0(SALU_CYCLE_1)
	s_mov_b32 s2, exec_lo
	v_cmpx_eq_u32_e32 0, v0
	s_cbranch_execz .LBB81_18
; %bb.13:
	s_cmp_lg_u32 s3, 1
	s_cbranch_scc0 .LBB81_15
; %bb.14:
	s_load_b64 s[4:5], s[0:1], 0x40
	s_mul_hi_u32 s7, s3, s8
	s_mul_i32 s6, s3, s8
	s_mov_b32 s15, 0
	s_lshl_b64 s[2:3], s[6:7], 3
	s_waitcnt lgkmcnt(0)
	s_add_u32 s4, s4, s2
	s_addc_u32 s5, s5, s3
	s_lshl_b64 s[2:3], s[14:15], 3
	s_delay_alu instid0(SALU_CYCLE_1)
	s_add_u32 s2, s4, s2
	s_addc_u32 s3, s5, s3
	s_cbranch_execz .LBB81_16
	s_branch .LBB81_17
.LBB81_15:
                                        ; implicit-def: $sgpr2_sgpr3
.LBB81_16:
	s_load_b64 s[0:1], s[0:1], 0x48
	s_lshl_b64 s[2:3], s[8:9], 3
	s_waitcnt lgkmcnt(0)
	s_add_u32 s2, s0, s2
	s_addc_u32 s3, s1, s3
.LBB81_17:
	v_mov_b32_e32 v0, 0
	s_waitcnt lgkmcnt(0)
	global_store_b64 v0, v[1:2], s[2:3]
.LBB81_18:
	s_nop 0
	s_sendmsg sendmsg(MSG_DEALLOC_VGPRS)
	s_endpgm
	.section	.rodata,"a",@progbits
	.p2align	6, 0x0
	.amdhsa_kernel _ZL23rocblas_dot_kernel_inc1ILb0ELi512ELi2ELb0E19rocblas_complex_numIfEPKS1_S1_EviT4_llS4_lliPT5_PT3_
		.amdhsa_group_segment_fixed_size 256
		.amdhsa_private_segment_fixed_size 0
		.amdhsa_kernarg_size 336
		.amdhsa_user_sgpr_count 14
		.amdhsa_user_sgpr_dispatch_ptr 0
		.amdhsa_user_sgpr_queue_ptr 0
		.amdhsa_user_sgpr_kernarg_segment_ptr 1
		.amdhsa_user_sgpr_dispatch_id 0
		.amdhsa_user_sgpr_private_segment_size 0
		.amdhsa_wavefront_size32 1
		.amdhsa_uses_dynamic_stack 0
		.amdhsa_enable_private_segment 0
		.amdhsa_system_sgpr_workgroup_id_x 1
		.amdhsa_system_sgpr_workgroup_id_y 0
		.amdhsa_system_sgpr_workgroup_id_z 1
		.amdhsa_system_sgpr_workgroup_info 0
		.amdhsa_system_vgpr_workitem_id 0
		.amdhsa_next_free_vgpr 12
		.amdhsa_next_free_sgpr 22
		.amdhsa_reserve_vcc 1
		.amdhsa_float_round_mode_32 0
		.amdhsa_float_round_mode_16_64 0
		.amdhsa_float_denorm_mode_32 3
		.amdhsa_float_denorm_mode_16_64 3
		.amdhsa_dx10_clamp 1
		.amdhsa_ieee_mode 1
		.amdhsa_fp16_overflow 0
		.amdhsa_workgroup_processor_mode 1
		.amdhsa_memory_ordered 1
		.amdhsa_forward_progress 0
		.amdhsa_shared_vgpr_count 0
		.amdhsa_exception_fp_ieee_invalid_op 0
		.amdhsa_exception_fp_denorm_src 0
		.amdhsa_exception_fp_ieee_div_zero 0
		.amdhsa_exception_fp_ieee_overflow 0
		.amdhsa_exception_fp_ieee_underflow 0
		.amdhsa_exception_fp_ieee_inexact 0
		.amdhsa_exception_int_div_zero 0
	.end_amdhsa_kernel
	.section	.text._ZL23rocblas_dot_kernel_inc1ILb0ELi512ELi2ELb0E19rocblas_complex_numIfEPKS1_S1_EviT4_llS4_lliPT5_PT3_,"axG",@progbits,_ZL23rocblas_dot_kernel_inc1ILb0ELi512ELi2ELb0E19rocblas_complex_numIfEPKS1_S1_EviT4_llS4_lliPT5_PT3_,comdat
.Lfunc_end81:
	.size	_ZL23rocblas_dot_kernel_inc1ILb0ELi512ELi2ELb0E19rocblas_complex_numIfEPKS1_S1_EviT4_llS4_lliPT5_PT3_, .Lfunc_end81-_ZL23rocblas_dot_kernel_inc1ILb0ELi512ELi2ELb0E19rocblas_complex_numIfEPKS1_S1_EviT4_llS4_lliPT5_PT3_
                                        ; -- End function
	.section	.AMDGPU.csdata,"",@progbits
; Kernel info:
; codeLenInByte = 1136
; NumSgprs: 24
; NumVgprs: 12
; ScratchSize: 0
; MemoryBound: 0
; FloatMode: 240
; IeeeMode: 1
; LDSByteSize: 256 bytes/workgroup (compile time only)
; SGPRBlocks: 2
; VGPRBlocks: 1
; NumSGPRsForWavesPerEU: 24
; NumVGPRsForWavesPerEU: 12
; Occupancy: 16
; WaveLimiterHint : 0
; COMPUTE_PGM_RSRC2:SCRATCH_EN: 0
; COMPUTE_PGM_RSRC2:USER_SGPR: 14
; COMPUTE_PGM_RSRC2:TRAP_HANDLER: 0
; COMPUTE_PGM_RSRC2:TGID_X_EN: 1
; COMPUTE_PGM_RSRC2:TGID_Y_EN: 0
; COMPUTE_PGM_RSRC2:TGID_Z_EN: 1
; COMPUTE_PGM_RSRC2:TIDIG_COMP_CNT: 0
	.section	.text._ZL18rocblas_dot_kernelIiLb0ELi512ELi2ELb0E19rocblas_complex_numIfEPKS1_S1_EviT5_lT_lS4_lS5_liPT6_PT4_,"axG",@progbits,_ZL18rocblas_dot_kernelIiLb0ELi512ELi2ELb0E19rocblas_complex_numIfEPKS1_S1_EviT5_lT_lS4_lS5_liPT6_PT4_,comdat
	.globl	_ZL18rocblas_dot_kernelIiLb0ELi512ELi2ELb0E19rocblas_complex_numIfEPKS1_S1_EviT5_lT_lS4_lS5_liPT6_PT4_ ; -- Begin function _ZL18rocblas_dot_kernelIiLb0ELi512ELi2ELb0E19rocblas_complex_numIfEPKS1_S1_EviT5_lT_lS4_lS5_liPT6_PT4_
	.p2align	8
	.type	_ZL18rocblas_dot_kernelIiLb0ELi512ELi2ELb0E19rocblas_complex_numIfEPKS1_S1_EviT5_lT_lS4_lS5_liPT6_PT4_,@function
_ZL18rocblas_dot_kernelIiLb0ELi512ELi2ELb0E19rocblas_complex_numIfEPKS1_S1_EviT5_lT_lS4_lS5_liPT6_PT4_: ; @_ZL18rocblas_dot_kernelIiLb0ELi512ELi2ELb0E19rocblas_complex_numIfEPKS1_S1_EviT5_lT_lS4_lS5_liPT6_PT4_
; %bb.0:
	s_clause 0x1
	s_load_b32 s10, s[0:1], 0x0
	s_load_b32 s3, s[0:1], 0x60
	v_lshl_or_b32 v3, s14, 9, v0
	v_dual_mov_b32 v1, 0 :: v_dual_mov_b32 v2, 0
	s_mov_b32 s8, s15
	s_mov_b32 s9, 0
	s_mov_b32 s2, exec_lo
	s_waitcnt lgkmcnt(0)
	v_cmpx_gt_i32_e64 s10, v3
	s_cbranch_execz .LBB82_4
; %bb.1:
	s_clause 0x5
	s_load_b128 s[4:7], s[0:1], 0x20
	s_load_b64 s[20:21], s[0:1], 0x40
	s_load_b32 s11, s[0:1], 0x38
	s_load_b32 s12, s[0:1], 0x18
	s_load_b128 s[16:19], s[0:1], 0x8
	s_load_b64 s[22:23], s[0:1], 0x30
	s_waitcnt lgkmcnt(0)
	s_mul_i32 s5, s8, s5
	s_mul_hi_u32 s13, s8, s4
	s_mul_i32 s4, s8, s4
	s_add_i32 s5, s13, s5
	v_mad_i64_i32 v[4:5], null, v3, s12, 0
	s_lshl_b64 s[4:5], s[4:5], 3
	v_mad_i64_i32 v[1:2], null, v3, s11, 0
	s_add_u32 s13, s16, s4
	s_addc_u32 s17, s17, s5
	s_lshl_b64 s[4:5], s[18:19], 3
	s_mul_i32 s15, s8, s21
	s_mul_hi_u32 s21, s8, s20
	s_add_u32 s4, s13, s4
	s_mul_i32 s16, s8, s20
	s_addc_u32 s5, s17, s5
	s_add_i32 s17, s21, s15
	v_lshlrev_b64 v[3:4], 3, v[4:5]
	s_lshl_b64 s[16:17], s[16:17], 3
	v_lshlrev_b64 v[1:2], 3, v[1:2]
	s_add_u32 s13, s6, s16
	s_addc_u32 s15, s7, s17
	s_lshl_b64 s[6:7], s[22:23], 3
	v_add_co_u32 v3, vcc_lo, s4, v3
	s_add_u32 s6, s13, s6
	v_add_co_ci_u32_e32 v4, vcc_lo, s5, v4, vcc_lo
	s_addc_u32 s7, s15, s7
	v_add_co_u32 v1, vcc_lo, s6, v1
	v_add_co_ci_u32_e32 v2, vcc_lo, s7, v2, vcc_lo
	global_load_b64 v[3:4], v[3:4], off
	global_load_b64 v[1:2], v[1:2], off
	s_add_i32 s13, s14, s3
	s_waitcnt vmcnt(0)
	v_mul_f32_e32 v5, v4, v2
	s_delay_alu instid0(VALU_DEP_1) | instskip(SKIP_2) | instid1(VALU_DEP_2)
	v_fma_f32 v5, v3, v1, -v5
	v_mul_f32_e32 v2, v3, v2
	v_lshl_or_b32 v3, s13, 9, v0
	v_fmac_f32_e32 v2, v4, v1
	s_delay_alu instid0(VALU_DEP_4) | instskip(NEXT) | instid1(VALU_DEP_3)
	v_add_f32_e32 v1, 0, v5
	v_cmp_gt_i32_e32 vcc_lo, s10, v3
	s_delay_alu instid0(VALU_DEP_3)
	v_add_f32_e32 v2, 0, v2
	s_and_saveexec_b32 s10, vcc_lo
	s_cbranch_execz .LBB82_3
; %bb.2:
	v_mad_i64_i32 v[4:5], null, v3, s12, 0
	v_mad_i64_i32 v[6:7], null, v3, s11, 0
	s_delay_alu instid0(VALU_DEP_2) | instskip(NEXT) | instid1(VALU_DEP_2)
	v_lshlrev_b64 v[3:4], 3, v[4:5]
	v_lshlrev_b64 v[5:6], 3, v[6:7]
	s_delay_alu instid0(VALU_DEP_2) | instskip(NEXT) | instid1(VALU_DEP_3)
	v_add_co_u32 v3, vcc_lo, s4, v3
	v_add_co_ci_u32_e32 v4, vcc_lo, s5, v4, vcc_lo
	s_delay_alu instid0(VALU_DEP_3) | instskip(NEXT) | instid1(VALU_DEP_4)
	v_add_co_u32 v5, vcc_lo, s6, v5
	v_add_co_ci_u32_e32 v6, vcc_lo, s7, v6, vcc_lo
	global_load_b64 v[3:4], v[3:4], off
	global_load_b64 v[5:6], v[5:6], off
	s_waitcnt vmcnt(0)
	v_mul_f32_e32 v7, v3, v6
	v_mul_f32_e32 v6, v4, v6
	s_delay_alu instid0(VALU_DEP_2) | instskip(NEXT) | instid1(VALU_DEP_2)
	v_fmac_f32_e32 v7, v4, v5
	v_fma_f32 v3, v3, v5, -v6
	s_delay_alu instid0(VALU_DEP_2) | instskip(NEXT) | instid1(VALU_DEP_2)
	v_add_f32_e32 v2, v2, v7
	v_add_f32_e32 v1, v1, v3
.LBB82_3:
	s_or_b32 exec_lo, exec_lo, s10
.LBB82_4:
	s_delay_alu instid0(SALU_CYCLE_1) | instskip(SKIP_2) | instid1(VALU_DEP_2)
	s_or_b32 exec_lo, exec_lo, s2
	v_and_b32_e32 v8, 31, v0
	v_cmp_gt_u32_e32 vcc_lo, 32, v0
	v_lshlrev_b32_e32 v3, 3, v8
	s_and_saveexec_b32 s2, vcc_lo
	s_cbranch_execz .LBB82_6
; %bb.5:
	v_mov_b32_e32 v4, 0
	s_delay_alu instid0(VALU_DEP_1)
	v_mov_b32_e32 v5, v4
	ds_store_b64 v3, v[4:5]
.LBB82_6:
	s_or_b32 exec_lo, exec_lo, s2
	v_mbcnt_lo_u32_b32 v7, -1, 0
	s_mov_b32 s4, exec_lo
	s_waitcnt lgkmcnt(0)
	s_barrier
	buffer_gl0_inv
	v_cmp_gt_u32_e64 s2, 16, v7
	s_delay_alu instid0(VALU_DEP_1) | instskip(SKIP_1) | instid1(VALU_DEP_2)
	v_cndmask_b32_e64 v4, 0, 1, s2
	v_cmp_gt_u32_e64 s2, 24, v7
	v_lshlrev_b32_e32 v4, 4, v4
	s_delay_alu instid0(VALU_DEP_1)
	v_add_lshl_u32 v4, v4, v7, 2
	ds_bpermute_b32 v5, v4, v1
	ds_bpermute_b32 v6, v4, v2
	v_cndmask_b32_e64 v4, 0, 1, s2
	v_cmp_gt_u32_e64 s2, 28, v7
	s_waitcnt lgkmcnt(1)
	s_delay_alu instid0(VALU_DEP_2) | instskip(NEXT) | instid1(VALU_DEP_2)
	v_dual_add_f32 v1, v1, v5 :: v_dual_lshlrev_b32 v4, 3, v4
	v_cndmask_b32_e64 v5, 0, 1, s2
	s_waitcnt lgkmcnt(0)
	v_add_f32_e32 v2, v2, v6
	v_cmp_gt_u32_e64 s2, 30, v7
	v_add_lshl_u32 v4, v4, v7, 2
	v_lshlrev_b32_e32 v5, 2, v5
	ds_bpermute_b32 v6, v4, v1
	ds_bpermute_b32 v9, v4, v2
	v_add_lshl_u32 v5, v5, v7, 2
	s_waitcnt lgkmcnt(1)
	v_add_f32_e32 v1, v1, v6
	v_cndmask_b32_e64 v6, 0, 1, s2
	v_cmp_ne_u32_e64 s2, 31, v7
	s_delay_alu instid0(VALU_DEP_2) | instskip(NEXT) | instid1(VALU_DEP_1)
	v_lshlrev_b32_e32 v6, 1, v6
	v_add_lshl_u32 v6, v6, v7, 2
	s_delay_alu instid0(VALU_DEP_3)
	v_add_co_ci_u32_e64 v7, s2, 0, v7, s2
	s_waitcnt lgkmcnt(0)
	v_add_f32_e32 v2, v2, v9
	ds_bpermute_b32 v9, v5, v1
	v_lshlrev_b32_e32 v7, 2, v7
	ds_bpermute_b32 v10, v5, v2
	s_waitcnt lgkmcnt(1)
	v_add_f32_e32 v1, v1, v9
	ds_bpermute_b32 v9, v6, v1
	s_waitcnt lgkmcnt(0)
	v_dual_add_f32 v2, v2, v10 :: v_dual_add_f32 v1, v1, v9
	ds_bpermute_b32 v10, v6, v2
	ds_bpermute_b32 v9, v7, v1
	s_waitcnt lgkmcnt(1)
	v_add_f32_e32 v2, v2, v10
	ds_bpermute_b32 v10, v7, v2
	v_cmpx_eq_u32_e32 0, v8
	s_cbranch_execz .LBB82_8
; %bb.7:
	v_lshrrev_b32_e32 v8, 2, v0
	s_waitcnt lgkmcnt(0)
	v_dual_add_f32 v1, v1, v9 :: v_dual_add_f32 v2, v2, v10
	s_delay_alu instid0(VALU_DEP_2)
	v_and_b32_e32 v8, 0x78, v8
	ds_store_b64 v8, v[1:2]
.LBB82_8:
	s_or_b32 exec_lo, exec_lo, s4
	v_dual_mov_b32 v2, 0 :: v_dual_mov_b32 v1, 0
	s_mov_b32 s4, exec_lo
	s_waitcnt lgkmcnt(0)
	s_barrier
	buffer_gl0_inv
	v_cmpx_gt_u32_e32 16, v0
	s_cbranch_execz .LBB82_10
; %bb.9:
	ds_load_b64 v[1:2], v3
.LBB82_10:
	s_or_b32 exec_lo, exec_lo, s4
	s_and_saveexec_b32 s2, vcc_lo
	s_cbranch_execz .LBB82_12
; %bb.11:
	s_waitcnt lgkmcnt(0)
	ds_bpermute_b32 v3, v4, v1
	ds_bpermute_b32 v4, v4, v2
	s_waitcnt lgkmcnt(0)
	v_dual_add_f32 v1, v1, v3 :: v_dual_add_f32 v2, v2, v4
	ds_bpermute_b32 v3, v5, v1
	ds_bpermute_b32 v4, v5, v2
	s_waitcnt lgkmcnt(0)
	v_dual_add_f32 v1, v1, v3 :: v_dual_add_f32 v2, v2, v4
	;; [unrolled: 4-line block ×4, first 2 shown]
.LBB82_12:
	s_or_b32 exec_lo, exec_lo, s2
	s_delay_alu instid0(SALU_CYCLE_1)
	s_mov_b32 s2, exec_lo
	v_cmpx_eq_u32_e32 0, v0
	s_cbranch_execz .LBB82_18
; %bb.13:
	s_cmp_lg_u32 s3, 1
	s_cbranch_scc0 .LBB82_15
; %bb.14:
	s_load_b64 s[4:5], s[0:1], 0x50
	s_mul_hi_u32 s7, s3, s8
	s_mul_i32 s6, s3, s8
	s_mov_b32 s15, 0
	s_lshl_b64 s[2:3], s[6:7], 3
	s_waitcnt lgkmcnt(0)
	s_add_u32 s4, s4, s2
	s_addc_u32 s5, s5, s3
	s_lshl_b64 s[2:3], s[14:15], 3
	s_delay_alu instid0(SALU_CYCLE_1)
	s_add_u32 s2, s4, s2
	s_addc_u32 s3, s5, s3
	s_cbranch_execz .LBB82_16
	s_branch .LBB82_17
.LBB82_15:
                                        ; implicit-def: $sgpr2_sgpr3
.LBB82_16:
	s_load_b64 s[0:1], s[0:1], 0x58
	s_lshl_b64 s[2:3], s[8:9], 3
	s_waitcnt lgkmcnt(0)
	s_add_u32 s2, s0, s2
	s_addc_u32 s3, s1, s3
.LBB82_17:
	v_mov_b32_e32 v0, 0
	s_waitcnt lgkmcnt(0)
	global_store_b64 v0, v[1:2], s[2:3]
.LBB82_18:
	s_nop 0
	s_sendmsg sendmsg(MSG_DEALLOC_VGPRS)
	s_endpgm
	.section	.rodata,"a",@progbits
	.p2align	6, 0x0
	.amdhsa_kernel _ZL18rocblas_dot_kernelIiLb0ELi512ELi2ELb0E19rocblas_complex_numIfEPKS1_S1_EviT5_lT_lS4_lS5_liPT6_PT4_
		.amdhsa_group_segment_fixed_size 256
		.amdhsa_private_segment_fixed_size 0
		.amdhsa_kernarg_size 352
		.amdhsa_user_sgpr_count 14
		.amdhsa_user_sgpr_dispatch_ptr 0
		.amdhsa_user_sgpr_queue_ptr 0
		.amdhsa_user_sgpr_kernarg_segment_ptr 1
		.amdhsa_user_sgpr_dispatch_id 0
		.amdhsa_user_sgpr_private_segment_size 0
		.amdhsa_wavefront_size32 1
		.amdhsa_uses_dynamic_stack 0
		.amdhsa_enable_private_segment 0
		.amdhsa_system_sgpr_workgroup_id_x 1
		.amdhsa_system_sgpr_workgroup_id_y 0
		.amdhsa_system_sgpr_workgroup_id_z 1
		.amdhsa_system_sgpr_workgroup_info 0
		.amdhsa_system_vgpr_workitem_id 0
		.amdhsa_next_free_vgpr 11
		.amdhsa_next_free_sgpr 24
		.amdhsa_reserve_vcc 1
		.amdhsa_float_round_mode_32 0
		.amdhsa_float_round_mode_16_64 0
		.amdhsa_float_denorm_mode_32 3
		.amdhsa_float_denorm_mode_16_64 3
		.amdhsa_dx10_clamp 1
		.amdhsa_ieee_mode 1
		.amdhsa_fp16_overflow 0
		.amdhsa_workgroup_processor_mode 1
		.amdhsa_memory_ordered 1
		.amdhsa_forward_progress 0
		.amdhsa_shared_vgpr_count 0
		.amdhsa_exception_fp_ieee_invalid_op 0
		.amdhsa_exception_fp_denorm_src 0
		.amdhsa_exception_fp_ieee_div_zero 0
		.amdhsa_exception_fp_ieee_overflow 0
		.amdhsa_exception_fp_ieee_underflow 0
		.amdhsa_exception_fp_ieee_inexact 0
		.amdhsa_exception_int_div_zero 0
	.end_amdhsa_kernel
	.section	.text._ZL18rocblas_dot_kernelIiLb0ELi512ELi2ELb0E19rocblas_complex_numIfEPKS1_S1_EviT5_lT_lS4_lS5_liPT6_PT4_,"axG",@progbits,_ZL18rocblas_dot_kernelIiLb0ELi512ELi2ELb0E19rocblas_complex_numIfEPKS1_S1_EviT5_lT_lS4_lS5_liPT6_PT4_,comdat
.Lfunc_end82:
	.size	_ZL18rocblas_dot_kernelIiLb0ELi512ELi2ELb0E19rocblas_complex_numIfEPKS1_S1_EviT5_lT_lS4_lS5_liPT6_PT4_, .Lfunc_end82-_ZL18rocblas_dot_kernelIiLb0ELi512ELi2ELb0E19rocblas_complex_numIfEPKS1_S1_EviT5_lT_lS4_lS5_liPT6_PT4_
                                        ; -- End function
	.section	.AMDGPU.csdata,"",@progbits
; Kernel info:
; codeLenInByte = 1200
; NumSgprs: 26
; NumVgprs: 11
; ScratchSize: 0
; MemoryBound: 0
; FloatMode: 240
; IeeeMode: 1
; LDSByteSize: 256 bytes/workgroup (compile time only)
; SGPRBlocks: 3
; VGPRBlocks: 1
; NumSGPRsForWavesPerEU: 26
; NumVGPRsForWavesPerEU: 11
; Occupancy: 16
; WaveLimiterHint : 0
; COMPUTE_PGM_RSRC2:SCRATCH_EN: 0
; COMPUTE_PGM_RSRC2:USER_SGPR: 14
; COMPUTE_PGM_RSRC2:TRAP_HANDLER: 0
; COMPUTE_PGM_RSRC2:TGID_X_EN: 1
; COMPUTE_PGM_RSRC2:TGID_Y_EN: 0
; COMPUTE_PGM_RSRC2:TGID_Z_EN: 1
; COMPUTE_PGM_RSRC2:TIDIG_COMP_CNT: 0
	.section	.text._ZL24rocblas_dot_kernel_magsqIiLb0ELi512ELi2ELb0E19rocblas_complex_numIfEPKS1_S1_EviT5_lT_liPT6_PT4_,"axG",@progbits,_ZL24rocblas_dot_kernel_magsqIiLb0ELi512ELi2ELb0E19rocblas_complex_numIfEPKS1_S1_EviT5_lT_liPT6_PT4_,comdat
	.globl	_ZL24rocblas_dot_kernel_magsqIiLb0ELi512ELi2ELb0E19rocblas_complex_numIfEPKS1_S1_EviT5_lT_liPT6_PT4_ ; -- Begin function _ZL24rocblas_dot_kernel_magsqIiLb0ELi512ELi2ELb0E19rocblas_complex_numIfEPKS1_S1_EviT5_lT_liPT6_PT4_
	.p2align	8
	.type	_ZL24rocblas_dot_kernel_magsqIiLb0ELi512ELi2ELb0E19rocblas_complex_numIfEPKS1_S1_EviT5_lT_liPT6_PT4_,@function
_ZL24rocblas_dot_kernel_magsqIiLb0ELi512ELi2ELb0E19rocblas_complex_numIfEPKS1_S1_EviT5_lT_liPT6_PT4_: ; @_ZL24rocblas_dot_kernel_magsqIiLb0ELi512ELi2ELb0E19rocblas_complex_numIfEPKS1_S1_EviT5_lT_liPT6_PT4_
; %bb.0:
	s_clause 0x1
	s_load_b32 s6, s[0:1], 0x0
	s_load_b32 s3, s[0:1], 0x40
	v_lshl_or_b32 v3, s14, 9, v0
	v_dual_mov_b32 v1, 0 :: v_dual_mov_b32 v2, 0
	s_mov_b32 s4, s15
	s_mov_b32 s5, 0
	s_mov_b32 s2, exec_lo
	s_waitcnt lgkmcnt(0)
	v_cmpx_gt_i32_e64 s6, v3
	s_cbranch_execz .LBB83_4
; %bb.1:
	s_clause 0x2
	s_load_b64 s[12:13], s[0:1], 0x20
	s_load_b32 s7, s[0:1], 0x18
	s_load_b128 s[8:11], s[0:1], 0x8
	s_waitcnt lgkmcnt(0)
	s_mul_i32 s13, s4, s13
	v_mad_i64_i32 v[1:2], null, v3, s7, 0
	s_mul_hi_u32 s15, s4, s12
	s_mul_i32 s12, s4, s12
	s_add_i32 s13, s15, s13
	s_delay_alu instid0(SALU_CYCLE_1) | instskip(NEXT) | instid1(SALU_CYCLE_1)
	s_lshl_b64 s[12:13], s[12:13], 3
	s_add_u32 s12, s8, s12
	s_delay_alu instid0(VALU_DEP_1) | instskip(SKIP_2) | instid1(SALU_CYCLE_1)
	v_lshlrev_b64 v[1:2], 3, v[1:2]
	s_addc_u32 s13, s9, s13
	s_lshl_b64 s[8:9], s[10:11], 3
	s_add_u32 s8, s12, s8
	s_addc_u32 s9, s13, s9
	s_delay_alu instid0(VALU_DEP_1) | instskip(SKIP_2) | instid1(SALU_CYCLE_1)
	v_add_co_u32 v1, vcc_lo, s8, v1
	v_add_co_ci_u32_e32 v2, vcc_lo, s9, v2, vcc_lo
	s_add_i32 s10, s14, s3
	v_lshl_or_b32 v3, s10, 9, v0
	global_load_b64 v[1:2], v[1:2], off
	v_cmp_gt_i32_e32 vcc_lo, s6, v3
	s_waitcnt vmcnt(0)
	v_mul_f32_e32 v4, v2, v2
	v_mul_f32_e32 v2, v1, v2
	s_delay_alu instid0(VALU_DEP_2) | instskip(NEXT) | instid1(VALU_DEP_2)
	v_fma_f32 v1, v1, v1, -v4
	v_fma_f32 v2, v2, 2.0, 0
	s_and_saveexec_b32 s6, vcc_lo
	s_cbranch_execz .LBB83_3
; %bb.2:
	v_mad_i64_i32 v[4:5], null, v3, s7, 0
	s_delay_alu instid0(VALU_DEP_1) | instskip(NEXT) | instid1(VALU_DEP_1)
	v_lshlrev_b64 v[3:4], 3, v[4:5]
	v_add_co_u32 v3, vcc_lo, s8, v3
	s_delay_alu instid0(VALU_DEP_2) | instskip(SKIP_4) | instid1(VALU_DEP_2)
	v_add_co_ci_u32_e32 v4, vcc_lo, s9, v4, vcc_lo
	global_load_b64 v[3:4], v[3:4], off
	s_waitcnt vmcnt(0)
	v_mul_f32_e32 v5, v4, v4
	v_mul_f32_e32 v4, v3, v4
	v_fma_f32 v3, v3, v3, -v5
	s_delay_alu instid0(VALU_DEP_1)
	v_dual_add_f32 v1, v1, v3 :: v_dual_fmac_f32 v2, 2.0, v4
.LBB83_3:
	s_or_b32 exec_lo, exec_lo, s6
.LBB83_4:
	s_delay_alu instid0(SALU_CYCLE_1) | instskip(SKIP_2) | instid1(VALU_DEP_2)
	s_or_b32 exec_lo, exec_lo, s2
	v_and_b32_e32 v8, 31, v0
	v_cmp_gt_u32_e32 vcc_lo, 32, v0
	v_lshlrev_b32_e32 v3, 3, v8
	s_and_saveexec_b32 s2, vcc_lo
	s_cbranch_execz .LBB83_6
; %bb.5:
	v_mov_b32_e32 v4, 0
	s_delay_alu instid0(VALU_DEP_1)
	v_mov_b32_e32 v5, v4
	ds_store_b64 v3, v[4:5]
.LBB83_6:
	s_or_b32 exec_lo, exec_lo, s2
	v_mbcnt_lo_u32_b32 v7, -1, 0
	s_mov_b32 s6, exec_lo
	s_waitcnt lgkmcnt(0)
	s_barrier
	buffer_gl0_inv
	v_cmp_gt_u32_e64 s2, 16, v7
	s_delay_alu instid0(VALU_DEP_1) | instskip(SKIP_1) | instid1(VALU_DEP_2)
	v_cndmask_b32_e64 v4, 0, 1, s2
	v_cmp_gt_u32_e64 s2, 24, v7
	v_lshlrev_b32_e32 v4, 4, v4
	s_delay_alu instid0(VALU_DEP_1)
	v_add_lshl_u32 v4, v4, v7, 2
	ds_bpermute_b32 v5, v4, v1
	ds_bpermute_b32 v6, v4, v2
	v_cndmask_b32_e64 v4, 0, 1, s2
	v_cmp_gt_u32_e64 s2, 28, v7
	s_waitcnt lgkmcnt(1)
	s_delay_alu instid0(VALU_DEP_2) | instskip(NEXT) | instid1(VALU_DEP_2)
	v_dual_add_f32 v1, v1, v5 :: v_dual_lshlrev_b32 v4, 3, v4
	v_cndmask_b32_e64 v5, 0, 1, s2
	s_waitcnt lgkmcnt(0)
	v_add_f32_e32 v2, v2, v6
	v_cmp_gt_u32_e64 s2, 30, v7
	v_add_lshl_u32 v4, v4, v7, 2
	v_lshlrev_b32_e32 v5, 2, v5
	ds_bpermute_b32 v6, v4, v1
	ds_bpermute_b32 v9, v4, v2
	v_add_lshl_u32 v5, v5, v7, 2
	s_waitcnt lgkmcnt(1)
	v_add_f32_e32 v1, v1, v6
	v_cndmask_b32_e64 v6, 0, 1, s2
	v_cmp_ne_u32_e64 s2, 31, v7
	s_delay_alu instid0(VALU_DEP_2) | instskip(NEXT) | instid1(VALU_DEP_1)
	v_lshlrev_b32_e32 v6, 1, v6
	v_add_lshl_u32 v6, v6, v7, 2
	s_delay_alu instid0(VALU_DEP_3)
	v_add_co_ci_u32_e64 v7, s2, 0, v7, s2
	s_waitcnt lgkmcnt(0)
	v_add_f32_e32 v2, v2, v9
	ds_bpermute_b32 v9, v5, v1
	v_lshlrev_b32_e32 v7, 2, v7
	ds_bpermute_b32 v10, v5, v2
	s_waitcnt lgkmcnt(1)
	v_add_f32_e32 v1, v1, v9
	ds_bpermute_b32 v9, v6, v1
	s_waitcnt lgkmcnt(0)
	v_dual_add_f32 v2, v2, v10 :: v_dual_add_f32 v1, v1, v9
	ds_bpermute_b32 v10, v6, v2
	ds_bpermute_b32 v9, v7, v1
	s_waitcnt lgkmcnt(1)
	v_add_f32_e32 v2, v2, v10
	ds_bpermute_b32 v10, v7, v2
	v_cmpx_eq_u32_e32 0, v8
	s_cbranch_execz .LBB83_8
; %bb.7:
	v_lshrrev_b32_e32 v8, 2, v0
	s_waitcnt lgkmcnt(0)
	v_dual_add_f32 v1, v1, v9 :: v_dual_add_f32 v2, v2, v10
	s_delay_alu instid0(VALU_DEP_2)
	v_and_b32_e32 v8, 0x78, v8
	ds_store_b64 v8, v[1:2]
.LBB83_8:
	s_or_b32 exec_lo, exec_lo, s6
	v_dual_mov_b32 v2, 0 :: v_dual_mov_b32 v1, 0
	s_mov_b32 s6, exec_lo
	s_waitcnt lgkmcnt(0)
	s_barrier
	buffer_gl0_inv
	v_cmpx_gt_u32_e32 16, v0
	s_cbranch_execz .LBB83_10
; %bb.9:
	ds_load_b64 v[1:2], v3
.LBB83_10:
	s_or_b32 exec_lo, exec_lo, s6
	s_and_saveexec_b32 s2, vcc_lo
	s_cbranch_execz .LBB83_12
; %bb.11:
	s_waitcnt lgkmcnt(0)
	ds_bpermute_b32 v3, v4, v1
	ds_bpermute_b32 v4, v4, v2
	s_waitcnt lgkmcnt(0)
	v_dual_add_f32 v1, v1, v3 :: v_dual_add_f32 v2, v2, v4
	ds_bpermute_b32 v3, v5, v1
	ds_bpermute_b32 v4, v5, v2
	s_waitcnt lgkmcnt(0)
	v_dual_add_f32 v1, v1, v3 :: v_dual_add_f32 v2, v2, v4
	;; [unrolled: 4-line block ×4, first 2 shown]
.LBB83_12:
	s_or_b32 exec_lo, exec_lo, s2
	s_delay_alu instid0(SALU_CYCLE_1)
	s_mov_b32 s2, exec_lo
	v_cmpx_eq_u32_e32 0, v0
	s_cbranch_execz .LBB83_18
; %bb.13:
	s_cmp_lg_u32 s3, 1
	s_cbranch_scc0 .LBB83_15
; %bb.14:
	s_load_b64 s[6:7], s[0:1], 0x30
	s_mul_hi_u32 s9, s3, s4
	s_mul_i32 s8, s3, s4
	s_mov_b32 s15, 0
	s_lshl_b64 s[2:3], s[8:9], 3
	s_waitcnt lgkmcnt(0)
	s_add_u32 s6, s6, s2
	s_addc_u32 s7, s7, s3
	s_lshl_b64 s[2:3], s[14:15], 3
	s_delay_alu instid0(SALU_CYCLE_1)
	s_add_u32 s2, s6, s2
	s_addc_u32 s3, s7, s3
	s_cbranch_execz .LBB83_16
	s_branch .LBB83_17
.LBB83_15:
                                        ; implicit-def: $sgpr2_sgpr3
.LBB83_16:
	s_load_b64 s[0:1], s[0:1], 0x38
	s_lshl_b64 s[2:3], s[4:5], 3
	s_waitcnt lgkmcnt(0)
	s_add_u32 s2, s0, s2
	s_addc_u32 s3, s1, s3
.LBB83_17:
	v_mov_b32_e32 v0, 0
	s_waitcnt lgkmcnt(0)
	global_store_b64 v0, v[1:2], s[2:3]
.LBB83_18:
	s_nop 0
	s_sendmsg sendmsg(MSG_DEALLOC_VGPRS)
	s_endpgm
	.section	.rodata,"a",@progbits
	.p2align	6, 0x0
	.amdhsa_kernel _ZL24rocblas_dot_kernel_magsqIiLb0ELi512ELi2ELb0E19rocblas_complex_numIfEPKS1_S1_EviT5_lT_liPT6_PT4_
		.amdhsa_group_segment_fixed_size 256
		.amdhsa_private_segment_fixed_size 0
		.amdhsa_kernarg_size 320
		.amdhsa_user_sgpr_count 14
		.amdhsa_user_sgpr_dispatch_ptr 0
		.amdhsa_user_sgpr_queue_ptr 0
		.amdhsa_user_sgpr_kernarg_segment_ptr 1
		.amdhsa_user_sgpr_dispatch_id 0
		.amdhsa_user_sgpr_private_segment_size 0
		.amdhsa_wavefront_size32 1
		.amdhsa_uses_dynamic_stack 0
		.amdhsa_enable_private_segment 0
		.amdhsa_system_sgpr_workgroup_id_x 1
		.amdhsa_system_sgpr_workgroup_id_y 0
		.amdhsa_system_sgpr_workgroup_id_z 1
		.amdhsa_system_sgpr_workgroup_info 0
		.amdhsa_system_vgpr_workitem_id 0
		.amdhsa_next_free_vgpr 11
		.amdhsa_next_free_sgpr 16
		.amdhsa_reserve_vcc 1
		.amdhsa_float_round_mode_32 0
		.amdhsa_float_round_mode_16_64 0
		.amdhsa_float_denorm_mode_32 3
		.amdhsa_float_denorm_mode_16_64 3
		.amdhsa_dx10_clamp 1
		.amdhsa_ieee_mode 1
		.amdhsa_fp16_overflow 0
		.amdhsa_workgroup_processor_mode 1
		.amdhsa_memory_ordered 1
		.amdhsa_forward_progress 0
		.amdhsa_shared_vgpr_count 0
		.amdhsa_exception_fp_ieee_invalid_op 0
		.amdhsa_exception_fp_denorm_src 0
		.amdhsa_exception_fp_ieee_div_zero 0
		.amdhsa_exception_fp_ieee_overflow 0
		.amdhsa_exception_fp_ieee_underflow 0
		.amdhsa_exception_fp_ieee_inexact 0
		.amdhsa_exception_int_div_zero 0
	.end_amdhsa_kernel
	.section	.text._ZL24rocblas_dot_kernel_magsqIiLb0ELi512ELi2ELb0E19rocblas_complex_numIfEPKS1_S1_EviT5_lT_liPT6_PT4_,"axG",@progbits,_ZL24rocblas_dot_kernel_magsqIiLb0ELi512ELi2ELb0E19rocblas_complex_numIfEPKS1_S1_EviT5_lT_liPT6_PT4_,comdat
.Lfunc_end83:
	.size	_ZL24rocblas_dot_kernel_magsqIiLb0ELi512ELi2ELb0E19rocblas_complex_numIfEPKS1_S1_EviT5_lT_liPT6_PT4_, .Lfunc_end83-_ZL24rocblas_dot_kernel_magsqIiLb0ELi512ELi2ELb0E19rocblas_complex_numIfEPKS1_S1_EviT5_lT_liPT6_PT4_
                                        ; -- End function
	.section	.AMDGPU.csdata,"",@progbits
; Kernel info:
; codeLenInByte = 1052
; NumSgprs: 18
; NumVgprs: 11
; ScratchSize: 0
; MemoryBound: 0
; FloatMode: 240
; IeeeMode: 1
; LDSByteSize: 256 bytes/workgroup (compile time only)
; SGPRBlocks: 2
; VGPRBlocks: 1
; NumSGPRsForWavesPerEU: 18
; NumVGPRsForWavesPerEU: 11
; Occupancy: 16
; WaveLimiterHint : 0
; COMPUTE_PGM_RSRC2:SCRATCH_EN: 0
; COMPUTE_PGM_RSRC2:USER_SGPR: 14
; COMPUTE_PGM_RSRC2:TRAP_HANDLER: 0
; COMPUTE_PGM_RSRC2:TGID_X_EN: 1
; COMPUTE_PGM_RSRC2:TGID_Y_EN: 0
; COMPUTE_PGM_RSRC2:TGID_Z_EN: 1
; COMPUTE_PGM_RSRC2:TIDIG_COMP_CNT: 0
	.section	.text._ZL30rocblas_reduction_kernel_part2ILi512ELi2E25rocblas_finalize_identity19rocblas_complex_numIfES2_EviPT2_PT3_,"axG",@progbits,_ZL30rocblas_reduction_kernel_part2ILi512ELi2E25rocblas_finalize_identity19rocblas_complex_numIfES2_EviPT2_PT3_,comdat
	.globl	_ZL30rocblas_reduction_kernel_part2ILi512ELi2E25rocblas_finalize_identity19rocblas_complex_numIfES2_EviPT2_PT3_ ; -- Begin function _ZL30rocblas_reduction_kernel_part2ILi512ELi2E25rocblas_finalize_identity19rocblas_complex_numIfES2_EviPT2_PT3_
	.p2align	8
	.type	_ZL30rocblas_reduction_kernel_part2ILi512ELi2E25rocblas_finalize_identity19rocblas_complex_numIfES2_EviPT2_PT3_,@function
_ZL30rocblas_reduction_kernel_part2ILi512ELi2E25rocblas_finalize_identity19rocblas_complex_numIfES2_EviPT2_PT3_: ; @_ZL30rocblas_reduction_kernel_part2ILi512ELi2E25rocblas_finalize_identity19rocblas_complex_numIfES2_EviPT2_PT3_
; %bb.0:
	s_clause 0x1
	s_load_b32 s10, s[0:1], 0x0
	s_load_b128 s[4:7], s[0:1], 0x8
	v_dual_mov_b32 v3, 0 :: v_dual_mov_b32 v4, 0
	v_lshlrev_b32_e32 v5, 1, v0
	s_mov_b32 s2, s15
	s_mov_b32 s11, exec_lo
	s_waitcnt lgkmcnt(0)
	s_lshr_b32 s0, s10, 31
	s_ashr_i32 s3, s10, 31
	s_add_i32 s0, s10, s0
	s_mul_hi_u32 s8, s10, s15
	s_and_b32 s1, s0, -2
	s_mul_i32 s0, s3, s15
	s_mov_b32 s3, 0
	s_add_i32 s9, s8, s0
	s_mul_i32 s8, s10, s15
	v_cmpx_gt_i32_e64 s1, v5
	s_cbranch_execz .LBB84_4
; %bb.1:
	v_dual_mov_b32 v4, 0 :: v_dual_lshlrev_b32 v1, 4, v0
	s_lshl_b64 s[12:13], s[8:9], 3
	v_mov_b32_e32 v3, 0
	s_add_u32 s0, s4, s12
	s_addc_u32 s12, s5, s13
	v_add_co_u32 v1, s0, s0, v1
	s_delay_alu instid0(VALU_DEP_1) | instskip(SKIP_1) | instid1(VALU_DEP_2)
	v_add_co_ci_u32_e64 v2, null, s12, 0, s0
	s_mov_b32 s12, s3
	v_add_co_u32 v1, vcc_lo, v1, 8
	s_delay_alu instid0(VALU_DEP_2)
	v_add_co_ci_u32_e32 v2, vcc_lo, 0, v2, vcc_lo
	.p2align	6
.LBB84_2:                               ; =>This Inner Loop Header: Depth=1
	global_load_b128 v[6:9], v[1:2], off offset:-8
	v_add_nc_u32_e32 v5, 0x400, v5
	v_add_co_u32 v1, vcc_lo, 0x2000, v1
	v_add_co_ci_u32_e32 v2, vcc_lo, 0, v2, vcc_lo
	s_waitcnt vmcnt(0)
	v_dual_add_f32 v4, v4, v6 :: v_dual_add_f32 v3, v3, v7
	v_cmp_le_i32_e64 s0, s1, v5
	s_delay_alu instid0(VALU_DEP_2) | instskip(NEXT) | instid1(VALU_DEP_2)
	v_dual_add_f32 v4, v4, v8 :: v_dual_add_f32 v3, v3, v9
	s_or_b32 s12, s0, s12
	s_delay_alu instid0(SALU_CYCLE_1)
	s_and_not1_b32 exec_lo, exec_lo, s12
	s_cbranch_execnz .LBB84_2
; %bb.3:
	s_or_b32 exec_lo, exec_lo, s12
.LBB84_4:
	s_delay_alu instid0(SALU_CYCLE_1) | instskip(SKIP_1) | instid1(SALU_CYCLE_1)
	s_or_b32 exec_lo, exec_lo, s11
	s_sub_i32 s0, s10, s1
	v_cmp_gt_u32_e32 vcc_lo, s0, v0
	s_and_saveexec_b32 s0, vcc_lo
	s_cbranch_execz .LBB84_6
; %bb.5:
	v_xad_u32 v1, v0, -1, s10
	v_mov_b32_e32 v2, 0
	s_lshl_b64 s[8:9], s[8:9], 3
	s_delay_alu instid0(SALU_CYCLE_1) | instskip(SKIP_1) | instid1(VALU_DEP_1)
	s_add_u32 s1, s4, s8
	s_addc_u32 s4, s5, s9
	v_lshlrev_b64 v[1:2], 3, v[1:2]
	s_delay_alu instid0(VALU_DEP_1) | instskip(NEXT) | instid1(VALU_DEP_2)
	v_add_co_u32 v1, vcc_lo, s1, v1
	v_add_co_ci_u32_e32 v2, vcc_lo, s4, v2, vcc_lo
	global_load_b64 v[1:2], v[1:2], off
	s_waitcnt vmcnt(0)
	v_dual_add_f32 v4, v4, v1 :: v_dual_add_f32 v3, v3, v2
.LBB84_6:
	s_or_b32 exec_lo, exec_lo, s0
	v_and_b32_e32 v1, 31, v0
	v_cmp_gt_u32_e32 vcc_lo, 32, v0
	s_delay_alu instid0(VALU_DEP_2)
	v_lshlrev_b32_e32 v5, 3, v1
	s_and_saveexec_b32 s0, vcc_lo
	s_cbranch_execz .LBB84_8
; %bb.7:
	v_mov_b32_e32 v6, 0
	s_delay_alu instid0(VALU_DEP_1)
	v_mov_b32_e32 v7, v6
	ds_store_b64 v5, v[6:7]
.LBB84_8:
	s_or_b32 exec_lo, exec_lo, s0
	v_mbcnt_lo_u32_b32 v2, -1, 0
	s_mov_b32 s1, exec_lo
	s_waitcnt lgkmcnt(0)
	s_barrier
	buffer_gl0_inv
	v_cmp_gt_u32_e64 s0, 16, v2
	s_delay_alu instid0(VALU_DEP_1) | instskip(SKIP_1) | instid1(VALU_DEP_2)
	v_cndmask_b32_e64 v6, 0, 1, s0
	v_cmp_gt_u32_e64 s0, 24, v2
	v_lshlrev_b32_e32 v6, 4, v6
	s_delay_alu instid0(VALU_DEP_1)
	v_add_lshl_u32 v6, v6, v2, 2
	ds_bpermute_b32 v7, v6, v4
	ds_bpermute_b32 v8, v6, v3
	v_cndmask_b32_e64 v6, 0, 1, s0
	v_cmp_gt_u32_e64 s0, 28, v2
	s_waitcnt lgkmcnt(0)
	v_dual_add_f32 v4, v4, v7 :: v_dual_add_f32 v7, v3, v8
	s_delay_alu instid0(VALU_DEP_3) | instskip(NEXT) | instid1(VALU_DEP_3)
	v_lshlrev_b32_e32 v6, 3, v6
	v_cndmask_b32_e64 v3, 0, 1, s0
	v_cmp_gt_u32_e64 s0, 30, v2
	s_delay_alu instid0(VALU_DEP_3) | instskip(SKIP_4) | instid1(VALU_DEP_1)
	v_add_lshl_u32 v6, v6, v2, 2
	ds_bpermute_b32 v8, v6, v4
	ds_bpermute_b32 v9, v6, v7
	s_waitcnt lgkmcnt(1)
	v_dual_add_f32 v8, v4, v8 :: v_dual_lshlrev_b32 v3, 2, v3
	v_add_lshl_u32 v3, v3, v2, 2
	s_waitcnt lgkmcnt(0)
	v_add_f32_e32 v7, v7, v9
	v_cndmask_b32_e64 v4, 0, 1, s0
	v_cmp_ne_u32_e64 s0, 31, v2
	ds_bpermute_b32 v9, v3, v8
	ds_bpermute_b32 v10, v3, v7
	v_lshlrev_b32_e32 v4, 1, v4
	s_delay_alu instid0(VALU_DEP_1) | instskip(SKIP_3) | instid1(VALU_DEP_2)
	v_add_lshl_u32 v4, v4, v2, 2
	v_add_co_ci_u32_e64 v2, s0, 0, v2, s0
	s_waitcnt lgkmcnt(0)
	v_dual_add_f32 v8, v8, v9 :: v_dual_add_f32 v9, v7, v10
	v_lshlrev_b32_e32 v7, 2, v2
	ds_bpermute_b32 v10, v4, v8
	ds_bpermute_b32 v11, v4, v9
	s_waitcnt lgkmcnt(1)
	v_add_f32_e32 v2, v8, v10
	s_waitcnt lgkmcnt(0)
	v_add_f32_e32 v8, v9, v11
	ds_bpermute_b32 v9, v7, v2
	ds_bpermute_b32 v10, v7, v8
	v_cmpx_eq_u32_e32 0, v1
	s_cbranch_execz .LBB84_10
; %bb.9:
	v_lshrrev_b32_e32 v11, 2, v0
	s_waitcnt lgkmcnt(0)
	v_dual_add_f32 v1, v2, v9 :: v_dual_add_f32 v2, v8, v10
	s_delay_alu instid0(VALU_DEP_2)
	v_and_b32_e32 v8, 0x78, v11
	ds_store_b64 v8, v[1:2]
.LBB84_10:
	s_or_b32 exec_lo, exec_lo, s1
	v_dual_mov_b32 v2, 0 :: v_dual_mov_b32 v1, 0
	s_mov_b32 s1, exec_lo
	s_waitcnt lgkmcnt(0)
	s_barrier
	buffer_gl0_inv
	v_cmpx_gt_u32_e32 16, v0
	s_cbranch_execz .LBB84_12
; %bb.11:
	ds_load_b64 v[1:2], v5
.LBB84_12:
	s_or_b32 exec_lo, exec_lo, s1
	s_and_saveexec_b32 s0, vcc_lo
	s_cbranch_execz .LBB84_14
; %bb.13:
	s_waitcnt lgkmcnt(0)
	ds_bpermute_b32 v5, v6, v1
	ds_bpermute_b32 v6, v6, v2
	s_waitcnt lgkmcnt(0)
	v_dual_add_f32 v1, v1, v5 :: v_dual_add_f32 v2, v2, v6
	ds_bpermute_b32 v5, v3, v1
	ds_bpermute_b32 v3, v3, v2
	s_waitcnt lgkmcnt(0)
	v_dual_add_f32 v1, v1, v5 :: v_dual_add_f32 v2, v2, v3
	;; [unrolled: 4-line block ×4, first 2 shown]
.LBB84_14:
	s_or_b32 exec_lo, exec_lo, s0
	s_delay_alu instid0(SALU_CYCLE_1)
	s_mov_b32 s0, exec_lo
	v_cmpx_eq_u32_e32 0, v0
	s_cbranch_execz .LBB84_16
; %bb.15:
	s_lshl_b64 s[0:1], s[2:3], 3
	v_mov_b32_e32 v0, 0
	s_add_u32 s0, s6, s0
	s_addc_u32 s1, s7, s1
	s_waitcnt lgkmcnt(0)
	global_store_b64 v0, v[1:2], s[0:1]
.LBB84_16:
	s_nop 0
	s_sendmsg sendmsg(MSG_DEALLOC_VGPRS)
	s_endpgm
	.section	.rodata,"a",@progbits
	.p2align	6, 0x0
	.amdhsa_kernel _ZL30rocblas_reduction_kernel_part2ILi512ELi2E25rocblas_finalize_identity19rocblas_complex_numIfES2_EviPT2_PT3_
		.amdhsa_group_segment_fixed_size 256
		.amdhsa_private_segment_fixed_size 0
		.amdhsa_kernarg_size 24
		.amdhsa_user_sgpr_count 15
		.amdhsa_user_sgpr_dispatch_ptr 0
		.amdhsa_user_sgpr_queue_ptr 0
		.amdhsa_user_sgpr_kernarg_segment_ptr 1
		.amdhsa_user_sgpr_dispatch_id 0
		.amdhsa_user_sgpr_private_segment_size 0
		.amdhsa_wavefront_size32 1
		.amdhsa_uses_dynamic_stack 0
		.amdhsa_enable_private_segment 0
		.amdhsa_system_sgpr_workgroup_id_x 1
		.amdhsa_system_sgpr_workgroup_id_y 0
		.amdhsa_system_sgpr_workgroup_id_z 0
		.amdhsa_system_sgpr_workgroup_info 0
		.amdhsa_system_vgpr_workitem_id 0
		.amdhsa_next_free_vgpr 12
		.amdhsa_next_free_sgpr 16
		.amdhsa_reserve_vcc 1
		.amdhsa_float_round_mode_32 0
		.amdhsa_float_round_mode_16_64 0
		.amdhsa_float_denorm_mode_32 3
		.amdhsa_float_denorm_mode_16_64 3
		.amdhsa_dx10_clamp 1
		.amdhsa_ieee_mode 1
		.amdhsa_fp16_overflow 0
		.amdhsa_workgroup_processor_mode 1
		.amdhsa_memory_ordered 1
		.amdhsa_forward_progress 0
		.amdhsa_shared_vgpr_count 0
		.amdhsa_exception_fp_ieee_invalid_op 0
		.amdhsa_exception_fp_denorm_src 0
		.amdhsa_exception_fp_ieee_div_zero 0
		.amdhsa_exception_fp_ieee_overflow 0
		.amdhsa_exception_fp_ieee_underflow 0
		.amdhsa_exception_fp_ieee_inexact 0
		.amdhsa_exception_int_div_zero 0
	.end_amdhsa_kernel
	.section	.text._ZL30rocblas_reduction_kernel_part2ILi512ELi2E25rocblas_finalize_identity19rocblas_complex_numIfES2_EviPT2_PT3_,"axG",@progbits,_ZL30rocblas_reduction_kernel_part2ILi512ELi2E25rocblas_finalize_identity19rocblas_complex_numIfES2_EviPT2_PT3_,comdat
.Lfunc_end84:
	.size	_ZL30rocblas_reduction_kernel_part2ILi512ELi2E25rocblas_finalize_identity19rocblas_complex_numIfES2_EviPT2_PT3_, .Lfunc_end84-_ZL30rocblas_reduction_kernel_part2ILi512ELi2E25rocblas_finalize_identity19rocblas_complex_numIfES2_EviPT2_PT3_
                                        ; -- End function
	.section	.AMDGPU.csdata,"",@progbits
; Kernel info:
; codeLenInByte = 984
; NumSgprs: 18
; NumVgprs: 12
; ScratchSize: 0
; MemoryBound: 0
; FloatMode: 240
; IeeeMode: 1
; LDSByteSize: 256 bytes/workgroup (compile time only)
; SGPRBlocks: 2
; VGPRBlocks: 1
; NumSGPRsForWavesPerEU: 18
; NumVGPRsForWavesPerEU: 12
; Occupancy: 16
; WaveLimiterHint : 0
; COMPUTE_PGM_RSRC2:SCRATCH_EN: 0
; COMPUTE_PGM_RSRC2:USER_SGPR: 15
; COMPUTE_PGM_RSRC2:TRAP_HANDLER: 0
; COMPUTE_PGM_RSRC2:TGID_X_EN: 1
; COMPUTE_PGM_RSRC2:TGID_Y_EN: 0
; COMPUTE_PGM_RSRC2:TGID_Z_EN: 0
; COMPUTE_PGM_RSRC2:TIDIG_COMP_CNT: 0
	.section	.text._ZL28rocblas_dot_batched_4_kernelIlLi32ELi4ELb0E19rocblas_complex_numIfES1_PKS1_EviT5_lT_lS4_lS5_liPT4_,"axG",@progbits,_ZL28rocblas_dot_batched_4_kernelIlLi32ELi4ELb0E19rocblas_complex_numIfES1_PKS1_EviT5_lT_lS4_lS5_liPT4_,comdat
	.globl	_ZL28rocblas_dot_batched_4_kernelIlLi32ELi4ELb0E19rocblas_complex_numIfES1_PKS1_EviT5_lT_lS4_lS5_liPT4_ ; -- Begin function _ZL28rocblas_dot_batched_4_kernelIlLi32ELi4ELb0E19rocblas_complex_numIfES1_PKS1_EviT5_lT_lS4_lS5_liPT4_
	.p2align	8
	.type	_ZL28rocblas_dot_batched_4_kernelIlLi32ELi4ELb0E19rocblas_complex_numIfES1_PKS1_EviT5_lT_lS4_lS5_liPT4_,@function
_ZL28rocblas_dot_batched_4_kernelIlLi32ELi4ELb0E19rocblas_complex_numIfES1_PKS1_EviT5_lT_lS4_lS5_liPT4_: ; @_ZL28rocblas_dot_batched_4_kernelIlLi32ELi4ELb0E19rocblas_complex_numIfES1_PKS1_EviT5_lT_lS4_lS5_liPT4_
; %bb.0:
	s_load_b32 s2, s[0:1], 0x48
	v_bfe_u32 v1, v0, 10, 10
	s_delay_alu instid0(VALU_DEP_1) | instskip(SKIP_1) | instid1(VALU_DEP_1)
	v_lshl_add_u32 v1, s15, 2, v1
	s_waitcnt lgkmcnt(0)
	v_cmp_gt_u32_e32 vcc_lo, s2, v1
	s_and_saveexec_b32 s2, vcc_lo
	s_cbranch_execz .LBB85_7
; %bb.1:
	s_clause 0x1
	s_load_b32 s16, s[0:1], 0x0
	s_load_b64 s[2:3], s[0:1], 0x50
	v_mov_b32_e32 v2, 0
	v_and_b32_e32 v0, 0x3ff, v0
	s_mov_b32 s17, exec_lo
	s_delay_alu instid0(VALU_DEP_2)
	v_mov_b32_e32 v7, v2
	v_mov_b32_e32 v8, v2
	s_waitcnt lgkmcnt(0)
	v_cmpx_gt_i32_e64 s16, v0
	s_cbranch_execz .LBB85_5
; %bb.2:
	s_clause 0x3
	s_load_b256 s[4:11], s[0:1], 0x20
	s_load_b64 s[18:19], s[0:1], 0x40
	s_load_b128 s[12:15], s[0:1], 0x10
	s_load_b64 s[0:1], s[0:1], 0x8
	s_waitcnt lgkmcnt(0)
	v_mad_u64_u32 v[3:4], null, s10, v0, 0
	v_mad_u64_u32 v[5:6], null, s18, v1, 0
	;; [unrolled: 1-line block ×4, first 2 shown]
	s_lshl_b64 s[8:9], s[8:9], 3
	s_delay_alu instid0(VALU_DEP_3) | instskip(NEXT) | instid1(VALU_DEP_3)
	v_mad_u64_u32 v[11:12], null, s11, v0, v[4:5]
	v_mad_u64_u32 v[12:13], null, s19, v1, v[6:7]
	s_delay_alu instid0(VALU_DEP_3) | instskip(SKIP_2) | instid1(VALU_DEP_3)
	v_mad_u64_u32 v[13:14], null, s15, v0, v[8:9]
	s_add_u32 s8, s6, s8
	s_addc_u32 s9, s7, s9
	v_mad_u64_u32 v[14:15], null, s5, v1, v[10:11]
	v_mov_b32_e32 v4, v11
	s_delay_alu instid0(VALU_DEP_4) | instskip(NEXT) | instid1(VALU_DEP_4)
	v_mov_b32_e32 v6, v12
	v_mov_b32_e32 v8, v13
	s_lshl_b64 s[6:7], s[12:13], 3
	s_lshl_b64 s[4:5], s[10:11], 8
	v_lshlrev_b64 v[3:4], 3, v[3:4]
	v_mov_b32_e32 v10, v14
	v_lshlrev_b64 v[5:6], 3, v[5:6]
	v_lshlrev_b64 v[7:8], 3, v[7:8]
	s_add_u32 s0, s0, s6
	s_addc_u32 s1, s1, s7
	v_lshlrev_b64 v[9:10], 3, v[9:10]
	s_lshl_b64 s[6:7], s[14:15], 8
	v_add_co_u32 v3, vcc_lo, v3, v5
	v_add_co_ci_u32_e32 v4, vcc_lo, v4, v6, vcc_lo
	s_delay_alu instid0(VALU_DEP_3)
	v_add_co_u32 v5, vcc_lo, v7, v9
	v_mov_b32_e32 v9, v0
	v_add_co_ci_u32_e32 v6, vcc_lo, v8, v10, vcc_lo
	v_add_co_u32 v3, vcc_lo, s8, v3
	v_add_co_ci_u32_e32 v4, vcc_lo, s9, v4, vcc_lo
	v_add_co_u32 v5, vcc_lo, s0, v5
	s_delay_alu instid0(VALU_DEP_4) | instskip(NEXT) | instid1(VALU_DEP_4)
	v_add_co_ci_u32_e32 v6, vcc_lo, s1, v6, vcc_lo
	v_add_co_u32 v3, vcc_lo, v3, 4
	s_delay_alu instid0(VALU_DEP_4) | instskip(NEXT) | instid1(VALU_DEP_4)
	v_add_co_ci_u32_e32 v4, vcc_lo, 0, v4, vcc_lo
	v_add_co_u32 v5, vcc_lo, v5, 4
	s_delay_alu instid0(VALU_DEP_4)
	v_add_co_ci_u32_e32 v6, vcc_lo, 0, v6, vcc_lo
	v_dual_mov_b32 v7, 0 :: v_dual_mov_b32 v8, 0
	s_mov_b32 s1, 0
	.p2align	6
.LBB85_3:                               ; =>This Inner Loop Header: Depth=1
	global_load_b64 v[10:11], v[5:6], off offset:-4
	global_load_b64 v[12:13], v[3:4], off offset:-4
	v_add_nc_u32_e32 v9, 32, v9
	v_add_co_u32 v3, vcc_lo, v3, s4
	v_add_co_ci_u32_e32 v4, vcc_lo, s5, v4, vcc_lo
	v_add_co_u32 v5, vcc_lo, v5, s6
	s_delay_alu instid0(VALU_DEP_4) | instskip(SKIP_1) | instid1(VALU_DEP_2)
	v_cmp_le_i32_e64 s0, s16, v9
	v_add_co_ci_u32_e32 v6, vcc_lo, s7, v6, vcc_lo
	s_or_b32 s1, s0, s1
	s_waitcnt vmcnt(0)
	v_mul_f32_e32 v14, v11, v13
	v_mul_f32_e32 v13, v10, v13
	s_delay_alu instid0(VALU_DEP_2) | instskip(NEXT) | instid1(VALU_DEP_2)
	v_fma_f32 v10, v10, v12, -v14
	v_fmac_f32_e32 v13, v11, v12
	s_delay_alu instid0(VALU_DEP_1)
	v_dual_add_f32 v7, v7, v10 :: v_dual_add_f32 v8, v8, v13
	s_and_not1_b32 exec_lo, exec_lo, s1
	s_cbranch_execnz .LBB85_3
; %bb.4:
	s_or_b32 exec_lo, exec_lo, s1
.LBB85_5:
	s_delay_alu instid0(SALU_CYCLE_1)
	s_or_b32 exec_lo, exec_lo, s17
	v_mbcnt_lo_u32_b32 v3, -1, 0
	s_barrier
	buffer_gl0_inv
	v_cmp_gt_u32_e32 vcc_lo, 16, v3
	v_cndmask_b32_e64 v4, 0, 1, vcc_lo
	v_cmp_gt_u32_e32 vcc_lo, 24, v3
	s_delay_alu instid0(VALU_DEP_2) | instskip(SKIP_2) | instid1(VALU_DEP_3)
	v_lshlrev_b32_e32 v4, 4, v4
	v_cndmask_b32_e64 v6, 0, 1, vcc_lo
	v_cmp_gt_u32_e32 vcc_lo, 28, v3
	v_add_lshl_u32 v4, v4, v3, 2
	ds_bpermute_b32 v5, v4, v7
	ds_bpermute_b32 v4, v4, v8
	s_waitcnt lgkmcnt(1)
	v_dual_add_f32 v5, v7, v5 :: v_dual_lshlrev_b32 v6, 3, v6
	s_delay_alu instid0(VALU_DEP_1)
	v_add_lshl_u32 v6, v6, v3, 2
	ds_bpermute_b32 v7, v6, v5
	s_waitcnt lgkmcnt(0)
	v_dual_add_f32 v5, v5, v7 :: v_dual_add_f32 v4, v8, v4
	v_cndmask_b32_e64 v8, 0, 1, vcc_lo
	v_cmp_gt_u32_e32 vcc_lo, 30, v3
	ds_bpermute_b32 v6, v6, v4
	v_lshlrev_b32_e32 v8, 2, v8
	s_delay_alu instid0(VALU_DEP_1)
	v_add_lshl_u32 v8, v8, v3, 2
	s_waitcnt lgkmcnt(0)
	v_add_f32_e32 v4, v4, v6
	ds_bpermute_b32 v6, v8, v5
	ds_bpermute_b32 v7, v8, v4
	v_cndmask_b32_e64 v8, 0, 1, vcc_lo
	v_cmp_ne_u32_e32 vcc_lo, 31, v3
	s_waitcnt lgkmcnt(0)
	v_dual_add_f32 v5, v5, v6 :: v_dual_add_f32 v4, v4, v7
	s_delay_alu instid0(VALU_DEP_3) | instskip(NEXT) | instid1(VALU_DEP_1)
	v_lshlrev_b32_e32 v8, 1, v8
	v_add_lshl_u32 v8, v8, v3, 2
	v_add_co_ci_u32_e32 v3, vcc_lo, 0, v3, vcc_lo
	v_cmp_eq_u32_e32 vcc_lo, 0, v0
	ds_bpermute_b32 v6, v8, v5
	ds_bpermute_b32 v7, v8, v4
	s_waitcnt lgkmcnt(1)
	v_dual_add_f32 v3, v5, v6 :: v_dual_lshlrev_b32 v8, 2, v3
	s_waitcnt lgkmcnt(0)
	v_add_f32_e32 v5, v4, v7
	ds_bpermute_b32 v4, v8, v3
	ds_bpermute_b32 v6, v8, v5
	s_and_b32 exec_lo, exec_lo, vcc_lo
	s_cbranch_execz .LBB85_7
; %bb.6:
	v_lshlrev_b64 v[0:1], 3, v[1:2]
	s_waitcnt lgkmcnt(0)
	v_add_f32_e32 v2, v5, v6
	s_delay_alu instid0(VALU_DEP_2) | instskip(NEXT) | instid1(VALU_DEP_3)
	v_add_co_u32 v5, vcc_lo, s2, v0
	v_add_co_ci_u32_e32 v6, vcc_lo, s3, v1, vcc_lo
	v_add_f32_e32 v1, v3, v4
	global_store_b64 v[5:6], v[1:2], off
.LBB85_7:
	s_nop 0
	s_sendmsg sendmsg(MSG_DEALLOC_VGPRS)
	s_endpgm
	.section	.rodata,"a",@progbits
	.p2align	6, 0x0
	.amdhsa_kernel _ZL28rocblas_dot_batched_4_kernelIlLi32ELi4ELb0E19rocblas_complex_numIfES1_PKS1_EviT5_lT_lS4_lS5_liPT4_
		.amdhsa_group_segment_fixed_size 0
		.amdhsa_private_segment_fixed_size 0
		.amdhsa_kernarg_size 88
		.amdhsa_user_sgpr_count 15
		.amdhsa_user_sgpr_dispatch_ptr 0
		.amdhsa_user_sgpr_queue_ptr 0
		.amdhsa_user_sgpr_kernarg_segment_ptr 1
		.amdhsa_user_sgpr_dispatch_id 0
		.amdhsa_user_sgpr_private_segment_size 0
		.amdhsa_wavefront_size32 1
		.amdhsa_uses_dynamic_stack 0
		.amdhsa_enable_private_segment 0
		.amdhsa_system_sgpr_workgroup_id_x 1
		.amdhsa_system_sgpr_workgroup_id_y 0
		.amdhsa_system_sgpr_workgroup_id_z 0
		.amdhsa_system_sgpr_workgroup_info 0
		.amdhsa_system_vgpr_workitem_id 1
		.amdhsa_next_free_vgpr 16
		.amdhsa_next_free_sgpr 20
		.amdhsa_reserve_vcc 1
		.amdhsa_float_round_mode_32 0
		.amdhsa_float_round_mode_16_64 0
		.amdhsa_float_denorm_mode_32 3
		.amdhsa_float_denorm_mode_16_64 3
		.amdhsa_dx10_clamp 1
		.amdhsa_ieee_mode 1
		.amdhsa_fp16_overflow 0
		.amdhsa_workgroup_processor_mode 1
		.amdhsa_memory_ordered 1
		.amdhsa_forward_progress 0
		.amdhsa_shared_vgpr_count 0
		.amdhsa_exception_fp_ieee_invalid_op 0
		.amdhsa_exception_fp_denorm_src 0
		.amdhsa_exception_fp_ieee_div_zero 0
		.amdhsa_exception_fp_ieee_overflow 0
		.amdhsa_exception_fp_ieee_underflow 0
		.amdhsa_exception_fp_ieee_inexact 0
		.amdhsa_exception_int_div_zero 0
	.end_amdhsa_kernel
	.section	.text._ZL28rocblas_dot_batched_4_kernelIlLi32ELi4ELb0E19rocblas_complex_numIfES1_PKS1_EviT5_lT_lS4_lS5_liPT4_,"axG",@progbits,_ZL28rocblas_dot_batched_4_kernelIlLi32ELi4ELb0E19rocblas_complex_numIfES1_PKS1_EviT5_lT_lS4_lS5_liPT4_,comdat
.Lfunc_end85:
	.size	_ZL28rocblas_dot_batched_4_kernelIlLi32ELi4ELb0E19rocblas_complex_numIfES1_PKS1_EviT5_lT_lS4_lS5_liPT4_, .Lfunc_end85-_ZL28rocblas_dot_batched_4_kernelIlLi32ELi4ELb0E19rocblas_complex_numIfES1_PKS1_EviT5_lT_lS4_lS5_liPT4_
                                        ; -- End function
	.section	.AMDGPU.csdata,"",@progbits
; Kernel info:
; codeLenInByte = 876
; NumSgprs: 22
; NumVgprs: 16
; ScratchSize: 0
; MemoryBound: 0
; FloatMode: 240
; IeeeMode: 1
; LDSByteSize: 0 bytes/workgroup (compile time only)
; SGPRBlocks: 2
; VGPRBlocks: 1
; NumSGPRsForWavesPerEU: 22
; NumVGPRsForWavesPerEU: 16
; Occupancy: 16
; WaveLimiterHint : 0
; COMPUTE_PGM_RSRC2:SCRATCH_EN: 0
; COMPUTE_PGM_RSRC2:USER_SGPR: 15
; COMPUTE_PGM_RSRC2:TRAP_HANDLER: 0
; COMPUTE_PGM_RSRC2:TGID_X_EN: 1
; COMPUTE_PGM_RSRC2:TGID_Y_EN: 0
; COMPUTE_PGM_RSRC2:TGID_Z_EN: 0
; COMPUTE_PGM_RSRC2:TIDIG_COMP_CNT: 1
	.section	.text._ZL28rocblas_dot_batched_4_kernelIlLi64ELi4ELb0E19rocblas_complex_numIfES1_PKS1_EviT5_lT_lS4_lS5_liPT4_,"axG",@progbits,_ZL28rocblas_dot_batched_4_kernelIlLi64ELi4ELb0E19rocblas_complex_numIfES1_PKS1_EviT5_lT_lS4_lS5_liPT4_,comdat
	.globl	_ZL28rocblas_dot_batched_4_kernelIlLi64ELi4ELb0E19rocblas_complex_numIfES1_PKS1_EviT5_lT_lS4_lS5_liPT4_ ; -- Begin function _ZL28rocblas_dot_batched_4_kernelIlLi64ELi4ELb0E19rocblas_complex_numIfES1_PKS1_EviT5_lT_lS4_lS5_liPT4_
	.p2align	8
	.type	_ZL28rocblas_dot_batched_4_kernelIlLi64ELi4ELb0E19rocblas_complex_numIfES1_PKS1_EviT5_lT_lS4_lS5_liPT4_,@function
_ZL28rocblas_dot_batched_4_kernelIlLi64ELi4ELb0E19rocblas_complex_numIfES1_PKS1_EviT5_lT_lS4_lS5_liPT4_: ; @_ZL28rocblas_dot_batched_4_kernelIlLi64ELi4ELb0E19rocblas_complex_numIfES1_PKS1_EviT5_lT_lS4_lS5_liPT4_
; %bb.0:
	s_load_b32 s2, s[0:1], 0x48
	v_bfe_u32 v1, v0, 10, 10
	s_delay_alu instid0(VALU_DEP_1) | instskip(SKIP_1) | instid1(VALU_DEP_1)
	v_lshl_add_u32 v1, s15, 2, v1
	s_waitcnt lgkmcnt(0)
	v_cmp_gt_u32_e32 vcc_lo, s2, v1
	s_and_saveexec_b32 s2, vcc_lo
	s_cbranch_execz .LBB86_7
; %bb.1:
	s_clause 0x1
	s_load_b32 s16, s[0:1], 0x0
	s_load_b64 s[2:3], s[0:1], 0x50
	v_mov_b32_e32 v2, 0
	v_and_b32_e32 v0, 0x3ff, v0
	s_mov_b32 s17, exec_lo
	s_delay_alu instid0(VALU_DEP_2)
	v_mov_b32_e32 v7, v2
	v_mov_b32_e32 v8, v2
	s_waitcnt lgkmcnt(0)
	v_cmpx_gt_i32_e64 s16, v0
	s_cbranch_execz .LBB86_5
; %bb.2:
	s_clause 0x3
	s_load_b256 s[4:11], s[0:1], 0x20
	s_load_b64 s[18:19], s[0:1], 0x40
	s_load_b128 s[12:15], s[0:1], 0x10
	s_load_b64 s[0:1], s[0:1], 0x8
	s_waitcnt lgkmcnt(0)
	v_mad_u64_u32 v[3:4], null, s10, v0, 0
	v_mad_u64_u32 v[5:6], null, s18, v1, 0
	;; [unrolled: 1-line block ×4, first 2 shown]
	s_lshl_b64 s[8:9], s[8:9], 3
	s_delay_alu instid0(VALU_DEP_3) | instskip(NEXT) | instid1(VALU_DEP_3)
	v_mad_u64_u32 v[11:12], null, s11, v0, v[4:5]
	v_mad_u64_u32 v[12:13], null, s19, v1, v[6:7]
	s_delay_alu instid0(VALU_DEP_3) | instskip(SKIP_2) | instid1(VALU_DEP_3)
	v_mad_u64_u32 v[13:14], null, s15, v0, v[8:9]
	s_add_u32 s8, s6, s8
	s_addc_u32 s9, s7, s9
	v_mad_u64_u32 v[14:15], null, s5, v1, v[10:11]
	v_mov_b32_e32 v4, v11
	s_delay_alu instid0(VALU_DEP_4) | instskip(NEXT) | instid1(VALU_DEP_4)
	v_mov_b32_e32 v6, v12
	v_mov_b32_e32 v8, v13
	s_lshl_b64 s[6:7], s[12:13], 3
	s_lshl_b64 s[4:5], s[10:11], 9
	v_lshlrev_b64 v[3:4], 3, v[3:4]
	v_mov_b32_e32 v10, v14
	v_lshlrev_b64 v[5:6], 3, v[5:6]
	v_lshlrev_b64 v[7:8], 3, v[7:8]
	s_add_u32 s0, s0, s6
	s_addc_u32 s1, s1, s7
	v_lshlrev_b64 v[9:10], 3, v[9:10]
	s_lshl_b64 s[6:7], s[14:15], 9
	v_add_co_u32 v3, vcc_lo, v3, v5
	v_add_co_ci_u32_e32 v4, vcc_lo, v4, v6, vcc_lo
	s_delay_alu instid0(VALU_DEP_3)
	v_add_co_u32 v5, vcc_lo, v7, v9
	v_mov_b32_e32 v9, v0
	v_add_co_ci_u32_e32 v6, vcc_lo, v8, v10, vcc_lo
	v_add_co_u32 v3, vcc_lo, s8, v3
	v_add_co_ci_u32_e32 v4, vcc_lo, s9, v4, vcc_lo
	v_add_co_u32 v5, vcc_lo, s0, v5
	s_delay_alu instid0(VALU_DEP_4) | instskip(NEXT) | instid1(VALU_DEP_4)
	v_add_co_ci_u32_e32 v6, vcc_lo, s1, v6, vcc_lo
	v_add_co_u32 v3, vcc_lo, v3, 4
	s_delay_alu instid0(VALU_DEP_4) | instskip(NEXT) | instid1(VALU_DEP_4)
	v_add_co_ci_u32_e32 v4, vcc_lo, 0, v4, vcc_lo
	v_add_co_u32 v5, vcc_lo, v5, 4
	s_delay_alu instid0(VALU_DEP_4)
	v_add_co_ci_u32_e32 v6, vcc_lo, 0, v6, vcc_lo
	v_dual_mov_b32 v7, 0 :: v_dual_mov_b32 v8, 0
	s_mov_b32 s1, 0
	.p2align	6
.LBB86_3:                               ; =>This Inner Loop Header: Depth=1
	global_load_b64 v[10:11], v[5:6], off offset:-4
	global_load_b64 v[12:13], v[3:4], off offset:-4
	v_add_nc_u32_e32 v9, 64, v9
	v_add_co_u32 v3, vcc_lo, v3, s4
	v_add_co_ci_u32_e32 v4, vcc_lo, s5, v4, vcc_lo
	v_add_co_u32 v5, vcc_lo, v5, s6
	s_delay_alu instid0(VALU_DEP_4) | instskip(SKIP_1) | instid1(VALU_DEP_2)
	v_cmp_le_i32_e64 s0, s16, v9
	v_add_co_ci_u32_e32 v6, vcc_lo, s7, v6, vcc_lo
	s_or_b32 s1, s0, s1
	s_waitcnt vmcnt(0)
	v_mul_f32_e32 v14, v11, v13
	v_mul_f32_e32 v13, v10, v13
	s_delay_alu instid0(VALU_DEP_2) | instskip(NEXT) | instid1(VALU_DEP_2)
	v_fma_f32 v10, v10, v12, -v14
	v_fmac_f32_e32 v13, v11, v12
	s_delay_alu instid0(VALU_DEP_1)
	v_dual_add_f32 v7, v7, v10 :: v_dual_add_f32 v8, v8, v13
	s_and_not1_b32 exec_lo, exec_lo, s1
	s_cbranch_execnz .LBB86_3
; %bb.4:
	s_or_b32 exec_lo, exec_lo, s1
.LBB86_5:
	s_delay_alu instid0(SALU_CYCLE_1)
	s_or_b32 exec_lo, exec_lo, s17
	v_mbcnt_lo_u32_b32 v3, -1, 0
	s_barrier
	buffer_gl0_inv
	v_lshlrev_b32_e32 v4, 2, v3
	v_cmp_gt_u32_e32 vcc_lo, 16, v3
	ds_bpermute_b32 v5, v4, v7
	v_cndmask_b32_e64 v6, 0, 1, vcc_lo
	v_cmp_gt_u32_e32 vcc_lo, 24, v3
	s_waitcnt lgkmcnt(0)
	s_delay_alu instid0(VALU_DEP_2)
	v_dual_add_f32 v5, v7, v5 :: v_dual_lshlrev_b32 v6, 4, v6
	ds_bpermute_b32 v4, v4, v8
	v_add_lshl_u32 v6, v6, v3, 2
	ds_bpermute_b32 v7, v6, v5
	s_waitcnt lgkmcnt(0)
	v_dual_add_f32 v5, v5, v7 :: v_dual_add_f32 v4, v8, v4
	v_cndmask_b32_e64 v8, 0, 1, vcc_lo
	v_cmp_gt_u32_e32 vcc_lo, 28, v3
	ds_bpermute_b32 v6, v6, v4
	v_lshlrev_b32_e32 v8, 3, v8
	s_delay_alu instid0(VALU_DEP_1)
	v_add_lshl_u32 v8, v8, v3, 2
	s_waitcnt lgkmcnt(0)
	v_add_f32_e32 v4, v4, v6
	ds_bpermute_b32 v6, v8, v5
	ds_bpermute_b32 v7, v8, v4
	v_cndmask_b32_e64 v8, 0, 1, vcc_lo
	v_cmp_gt_u32_e32 vcc_lo, 30, v3
	s_delay_alu instid0(VALU_DEP_2) | instskip(NEXT) | instid1(VALU_DEP_1)
	v_lshlrev_b32_e32 v8, 2, v8
	v_add_lshl_u32 v8, v8, v3, 2
	s_waitcnt lgkmcnt(0)
	v_dual_add_f32 v5, v5, v6 :: v_dual_add_f32 v4, v4, v7
	ds_bpermute_b32 v6, v8, v5
	ds_bpermute_b32 v7, v8, v4
	v_cndmask_b32_e64 v8, 0, 1, vcc_lo
	v_cmp_ne_u32_e32 vcc_lo, 31, v3
	s_waitcnt lgkmcnt(0)
	v_dual_add_f32 v5, v5, v6 :: v_dual_add_f32 v4, v4, v7
	s_delay_alu instid0(VALU_DEP_3) | instskip(NEXT) | instid1(VALU_DEP_1)
	v_lshlrev_b32_e32 v8, 1, v8
	v_add_lshl_u32 v8, v8, v3, 2
	v_add_co_ci_u32_e32 v3, vcc_lo, 0, v3, vcc_lo
	v_cmp_eq_u32_e32 vcc_lo, 0, v0
	ds_bpermute_b32 v6, v8, v5
	ds_bpermute_b32 v7, v8, v4
	s_waitcnt lgkmcnt(1)
	v_dual_add_f32 v3, v5, v6 :: v_dual_lshlrev_b32 v8, 2, v3
	s_waitcnt lgkmcnt(0)
	v_add_f32_e32 v5, v4, v7
	ds_bpermute_b32 v4, v8, v3
	ds_bpermute_b32 v6, v8, v5
	s_and_b32 exec_lo, exec_lo, vcc_lo
	s_cbranch_execz .LBB86_7
; %bb.6:
	v_lshlrev_b64 v[0:1], 3, v[1:2]
	s_waitcnt lgkmcnt(0)
	v_add_f32_e32 v2, v5, v6
	s_delay_alu instid0(VALU_DEP_2) | instskip(NEXT) | instid1(VALU_DEP_3)
	v_add_co_u32 v5, vcc_lo, s2, v0
	v_add_co_ci_u32_e32 v6, vcc_lo, s3, v1, vcc_lo
	v_add_f32_e32 v1, v3, v4
	global_store_b64 v[5:6], v[1:2], off
.LBB86_7:
	s_nop 0
	s_sendmsg sendmsg(MSG_DEALLOC_VGPRS)
	s_endpgm
	.section	.rodata,"a",@progbits
	.p2align	6, 0x0
	.amdhsa_kernel _ZL28rocblas_dot_batched_4_kernelIlLi64ELi4ELb0E19rocblas_complex_numIfES1_PKS1_EviT5_lT_lS4_lS5_liPT4_
		.amdhsa_group_segment_fixed_size 0
		.amdhsa_private_segment_fixed_size 0
		.amdhsa_kernarg_size 88
		.amdhsa_user_sgpr_count 15
		.amdhsa_user_sgpr_dispatch_ptr 0
		.amdhsa_user_sgpr_queue_ptr 0
		.amdhsa_user_sgpr_kernarg_segment_ptr 1
		.amdhsa_user_sgpr_dispatch_id 0
		.amdhsa_user_sgpr_private_segment_size 0
		.amdhsa_wavefront_size32 1
		.amdhsa_uses_dynamic_stack 0
		.amdhsa_enable_private_segment 0
		.amdhsa_system_sgpr_workgroup_id_x 1
		.amdhsa_system_sgpr_workgroup_id_y 0
		.amdhsa_system_sgpr_workgroup_id_z 0
		.amdhsa_system_sgpr_workgroup_info 0
		.amdhsa_system_vgpr_workitem_id 1
		.amdhsa_next_free_vgpr 16
		.amdhsa_next_free_sgpr 20
		.amdhsa_reserve_vcc 1
		.amdhsa_float_round_mode_32 0
		.amdhsa_float_round_mode_16_64 0
		.amdhsa_float_denorm_mode_32 3
		.amdhsa_float_denorm_mode_16_64 3
		.amdhsa_dx10_clamp 1
		.amdhsa_ieee_mode 1
		.amdhsa_fp16_overflow 0
		.amdhsa_workgroup_processor_mode 1
		.amdhsa_memory_ordered 1
		.amdhsa_forward_progress 0
		.amdhsa_shared_vgpr_count 0
		.amdhsa_exception_fp_ieee_invalid_op 0
		.amdhsa_exception_fp_denorm_src 0
		.amdhsa_exception_fp_ieee_div_zero 0
		.amdhsa_exception_fp_ieee_overflow 0
		.amdhsa_exception_fp_ieee_underflow 0
		.amdhsa_exception_fp_ieee_inexact 0
		.amdhsa_exception_int_div_zero 0
	.end_amdhsa_kernel
	.section	.text._ZL28rocblas_dot_batched_4_kernelIlLi64ELi4ELb0E19rocblas_complex_numIfES1_PKS1_EviT5_lT_lS4_lS5_liPT4_,"axG",@progbits,_ZL28rocblas_dot_batched_4_kernelIlLi64ELi4ELb0E19rocblas_complex_numIfES1_PKS1_EviT5_lT_lS4_lS5_liPT4_,comdat
.Lfunc_end86:
	.size	_ZL28rocblas_dot_batched_4_kernelIlLi64ELi4ELb0E19rocblas_complex_numIfES1_PKS1_EviT5_lT_lS4_lS5_liPT4_, .Lfunc_end86-_ZL28rocblas_dot_batched_4_kernelIlLi64ELi4ELb0E19rocblas_complex_numIfES1_PKS1_EviT5_lT_lS4_lS5_liPT4_
                                        ; -- End function
	.section	.AMDGPU.csdata,"",@progbits
; Kernel info:
; codeLenInByte = 908
; NumSgprs: 22
; NumVgprs: 16
; ScratchSize: 0
; MemoryBound: 0
; FloatMode: 240
; IeeeMode: 1
; LDSByteSize: 0 bytes/workgroup (compile time only)
; SGPRBlocks: 2
; VGPRBlocks: 1
; NumSGPRsForWavesPerEU: 22
; NumVGPRsForWavesPerEU: 16
; Occupancy: 16
; WaveLimiterHint : 0
; COMPUTE_PGM_RSRC2:SCRATCH_EN: 0
; COMPUTE_PGM_RSRC2:USER_SGPR: 15
; COMPUTE_PGM_RSRC2:TRAP_HANDLER: 0
; COMPUTE_PGM_RSRC2:TGID_X_EN: 1
; COMPUTE_PGM_RSRC2:TGID_Y_EN: 0
; COMPUTE_PGM_RSRC2:TGID_Z_EN: 0
; COMPUTE_PGM_RSRC2:TIDIG_COMP_CNT: 1
	.section	.text._ZL18rocblas_dot_kernelIlLb1ELi1024ELi32ELb0E19rocblas_complex_numIfEPKS1_S1_EviT5_lT_lS4_lS5_liPT6_PT4_,"axG",@progbits,_ZL18rocblas_dot_kernelIlLb1ELi1024ELi32ELb0E19rocblas_complex_numIfEPKS1_S1_EviT5_lT_lS4_lS5_liPT6_PT4_,comdat
	.globl	_ZL18rocblas_dot_kernelIlLb1ELi1024ELi32ELb0E19rocblas_complex_numIfEPKS1_S1_EviT5_lT_lS4_lS5_liPT6_PT4_ ; -- Begin function _ZL18rocblas_dot_kernelIlLb1ELi1024ELi32ELb0E19rocblas_complex_numIfEPKS1_S1_EviT5_lT_lS4_lS5_liPT6_PT4_
	.p2align	8
	.type	_ZL18rocblas_dot_kernelIlLb1ELi1024ELi32ELb0E19rocblas_complex_numIfEPKS1_S1_EviT5_lT_lS4_lS5_liPT6_PT4_,@function
_ZL18rocblas_dot_kernelIlLb1ELi1024ELi32ELb0E19rocblas_complex_numIfEPKS1_S1_EviT5_lT_lS4_lS5_liPT6_PT4_: ; @_ZL18rocblas_dot_kernelIlLb1ELi1024ELi32ELb0E19rocblas_complex_numIfEPKS1_S1_EviT5_lT_lS4_lS5_liPT6_PT4_
; %bb.0:
	s_clause 0x1
	s_load_b32 s18, s[0:1], 0x0
	s_load_b64 s[2:3], s[0:1], 0x58
	v_dual_mov_b32 v6, 0 :: v_dual_mov_b32 v7, 0
	s_mov_b32 s16, s15
	s_mov_b32 s17, 0
	s_mov_b32 s19, exec_lo
	s_waitcnt lgkmcnt(0)
	v_cmpx_gt_i32_e64 s18, v0
	s_cbranch_execz .LBB87_4
; %bb.1:
	s_clause 0x4
	s_load_b32 s24, s[0:1], 0x60
	s_load_b256 s[4:11], s[0:1], 0x20
	s_load_b128 s[12:15], s[0:1], 0x10
	s_load_b64 s[20:21], s[0:1], 0x40
	s_load_b64 s[22:23], s[0:1], 0x8
	s_waitcnt lgkmcnt(0)
	s_lshl_b32 s1, s24, 10
	v_mad_u64_u32 v[3:4], null, s10, v0, 0
	v_mad_u64_u32 v[1:2], null, s14, v0, 0
	v_or_b32_e32 v5, s1, v0
	s_mul_i32 s0, s5, s16
	s_mul_hi_u32 s5, s4, s16
	s_mul_i32 s4, s4, s16
	s_add_i32 s5, s5, s0
	s_lshl_b64 s[12:13], s[12:13], 3
	s_delay_alu instid0(VALU_DEP_2)
	v_mad_u64_u32 v[6:7], null, s15, v0, v[2:3]
	s_lshl_b64 s[4:5], s[4:5], 3
	s_add_u32 s12, s22, s12
	s_addc_u32 s13, s23, s13
	s_add_u32 s22, s12, s4
	s_addc_u32 s23, s13, s5
	s_ashr_i32 s4, s1, 31
	s_delay_alu instid0(VALU_DEP_1) | instskip(SKIP_3) | instid1(VALU_DEP_3)
	v_mov_b32_e32 v2, v6
	v_mad_u64_u32 v[6:7], null, s11, v0, v[4:5]
	v_mov_b32_e32 v7, 0
	s_mul_hi_u32 s0, s14, s1
	v_lshlrev_b64 v[1:2], 3, v[1:2]
	s_mul_i32 s5, s14, s4
	s_mul_i32 s21, s21, s16
	s_mul_hi_u32 s25, s20, s16
	s_delay_alu instid0(VALU_DEP_3)
	v_mov_b32_e32 v4, v6
	s_mul_i32 s26, s15, s1
	s_add_i32 s0, s0, s5
	v_add_co_u32 v1, vcc_lo, s22, v1
	s_mul_i32 s20, s20, s16
	s_mul_i32 s24, s14, s1
	s_add_i32 s21, s25, s21
	s_add_i32 s25, s0, s26
	s_lshl_b64 s[8:9], s[8:9], 3
	v_add_co_ci_u32_e32 v2, vcc_lo, s23, v2, vcc_lo
	v_lshlrev_b64 v[3:4], 3, v[3:4]
	s_lshl_b64 s[12:13], s[20:21], 3
	s_mul_i32 s0, s10, s4
	s_lshl_b64 s[4:5], s[24:25], 3
	s_add_u32 s6, s6, s8
	s_addc_u32 s7, s7, s9
	v_add_co_u32 v1, vcc_lo, v1, 4
	s_add_u32 s6, s6, s12
	s_mul_hi_u32 s27, s10, s1
	v_add_co_ci_u32_e32 v2, vcc_lo, 0, v2, vcc_lo
	s_addc_u32 s7, s7, s13
	v_add_co_u32 v3, vcc_lo, s6, v3
	s_add_i32 s0, s27, s0
	s_mul_i32 s8, s11, s1
	v_add_co_ci_u32_e32 v4, vcc_lo, s7, v4, vcc_lo
	v_mov_b32_e32 v6, 0
	s_add_i32 s7, s0, s8
	s_mul_i32 s6, s10, s1
	s_mov_b32 s8, s17
	s_lshl_b64 s[6:7], s[6:7], 3
	s_mov_b32 s9, s17
	.p2align	6
.LBB87_2:                               ; =>This Inner Loop Header: Depth=1
	global_load_b64 v[8:9], v[3:4], off
	global_load_b64 v[10:11], v[1:2], off offset:-4
	v_add_co_u32 v1, s0, v1, s4
	s_delay_alu instid0(VALU_DEP_1)
	v_add_co_ci_u32_e64 v2, s0, s5, v2, s0
	s_add_i32 s10, s9, 1
	v_cmp_le_i32_e32 vcc_lo, s18, v5
	v_add_co_u32 v3, s0, v3, s6
	s_cmp_gt_u32 s9, 30
	v_add_co_ci_u32_e64 v4, s0, s7, v4, s0
	s_cselect_b32 s0, -1, 0
	v_add_nc_u32_e32 v5, s1, v5
	s_or_b32 s0, s0, vcc_lo
	s_mov_b32 s9, s10
	s_and_b32 s0, exec_lo, s0
	s_delay_alu instid0(SALU_CYCLE_1) | instskip(SKIP_3) | instid1(VALU_DEP_2)
	s_or_b32 s8, s0, s8
	s_waitcnt vmcnt(0)
	v_mul_f32_e32 v12, v11, v9
	v_mul_f32_e32 v9, v10, v9
	v_fma_f32 v10, v10, v8, -v12
	s_delay_alu instid0(VALU_DEP_2) | instskip(NEXT) | instid1(VALU_DEP_1)
	v_fmac_f32_e32 v9, v11, v8
	v_dual_add_f32 v7, v7, v10 :: v_dual_add_f32 v6, v6, v9
	s_and_not1_b32 exec_lo, exec_lo, s8
	s_cbranch_execnz .LBB87_2
; %bb.3:
	s_or_b32 exec_lo, exec_lo, s8
.LBB87_4:
	s_delay_alu instid0(SALU_CYCLE_1) | instskip(SKIP_2) | instid1(VALU_DEP_2)
	s_or_b32 exec_lo, exec_lo, s19
	v_and_b32_e32 v1, 31, v0
	v_cmp_gt_u32_e32 vcc_lo, 32, v0
	v_lshlrev_b32_e32 v3, 3, v1
	s_and_saveexec_b32 s0, vcc_lo
	s_cbranch_execz .LBB87_6
; %bb.5:
	v_mov_b32_e32 v4, 0
	s_delay_alu instid0(VALU_DEP_1)
	v_mov_b32_e32 v5, v4
	ds_store_b64 v3, v[4:5]
.LBB87_6:
	s_or_b32 exec_lo, exec_lo, s0
	v_mbcnt_lo_u32_b32 v2, -1, 0
	s_mov_b32 s1, exec_lo
	s_waitcnt lgkmcnt(0)
	s_barrier
	buffer_gl0_inv
	v_cmp_gt_u32_e64 s0, 16, v2
	s_delay_alu instid0(VALU_DEP_1) | instskip(SKIP_1) | instid1(VALU_DEP_2)
	v_cndmask_b32_e64 v4, 0, 1, s0
	v_cmp_gt_u32_e64 s0, 24, v2
	v_lshlrev_b32_e32 v4, 4, v4
	s_delay_alu instid0(VALU_DEP_2) | instskip(SKIP_1) | instid1(VALU_DEP_3)
	v_cndmask_b32_e64 v5, 0, 1, s0
	v_cmp_gt_u32_e64 s0, 28, v2
	v_add_lshl_u32 v4, v4, v2, 2
	ds_bpermute_b32 v8, v4, v7
	ds_bpermute_b32 v9, v4, v6
	s_waitcnt lgkmcnt(0)
	v_dual_add_f32 v7, v7, v8 :: v_dual_add_f32 v8, v6, v9
	v_lshlrev_b32_e32 v5, 3, v5
	v_cndmask_b32_e64 v6, 0, 1, s0
	v_cmp_gt_u32_e64 s0, 30, v2
	s_delay_alu instid0(VALU_DEP_3) | instskip(NEXT) | instid1(VALU_DEP_3)
	v_add_lshl_u32 v5, v5, v2, 2
	v_lshlrev_b32_e32 v6, 2, v6
	ds_bpermute_b32 v9, v5, v7
	ds_bpermute_b32 v10, v5, v8
	v_add_lshl_u32 v6, v6, v2, 2
	s_waitcnt lgkmcnt(0)
	v_dual_add_f32 v9, v7, v9 :: v_dual_add_f32 v8, v8, v10
	v_cndmask_b32_e64 v7, 0, 1, s0
	v_cmp_ne_u32_e64 s0, 31, v2
	ds_bpermute_b32 v10, v6, v9
	ds_bpermute_b32 v11, v6, v8
	v_lshlrev_b32_e32 v7, 1, v7
	s_delay_alu instid0(VALU_DEP_1) | instskip(SKIP_3) | instid1(VALU_DEP_2)
	v_add_lshl_u32 v7, v7, v2, 2
	v_add_co_ci_u32_e64 v2, s0, 0, v2, s0
	s_waitcnt lgkmcnt(0)
	v_dual_add_f32 v9, v9, v10 :: v_dual_add_f32 v10, v8, v11
	v_lshlrev_b32_e32 v8, 2, v2
	ds_bpermute_b32 v11, v7, v9
	ds_bpermute_b32 v12, v7, v10
	s_waitcnt lgkmcnt(0)
	v_dual_add_f32 v2, v9, v11 :: v_dual_add_f32 v9, v10, v12
	ds_bpermute_b32 v10, v8, v2
	ds_bpermute_b32 v11, v8, v9
	v_cmpx_eq_u32_e32 0, v1
	s_cbranch_execz .LBB87_8
; %bb.7:
	v_lshrrev_b32_e32 v12, 2, v0
	s_waitcnt lgkmcnt(0)
	v_dual_add_f32 v1, v2, v10 :: v_dual_add_f32 v2, v9, v11
	s_delay_alu instid0(VALU_DEP_2)
	v_and_b32_e32 v9, 0xf8, v12
	ds_store_b64 v9, v[1:2]
.LBB87_8:
	s_or_b32 exec_lo, exec_lo, s1
	v_dual_mov_b32 v2, 0 :: v_dual_mov_b32 v1, 0
	s_waitcnt lgkmcnt(0)
	s_barrier
	buffer_gl0_inv
	s_and_saveexec_b32 s0, vcc_lo
	s_cbranch_execz .LBB87_10
; %bb.9:
	ds_load_b64 v[1:2], v3
.LBB87_10:
	s_or_b32 exec_lo, exec_lo, s0
	s_and_saveexec_b32 s0, vcc_lo
	s_cbranch_execz .LBB87_12
; %bb.11:
	s_waitcnt lgkmcnt(0)
	ds_bpermute_b32 v3, v4, v1
	ds_bpermute_b32 v4, v4, v2
	s_waitcnt lgkmcnt(0)
	v_dual_add_f32 v1, v1, v3 :: v_dual_add_f32 v2, v2, v4
	ds_bpermute_b32 v3, v5, v1
	ds_bpermute_b32 v4, v5, v2
	s_waitcnt lgkmcnt(0)
	v_dual_add_f32 v1, v1, v3 :: v_dual_add_f32 v2, v2, v4
	;; [unrolled: 4-line block ×5, first 2 shown]
.LBB87_12:
	s_or_b32 exec_lo, exec_lo, s0
	s_delay_alu instid0(SALU_CYCLE_1)
	s_mov_b32 s0, exec_lo
	v_cmpx_eq_u32_e32 0, v0
	s_cbranch_execz .LBB87_14
; %bb.13:
	s_lshl_b64 s[0:1], s[16:17], 3
	v_mov_b32_e32 v0, 0
	s_add_u32 s0, s2, s0
	s_addc_u32 s1, s3, s1
	s_waitcnt lgkmcnt(0)
	global_store_b64 v0, v[1:2], s[0:1]
.LBB87_14:
	s_nop 0
	s_sendmsg sendmsg(MSG_DEALLOC_VGPRS)
	s_endpgm
	.section	.rodata,"a",@progbits
	.p2align	6, 0x0
	.amdhsa_kernel _ZL18rocblas_dot_kernelIlLb1ELi1024ELi32ELb0E19rocblas_complex_numIfEPKS1_S1_EviT5_lT_lS4_lS5_liPT6_PT4_
		.amdhsa_group_segment_fixed_size 256
		.amdhsa_private_segment_fixed_size 0
		.amdhsa_kernarg_size 352
		.amdhsa_user_sgpr_count 14
		.amdhsa_user_sgpr_dispatch_ptr 0
		.amdhsa_user_sgpr_queue_ptr 0
		.amdhsa_user_sgpr_kernarg_segment_ptr 1
		.amdhsa_user_sgpr_dispatch_id 0
		.amdhsa_user_sgpr_private_segment_size 0
		.amdhsa_wavefront_size32 1
		.amdhsa_uses_dynamic_stack 0
		.amdhsa_enable_private_segment 0
		.amdhsa_system_sgpr_workgroup_id_x 1
		.amdhsa_system_sgpr_workgroup_id_y 0
		.amdhsa_system_sgpr_workgroup_id_z 1
		.amdhsa_system_sgpr_workgroup_info 0
		.amdhsa_system_vgpr_workitem_id 0
		.amdhsa_next_free_vgpr 13
		.amdhsa_next_free_sgpr 28
		.amdhsa_reserve_vcc 1
		.amdhsa_float_round_mode_32 0
		.amdhsa_float_round_mode_16_64 0
		.amdhsa_float_denorm_mode_32 3
		.amdhsa_float_denorm_mode_16_64 3
		.amdhsa_dx10_clamp 1
		.amdhsa_ieee_mode 1
		.amdhsa_fp16_overflow 0
		.amdhsa_workgroup_processor_mode 1
		.amdhsa_memory_ordered 1
		.amdhsa_forward_progress 0
		.amdhsa_shared_vgpr_count 0
		.amdhsa_exception_fp_ieee_invalid_op 0
		.amdhsa_exception_fp_denorm_src 0
		.amdhsa_exception_fp_ieee_div_zero 0
		.amdhsa_exception_fp_ieee_overflow 0
		.amdhsa_exception_fp_ieee_underflow 0
		.amdhsa_exception_fp_ieee_inexact 0
		.amdhsa_exception_int_div_zero 0
	.end_amdhsa_kernel
	.section	.text._ZL18rocblas_dot_kernelIlLb1ELi1024ELi32ELb0E19rocblas_complex_numIfEPKS1_S1_EviT5_lT_lS4_lS5_liPT6_PT4_,"axG",@progbits,_ZL18rocblas_dot_kernelIlLb1ELi1024ELi32ELb0E19rocblas_complex_numIfEPKS1_S1_EviT5_lT_lS4_lS5_liPT6_PT4_,comdat
.Lfunc_end87:
	.size	_ZL18rocblas_dot_kernelIlLb1ELi1024ELi32ELb0E19rocblas_complex_numIfEPKS1_S1_EviT5_lT_lS4_lS5_liPT6_PT4_, .Lfunc_end87-_ZL18rocblas_dot_kernelIlLb1ELi1024ELi32ELb0E19rocblas_complex_numIfEPKS1_S1_EviT5_lT_lS4_lS5_liPT6_PT4_
                                        ; -- End function
	.section	.AMDGPU.csdata,"",@progbits
; Kernel info:
; codeLenInByte = 1172
; NumSgprs: 30
; NumVgprs: 13
; ScratchSize: 0
; MemoryBound: 0
; FloatMode: 240
; IeeeMode: 1
; LDSByteSize: 256 bytes/workgroup (compile time only)
; SGPRBlocks: 3
; VGPRBlocks: 1
; NumSGPRsForWavesPerEU: 30
; NumVGPRsForWavesPerEU: 13
; Occupancy: 16
; WaveLimiterHint : 0
; COMPUTE_PGM_RSRC2:SCRATCH_EN: 0
; COMPUTE_PGM_RSRC2:USER_SGPR: 14
; COMPUTE_PGM_RSRC2:TRAP_HANDLER: 0
; COMPUTE_PGM_RSRC2:TGID_X_EN: 1
; COMPUTE_PGM_RSRC2:TGID_Y_EN: 0
; COMPUTE_PGM_RSRC2:TGID_Z_EN: 1
; COMPUTE_PGM_RSRC2:TIDIG_COMP_CNT: 0
	.section	.text._ZL24rocblas_dot_kernel_magsqIlLb1ELi1024ELi32ELb0E19rocblas_complex_numIfEPKS1_S1_EviT5_lT_liPT6_PT4_,"axG",@progbits,_ZL24rocblas_dot_kernel_magsqIlLb1ELi1024ELi32ELb0E19rocblas_complex_numIfEPKS1_S1_EviT5_lT_liPT6_PT4_,comdat
	.globl	_ZL24rocblas_dot_kernel_magsqIlLb1ELi1024ELi32ELb0E19rocblas_complex_numIfEPKS1_S1_EviT5_lT_liPT6_PT4_ ; -- Begin function _ZL24rocblas_dot_kernel_magsqIlLb1ELi1024ELi32ELb0E19rocblas_complex_numIfEPKS1_S1_EviT5_lT_liPT6_PT4_
	.p2align	8
	.type	_ZL24rocblas_dot_kernel_magsqIlLb1ELi1024ELi32ELb0E19rocblas_complex_numIfEPKS1_S1_EviT5_lT_liPT6_PT4_,@function
_ZL24rocblas_dot_kernel_magsqIlLb1ELi1024ELi32ELb0E19rocblas_complex_numIfEPKS1_S1_EviT5_lT_liPT6_PT4_: ; @_ZL24rocblas_dot_kernel_magsqIlLb1ELi1024ELi32ELb0E19rocblas_complex_numIfEPKS1_S1_EviT5_lT_liPT6_PT4_
; %bb.0:
	s_clause 0x1
	s_load_b32 s10, s[0:1], 0x0
	s_load_b64 s[2:3], s[0:1], 0x38
	v_mov_b32_e32 v3, 0
	v_mov_b32_e32 v5, 0
	s_mov_b32 s8, s15
	s_mov_b32 s9, 0
	s_mov_b32 s11, exec_lo
	s_waitcnt lgkmcnt(0)
	v_cmpx_gt_i32_e64 s10, v0
	s_cbranch_execz .LBB88_4
; %bb.1:
	s_clause 0x3
	s_load_b128 s[4:7], s[0:1], 0x10
	s_load_b32 s16, s[0:1], 0x40
	s_load_b64 s[12:13], s[0:1], 0x20
	s_load_b64 s[14:15], s[0:1], 0x8
	v_mov_b32_e32 v3, 0
	s_waitcnt lgkmcnt(0)
	v_mad_u64_u32 v[1:2], null, s6, v0, 0
	s_mul_i32 s0, s13, s8
	s_mul_hi_u32 s13, s12, s8
	s_mul_i32 s12, s12, s8
	s_add_i32 s13, s13, s0
	s_lshl_b64 s[4:5], s[4:5], 3
	s_lshl_b32 s1, s16, 10
	s_delay_alu instid0(VALU_DEP_1)
	v_mad_u64_u32 v[5:6], null, s7, v0, v[2:3]
	s_lshl_b64 s[12:13], s[12:13], 3
	s_add_u32 s0, s14, s4
	s_addc_u32 s4, s15, s5
	s_add_u32 s0, s0, s12
	s_addc_u32 s12, s4, s13
	s_ashr_i32 s4, s1, 31
	s_delay_alu instid0(VALU_DEP_1)
	v_mov_b32_e32 v2, v5
	s_mul_hi_u32 s5, s6, s1
	s_mul_i32 s4, s6, s4
	s_mul_i32 s7, s7, s1
	s_add_i32 s5, s5, s4
	v_lshlrev_b64 v[1:2], 3, v[1:2]
	v_or_b32_e32 v4, s1, v0
	v_mov_b32_e32 v5, 0
	s_mul_i32 s4, s6, s1
	s_add_i32 s5, s5, s7
	s_mov_b32 s6, s9
	v_add_co_u32 v1, vcc_lo, s0, v1
	v_add_co_ci_u32_e32 v2, vcc_lo, s12, v2, vcc_lo
	s_lshl_b64 s[4:5], s[4:5], 3
	s_mov_b32 s7, s9
	.p2align	6
.LBB88_2:                               ; =>This Inner Loop Header: Depth=1
	global_load_b64 v[6:7], v[1:2], off
	s_add_i32 s12, s7, 1
	v_cmp_le_i32_e32 vcc_lo, s10, v4
	v_add_co_u32 v1, s0, v1, s4
	v_add_nc_u32_e32 v4, s1, v4
	s_cmp_gt_u32 s7, 30
	v_add_co_ci_u32_e64 v2, s0, s5, v2, s0
	s_cselect_b32 s0, -1, 0
	s_mov_b32 s7, s12
	s_or_b32 s0, s0, vcc_lo
	s_delay_alu instid0(SALU_CYCLE_1) | instskip(NEXT) | instid1(SALU_CYCLE_1)
	s_and_b32 s0, exec_lo, s0
	s_or_b32 s6, s0, s6
	s_waitcnt vmcnt(0)
	v_mul_f32_e32 v8, v7, v7
	v_mul_f32_e32 v7, v6, v7
	s_delay_alu instid0(VALU_DEP_2) | instskip(NEXT) | instid1(VALU_DEP_2)
	v_fma_f32 v6, v6, v6, -v8
	v_fmac_f32_e32 v3, 2.0, v7
	s_delay_alu instid0(VALU_DEP_2)
	v_add_f32_e32 v5, v5, v6
	s_and_not1_b32 exec_lo, exec_lo, s6
	s_cbranch_execnz .LBB88_2
; %bb.3:
	s_or_b32 exec_lo, exec_lo, s6
.LBB88_4:
	s_delay_alu instid0(SALU_CYCLE_1) | instskip(SKIP_2) | instid1(VALU_DEP_2)
	s_or_b32 exec_lo, exec_lo, s11
	v_and_b32_e32 v1, 31, v0
	v_cmp_gt_u32_e32 vcc_lo, 32, v0
	v_lshlrev_b32_e32 v4, 3, v1
	s_and_saveexec_b32 s0, vcc_lo
	s_cbranch_execz .LBB88_6
; %bb.5:
	v_mov_b32_e32 v6, 0
	s_delay_alu instid0(VALU_DEP_1)
	v_mov_b32_e32 v7, v6
	ds_store_b64 v4, v[6:7]
.LBB88_6:
	s_or_b32 exec_lo, exec_lo, s0
	v_mbcnt_lo_u32_b32 v2, -1, 0
	s_mov_b32 s1, exec_lo
	s_waitcnt lgkmcnt(0)
	s_barrier
	buffer_gl0_inv
	v_cmp_gt_u32_e64 s0, 16, v2
	s_delay_alu instid0(VALU_DEP_1) | instskip(SKIP_1) | instid1(VALU_DEP_2)
	v_cndmask_b32_e64 v6, 0, 1, s0
	v_cmp_gt_u32_e64 s0, 24, v2
	v_lshlrev_b32_e32 v6, 4, v6
	s_delay_alu instid0(VALU_DEP_2) | instskip(SKIP_1) | instid1(VALU_DEP_3)
	v_cndmask_b32_e64 v7, 0, 1, s0
	v_cmp_gt_u32_e64 s0, 28, v2
	v_add_lshl_u32 v6, v6, v2, 2
	ds_bpermute_b32 v8, v6, v5
	ds_bpermute_b32 v9, v6, v3
	v_lshlrev_b32_e32 v7, 3, v7
	s_waitcnt lgkmcnt(0)
	v_dual_add_f32 v5, v5, v8 :: v_dual_add_f32 v8, v3, v9
	s_delay_alu instid0(VALU_DEP_2)
	v_add_lshl_u32 v7, v7, v2, 2
	v_cndmask_b32_e64 v3, 0, 1, s0
	v_cmp_gt_u32_e64 s0, 30, v2
	ds_bpermute_b32 v10, v7, v8
	ds_bpermute_b32 v9, v7, v5
	s_waitcnt lgkmcnt(1)
	v_dual_add_f32 v8, v8, v10 :: v_dual_lshlrev_b32 v3, 2, v3
	s_delay_alu instid0(VALU_DEP_1)
	v_add_lshl_u32 v3, v3, v2, 2
	ds_bpermute_b32 v11, v3, v8
	s_waitcnt lgkmcnt(1)
	v_add_f32_e32 v9, v5, v9
	v_cndmask_b32_e64 v5, 0, 1, s0
	v_cmp_ne_u32_e64 s0, 31, v2
	ds_bpermute_b32 v10, v3, v9
	s_waitcnt lgkmcnt(0)
	v_dual_add_f32 v9, v9, v10 :: v_dual_add_f32 v10, v8, v11
	v_lshlrev_b32_e32 v5, 1, v5
	s_delay_alu instid0(VALU_DEP_1)
	v_add_lshl_u32 v5, v5, v2, 2
	v_add_co_ci_u32_e64 v2, s0, 0, v2, s0
	ds_bpermute_b32 v11, v5, v9
	ds_bpermute_b32 v12, v5, v10
	v_lshlrev_b32_e32 v8, 2, v2
	s_waitcnt lgkmcnt(0)
	v_dual_add_f32 v2, v9, v11 :: v_dual_add_f32 v9, v10, v12
	ds_bpermute_b32 v10, v8, v2
	ds_bpermute_b32 v11, v8, v9
	v_cmpx_eq_u32_e32 0, v1
	s_cbranch_execz .LBB88_8
; %bb.7:
	v_lshrrev_b32_e32 v12, 2, v0
	s_waitcnt lgkmcnt(0)
	v_dual_add_f32 v1, v2, v10 :: v_dual_add_f32 v2, v9, v11
	s_delay_alu instid0(VALU_DEP_2)
	v_and_b32_e32 v9, 0xf8, v12
	ds_store_b64 v9, v[1:2]
.LBB88_8:
	s_or_b32 exec_lo, exec_lo, s1
	v_dual_mov_b32 v2, 0 :: v_dual_mov_b32 v1, 0
	s_waitcnt lgkmcnt(0)
	s_barrier
	buffer_gl0_inv
	s_and_saveexec_b32 s0, vcc_lo
	s_cbranch_execz .LBB88_10
; %bb.9:
	ds_load_b64 v[1:2], v4
.LBB88_10:
	s_or_b32 exec_lo, exec_lo, s0
	s_and_saveexec_b32 s0, vcc_lo
	s_cbranch_execz .LBB88_12
; %bb.11:
	s_waitcnt lgkmcnt(0)
	ds_bpermute_b32 v4, v6, v1
	ds_bpermute_b32 v6, v6, v2
	s_waitcnt lgkmcnt(0)
	v_dual_add_f32 v1, v1, v4 :: v_dual_add_f32 v2, v2, v6
	ds_bpermute_b32 v4, v7, v1
	ds_bpermute_b32 v6, v7, v2
	s_waitcnt lgkmcnt(0)
	v_dual_add_f32 v1, v1, v4 :: v_dual_add_f32 v2, v2, v6
	;; [unrolled: 4-line block ×5, first 2 shown]
.LBB88_12:
	s_or_b32 exec_lo, exec_lo, s0
	s_delay_alu instid0(SALU_CYCLE_1)
	s_mov_b32 s0, exec_lo
	v_cmpx_eq_u32_e32 0, v0
	s_cbranch_execz .LBB88_14
; %bb.13:
	s_lshl_b64 s[0:1], s[8:9], 3
	v_mov_b32_e32 v0, 0
	s_add_u32 s0, s2, s0
	s_addc_u32 s1, s3, s1
	s_waitcnt lgkmcnt(0)
	global_store_b64 v0, v[1:2], s[0:1]
.LBB88_14:
	s_nop 0
	s_sendmsg sendmsg(MSG_DEALLOC_VGPRS)
	s_endpgm
	.section	.rodata,"a",@progbits
	.p2align	6, 0x0
	.amdhsa_kernel _ZL24rocblas_dot_kernel_magsqIlLb1ELi1024ELi32ELb0E19rocblas_complex_numIfEPKS1_S1_EviT5_lT_liPT6_PT4_
		.amdhsa_group_segment_fixed_size 256
		.amdhsa_private_segment_fixed_size 0
		.amdhsa_kernarg_size 320
		.amdhsa_user_sgpr_count 14
		.amdhsa_user_sgpr_dispatch_ptr 0
		.amdhsa_user_sgpr_queue_ptr 0
		.amdhsa_user_sgpr_kernarg_segment_ptr 1
		.amdhsa_user_sgpr_dispatch_id 0
		.amdhsa_user_sgpr_private_segment_size 0
		.amdhsa_wavefront_size32 1
		.amdhsa_uses_dynamic_stack 0
		.amdhsa_enable_private_segment 0
		.amdhsa_system_sgpr_workgroup_id_x 1
		.amdhsa_system_sgpr_workgroup_id_y 0
		.amdhsa_system_sgpr_workgroup_id_z 1
		.amdhsa_system_sgpr_workgroup_info 0
		.amdhsa_system_vgpr_workitem_id 0
		.amdhsa_next_free_vgpr 13
		.amdhsa_next_free_sgpr 17
		.amdhsa_reserve_vcc 1
		.amdhsa_float_round_mode_32 0
		.amdhsa_float_round_mode_16_64 0
		.amdhsa_float_denorm_mode_32 3
		.amdhsa_float_denorm_mode_16_64 3
		.amdhsa_dx10_clamp 1
		.amdhsa_ieee_mode 1
		.amdhsa_fp16_overflow 0
		.amdhsa_workgroup_processor_mode 1
		.amdhsa_memory_ordered 1
		.amdhsa_forward_progress 0
		.amdhsa_shared_vgpr_count 0
		.amdhsa_exception_fp_ieee_invalid_op 0
		.amdhsa_exception_fp_denorm_src 0
		.amdhsa_exception_fp_ieee_div_zero 0
		.amdhsa_exception_fp_ieee_overflow 0
		.amdhsa_exception_fp_ieee_underflow 0
		.amdhsa_exception_fp_ieee_inexact 0
		.amdhsa_exception_int_div_zero 0
	.end_amdhsa_kernel
	.section	.text._ZL24rocblas_dot_kernel_magsqIlLb1ELi1024ELi32ELb0E19rocblas_complex_numIfEPKS1_S1_EviT5_lT_liPT6_PT4_,"axG",@progbits,_ZL24rocblas_dot_kernel_magsqIlLb1ELi1024ELi32ELb0E19rocblas_complex_numIfEPKS1_S1_EviT5_lT_liPT6_PT4_,comdat
.Lfunc_end88:
	.size	_ZL24rocblas_dot_kernel_magsqIlLb1ELi1024ELi32ELb0E19rocblas_complex_numIfEPKS1_S1_EviT5_lT_liPT6_PT4_, .Lfunc_end88-_ZL24rocblas_dot_kernel_magsqIlLb1ELi1024ELi32ELb0E19rocblas_complex_numIfEPKS1_S1_EviT5_lT_liPT6_PT4_
                                        ; -- End function
	.section	.AMDGPU.csdata,"",@progbits
; Kernel info:
; codeLenInByte = 1020
; NumSgprs: 19
; NumVgprs: 13
; ScratchSize: 0
; MemoryBound: 0
; FloatMode: 240
; IeeeMode: 1
; LDSByteSize: 256 bytes/workgroup (compile time only)
; SGPRBlocks: 2
; VGPRBlocks: 1
; NumSGPRsForWavesPerEU: 19
; NumVGPRsForWavesPerEU: 13
; Occupancy: 16
; WaveLimiterHint : 0
; COMPUTE_PGM_RSRC2:SCRATCH_EN: 0
; COMPUTE_PGM_RSRC2:USER_SGPR: 14
; COMPUTE_PGM_RSRC2:TRAP_HANDLER: 0
; COMPUTE_PGM_RSRC2:TGID_X_EN: 1
; COMPUTE_PGM_RSRC2:TGID_Y_EN: 0
; COMPUTE_PGM_RSRC2:TGID_Z_EN: 1
; COMPUTE_PGM_RSRC2:TIDIG_COMP_CNT: 0
	.section	.text._ZL38rocblas_dot_kernel_gfx942_float_doubleIlLi1024E19rocblas_complex_numIfEPKS1_S1_EviT2_lT_lS4_lS5_lPT3_PT1_,"axG",@progbits,_ZL38rocblas_dot_kernel_gfx942_float_doubleIlLi1024E19rocblas_complex_numIfEPKS1_S1_EviT2_lT_lS4_lS5_lPT3_PT1_,comdat
	.globl	_ZL38rocblas_dot_kernel_gfx942_float_doubleIlLi1024E19rocblas_complex_numIfEPKS1_S1_EviT2_lT_lS4_lS5_lPT3_PT1_ ; -- Begin function _ZL38rocblas_dot_kernel_gfx942_float_doubleIlLi1024E19rocblas_complex_numIfEPKS1_S1_EviT2_lT_lS4_lS5_lPT3_PT1_
	.p2align	8
	.type	_ZL38rocblas_dot_kernel_gfx942_float_doubleIlLi1024E19rocblas_complex_numIfEPKS1_S1_EviT2_lT_lS4_lS5_lPT3_PT1_,@function
_ZL38rocblas_dot_kernel_gfx942_float_doubleIlLi1024E19rocblas_complex_numIfEPKS1_S1_EviT2_lT_lS4_lS5_lPT3_PT1_: ; @_ZL38rocblas_dot_kernel_gfx942_float_doubleIlLi1024E19rocblas_complex_numIfEPKS1_S1_EviT2_lT_lS4_lS5_lPT3_PT1_
; %bb.0:
	s_endpgm
	.section	.rodata,"a",@progbits
	.p2align	6, 0x0
	.amdhsa_kernel _ZL38rocblas_dot_kernel_gfx942_float_doubleIlLi1024E19rocblas_complex_numIfEPKS1_S1_EviT2_lT_lS4_lS5_lPT3_PT1_
		.amdhsa_group_segment_fixed_size 0
		.amdhsa_private_segment_fixed_size 0
		.amdhsa_kernarg_size 88
		.amdhsa_user_sgpr_count 15
		.amdhsa_user_sgpr_dispatch_ptr 0
		.amdhsa_user_sgpr_queue_ptr 0
		.amdhsa_user_sgpr_kernarg_segment_ptr 1
		.amdhsa_user_sgpr_dispatch_id 0
		.amdhsa_user_sgpr_private_segment_size 0
		.amdhsa_wavefront_size32 1
		.amdhsa_uses_dynamic_stack 0
		.amdhsa_enable_private_segment 0
		.amdhsa_system_sgpr_workgroup_id_x 1
		.amdhsa_system_sgpr_workgroup_id_y 0
		.amdhsa_system_sgpr_workgroup_id_z 0
		.amdhsa_system_sgpr_workgroup_info 0
		.amdhsa_system_vgpr_workitem_id 0
		.amdhsa_next_free_vgpr 1
		.amdhsa_next_free_sgpr 1
		.amdhsa_reserve_vcc 0
		.amdhsa_float_round_mode_32 0
		.amdhsa_float_round_mode_16_64 0
		.amdhsa_float_denorm_mode_32 3
		.amdhsa_float_denorm_mode_16_64 3
		.amdhsa_dx10_clamp 1
		.amdhsa_ieee_mode 1
		.amdhsa_fp16_overflow 0
		.amdhsa_workgroup_processor_mode 1
		.amdhsa_memory_ordered 1
		.amdhsa_forward_progress 0
		.amdhsa_shared_vgpr_count 0
		.amdhsa_exception_fp_ieee_invalid_op 0
		.amdhsa_exception_fp_denorm_src 0
		.amdhsa_exception_fp_ieee_div_zero 0
		.amdhsa_exception_fp_ieee_overflow 0
		.amdhsa_exception_fp_ieee_underflow 0
		.amdhsa_exception_fp_ieee_inexact 0
		.amdhsa_exception_int_div_zero 0
	.end_amdhsa_kernel
	.section	.text._ZL38rocblas_dot_kernel_gfx942_float_doubleIlLi1024E19rocblas_complex_numIfEPKS1_S1_EviT2_lT_lS4_lS5_lPT3_PT1_,"axG",@progbits,_ZL38rocblas_dot_kernel_gfx942_float_doubleIlLi1024E19rocblas_complex_numIfEPKS1_S1_EviT2_lT_lS4_lS5_lPT3_PT1_,comdat
.Lfunc_end89:
	.size	_ZL38rocblas_dot_kernel_gfx942_float_doubleIlLi1024E19rocblas_complex_numIfEPKS1_S1_EviT2_lT_lS4_lS5_lPT3_PT1_, .Lfunc_end89-_ZL38rocblas_dot_kernel_gfx942_float_doubleIlLi1024E19rocblas_complex_numIfEPKS1_S1_EviT2_lT_lS4_lS5_lPT3_PT1_
                                        ; -- End function
	.section	.AMDGPU.csdata,"",@progbits
; Kernel info:
; codeLenInByte = 4
; NumSgprs: 0
; NumVgprs: 0
; ScratchSize: 0
; MemoryBound: 0
; FloatMode: 240
; IeeeMode: 1
; LDSByteSize: 0 bytes/workgroup (compile time only)
; SGPRBlocks: 0
; VGPRBlocks: 0
; NumSGPRsForWavesPerEU: 1
; NumVGPRsForWavesPerEU: 1
; Occupancy: 16
; WaveLimiterHint : 0
; COMPUTE_PGM_RSRC2:SCRATCH_EN: 0
; COMPUTE_PGM_RSRC2:USER_SGPR: 15
; COMPUTE_PGM_RSRC2:TRAP_HANDLER: 0
; COMPUTE_PGM_RSRC2:TGID_X_EN: 1
; COMPUTE_PGM_RSRC2:TGID_Y_EN: 0
; COMPUTE_PGM_RSRC2:TGID_Z_EN: 0
; COMPUTE_PGM_RSRC2:TIDIG_COMP_CNT: 0
	.section	.text._ZL18rocblas_dot_kernelIlLb0ELi512ELi2ELb0E19rocblas_complex_numIfEPKS1_S1_EviT5_lT_lS4_lS5_liPT6_PT4_,"axG",@progbits,_ZL18rocblas_dot_kernelIlLb0ELi512ELi2ELb0E19rocblas_complex_numIfEPKS1_S1_EviT5_lT_lS4_lS5_liPT6_PT4_,comdat
	.globl	_ZL18rocblas_dot_kernelIlLb0ELi512ELi2ELb0E19rocblas_complex_numIfEPKS1_S1_EviT5_lT_lS4_lS5_liPT6_PT4_ ; -- Begin function _ZL18rocblas_dot_kernelIlLb0ELi512ELi2ELb0E19rocblas_complex_numIfEPKS1_S1_EviT5_lT_lS4_lS5_liPT6_PT4_
	.p2align	8
	.type	_ZL18rocblas_dot_kernelIlLb0ELi512ELi2ELb0E19rocblas_complex_numIfEPKS1_S1_EviT5_lT_lS4_lS5_liPT6_PT4_,@function
_ZL18rocblas_dot_kernelIlLb0ELi512ELi2ELb0E19rocblas_complex_numIfEPKS1_S1_EviT5_lT_lS4_lS5_liPT6_PT4_: ; @_ZL18rocblas_dot_kernelIlLb0ELi512ELi2ELb0E19rocblas_complex_numIfEPKS1_S1_EviT5_lT_lS4_lS5_liPT6_PT4_
; %bb.0:
	s_mov_b32 s12, s15
	s_clause 0x1
	s_load_b32 s15, s[0:1], 0x0
	s_load_b32 s3, s[0:1], 0x60
	v_lshl_or_b32 v3, s14, 9, v0
	v_dual_mov_b32 v1, 0 :: v_dual_mov_b32 v2, 0
	s_mov_b32 s13, 0
	s_mov_b32 s2, exec_lo
	s_waitcnt lgkmcnt(0)
	v_cmpx_gt_i32_e64 s15, v3
	s_cbranch_execz .LBB90_4
; %bb.1:
	s_clause 0x3
	s_load_b256 s[4:11], s[0:1], 0x20
	s_load_b64 s[20:21], s[0:1], 0x40
	s_load_b128 s[16:19], s[0:1], 0x10
	s_load_b64 s[22:23], s[0:1], 0x8
	v_ashrrev_i32_e32 v4, 31, v3
	s_waitcnt lgkmcnt(0)
	s_mul_i32 s5, s12, s5
	s_mul_hi_u32 s24, s12, s4
	v_mul_lo_u32 v7, v3, s19
	v_mul_lo_u32 v8, v4, s18
	v_mad_u64_u32 v[1:2], null, v3, s18, 0
	v_mul_lo_u32 v6, v3, s11
	v_mul_lo_u32 v9, v4, s10
	v_mad_u64_u32 v[4:5], null, v3, s10, 0
	s_mul_i32 s4, s12, s4
	s_add_i32 s5, s24, s5
	s_delay_alu instid0(VALU_DEP_4)
	v_add3_u32 v2, v2, v7, v8
	s_lshl_b64 s[4:5], s[4:5], 3
	s_mul_i32 s21, s12, s21
	s_add_u32 s22, s22, s4
	s_addc_u32 s23, s23, s5
	s_lshl_b64 s[4:5], s[16:17], 3
	s_mul_hi_u32 s25, s12, s20
	v_add3_u32 v5, v5, v6, v9
	s_add_u32 s4, s22, s4
	s_mul_i32 s20, s12, s20
	s_addc_u32 s5, s23, s5
	s_add_i32 s21, s25, s21
	v_lshlrev_b64 v[1:2], 3, v[1:2]
	s_lshl_b64 s[16:17], s[20:21], 3
	v_lshlrev_b64 v[3:4], 3, v[4:5]
	s_add_u32 s16, s6, s16
	s_addc_u32 s17, s7, s17
	s_lshl_b64 s[6:7], s[8:9], 3
	v_add_co_u32 v1, vcc_lo, s4, v1
	s_add_u32 s6, s16, s6
	v_add_co_ci_u32_e32 v2, vcc_lo, s5, v2, vcc_lo
	s_addc_u32 s7, s17, s7
	v_add_co_u32 v3, vcc_lo, s6, v3
	v_add_co_ci_u32_e32 v4, vcc_lo, s7, v4, vcc_lo
	global_load_b64 v[1:2], v[1:2], off
	global_load_b64 v[3:4], v[3:4], off
	s_add_i32 s8, s14, s3
	s_waitcnt vmcnt(0)
	v_mul_f32_e32 v5, v2, v4
	v_mul_f32_e32 v4, v1, v4
	s_delay_alu instid0(VALU_DEP_2) | instskip(NEXT) | instid1(VALU_DEP_1)
	v_fma_f32 v1, v1, v3, -v5
	v_dual_add_f32 v1, 0, v1 :: v_dual_fmac_f32 v4, v2, v3
	v_lshl_or_b32 v3, s8, 9, v0
	s_mov_b32 s8, exec_lo
	s_delay_alu instid0(VALU_DEP_2) | instskip(NEXT) | instid1(VALU_DEP_2)
	v_add_f32_e32 v2, 0, v4
	v_cmpx_gt_i32_e64 s15, v3
	s_cbranch_execz .LBB90_3
; %bb.2:
	v_ashrrev_i32_e32 v8, 31, v3
	v_mul_lo_u32 v9, v3, s19
	v_mad_u64_u32 v[4:5], null, v3, s18, 0
	v_mul_lo_u32 v11, v3, s11
	s_delay_alu instid0(VALU_DEP_4) | instskip(SKIP_2) | instid1(VALU_DEP_3)
	v_mul_lo_u32 v10, v8, s18
	v_mad_u64_u32 v[6:7], null, v3, s10, 0
	v_mul_lo_u32 v3, v8, s10
	v_add3_u32 v5, v5, v9, v10
	s_delay_alu instid0(VALU_DEP_2) | instskip(NEXT) | instid1(VALU_DEP_2)
	v_add3_u32 v7, v7, v11, v3
	v_lshlrev_b64 v[3:4], 3, v[4:5]
	s_delay_alu instid0(VALU_DEP_2) | instskip(NEXT) | instid1(VALU_DEP_2)
	v_lshlrev_b64 v[5:6], 3, v[6:7]
	v_add_co_u32 v3, vcc_lo, s4, v3
	s_delay_alu instid0(VALU_DEP_3) | instskip(NEXT) | instid1(VALU_DEP_3)
	v_add_co_ci_u32_e32 v4, vcc_lo, s5, v4, vcc_lo
	v_add_co_u32 v5, vcc_lo, s6, v5
	s_delay_alu instid0(VALU_DEP_4)
	v_add_co_ci_u32_e32 v6, vcc_lo, s7, v6, vcc_lo
	global_load_b64 v[3:4], v[3:4], off
	global_load_b64 v[5:6], v[5:6], off
	s_waitcnt vmcnt(0)
	v_mul_f32_e32 v7, v3, v6
	v_mul_f32_e32 v6, v4, v6
	s_delay_alu instid0(VALU_DEP_2) | instskip(NEXT) | instid1(VALU_DEP_2)
	v_fmac_f32_e32 v7, v4, v5
	v_fma_f32 v3, v3, v5, -v6
	s_delay_alu instid0(VALU_DEP_2) | instskip(NEXT) | instid1(VALU_DEP_2)
	v_add_f32_e32 v2, v2, v7
	v_add_f32_e32 v1, v1, v3
.LBB90_3:
	s_or_b32 exec_lo, exec_lo, s8
.LBB90_4:
	s_delay_alu instid0(SALU_CYCLE_1) | instskip(SKIP_2) | instid1(VALU_DEP_2)
	s_or_b32 exec_lo, exec_lo, s2
	v_and_b32_e32 v8, 31, v0
	v_cmp_gt_u32_e32 vcc_lo, 32, v0
	v_lshlrev_b32_e32 v3, 3, v8
	s_and_saveexec_b32 s2, vcc_lo
	s_cbranch_execz .LBB90_6
; %bb.5:
	v_mov_b32_e32 v4, 0
	s_delay_alu instid0(VALU_DEP_1)
	v_mov_b32_e32 v5, v4
	ds_store_b64 v3, v[4:5]
.LBB90_6:
	s_or_b32 exec_lo, exec_lo, s2
	v_mbcnt_lo_u32_b32 v7, -1, 0
	s_mov_b32 s4, exec_lo
	s_waitcnt lgkmcnt(0)
	s_barrier
	buffer_gl0_inv
	v_cmp_gt_u32_e64 s2, 16, v7
	s_delay_alu instid0(VALU_DEP_1) | instskip(SKIP_1) | instid1(VALU_DEP_2)
	v_cndmask_b32_e64 v4, 0, 1, s2
	v_cmp_gt_u32_e64 s2, 24, v7
	v_lshlrev_b32_e32 v4, 4, v4
	s_delay_alu instid0(VALU_DEP_1)
	v_add_lshl_u32 v4, v4, v7, 2
	ds_bpermute_b32 v5, v4, v1
	ds_bpermute_b32 v6, v4, v2
	v_cndmask_b32_e64 v4, 0, 1, s2
	v_cmp_gt_u32_e64 s2, 28, v7
	s_waitcnt lgkmcnt(1)
	s_delay_alu instid0(VALU_DEP_2) | instskip(NEXT) | instid1(VALU_DEP_2)
	v_dual_add_f32 v1, v1, v5 :: v_dual_lshlrev_b32 v4, 3, v4
	v_cndmask_b32_e64 v5, 0, 1, s2
	s_waitcnt lgkmcnt(0)
	v_add_f32_e32 v2, v2, v6
	v_cmp_gt_u32_e64 s2, 30, v7
	v_add_lshl_u32 v4, v4, v7, 2
	v_lshlrev_b32_e32 v5, 2, v5
	ds_bpermute_b32 v6, v4, v1
	ds_bpermute_b32 v9, v4, v2
	v_add_lshl_u32 v5, v5, v7, 2
	s_waitcnt lgkmcnt(1)
	v_add_f32_e32 v1, v1, v6
	v_cndmask_b32_e64 v6, 0, 1, s2
	v_cmp_ne_u32_e64 s2, 31, v7
	s_delay_alu instid0(VALU_DEP_2) | instskip(NEXT) | instid1(VALU_DEP_1)
	v_lshlrev_b32_e32 v6, 1, v6
	v_add_lshl_u32 v6, v6, v7, 2
	s_delay_alu instid0(VALU_DEP_3)
	v_add_co_ci_u32_e64 v7, s2, 0, v7, s2
	s_waitcnt lgkmcnt(0)
	v_add_f32_e32 v2, v2, v9
	ds_bpermute_b32 v9, v5, v1
	v_lshlrev_b32_e32 v7, 2, v7
	ds_bpermute_b32 v10, v5, v2
	s_waitcnt lgkmcnt(1)
	v_add_f32_e32 v1, v1, v9
	ds_bpermute_b32 v9, v6, v1
	s_waitcnt lgkmcnt(0)
	v_dual_add_f32 v2, v2, v10 :: v_dual_add_f32 v1, v1, v9
	ds_bpermute_b32 v10, v6, v2
	ds_bpermute_b32 v9, v7, v1
	s_waitcnt lgkmcnt(1)
	v_add_f32_e32 v2, v2, v10
	ds_bpermute_b32 v10, v7, v2
	v_cmpx_eq_u32_e32 0, v8
	s_cbranch_execz .LBB90_8
; %bb.7:
	v_lshrrev_b32_e32 v8, 2, v0
	s_waitcnt lgkmcnt(0)
	v_dual_add_f32 v1, v1, v9 :: v_dual_add_f32 v2, v2, v10
	s_delay_alu instid0(VALU_DEP_2)
	v_and_b32_e32 v8, 0x78, v8
	ds_store_b64 v8, v[1:2]
.LBB90_8:
	s_or_b32 exec_lo, exec_lo, s4
	v_dual_mov_b32 v2, 0 :: v_dual_mov_b32 v1, 0
	s_mov_b32 s4, exec_lo
	s_waitcnt lgkmcnt(0)
	s_barrier
	buffer_gl0_inv
	v_cmpx_gt_u32_e32 16, v0
	s_cbranch_execz .LBB90_10
; %bb.9:
	ds_load_b64 v[1:2], v3
.LBB90_10:
	s_or_b32 exec_lo, exec_lo, s4
	s_and_saveexec_b32 s2, vcc_lo
	s_cbranch_execz .LBB90_12
; %bb.11:
	s_waitcnt lgkmcnt(0)
	ds_bpermute_b32 v3, v4, v1
	ds_bpermute_b32 v4, v4, v2
	s_waitcnt lgkmcnt(0)
	v_dual_add_f32 v1, v1, v3 :: v_dual_add_f32 v2, v2, v4
	ds_bpermute_b32 v3, v5, v1
	ds_bpermute_b32 v4, v5, v2
	s_waitcnt lgkmcnt(0)
	v_dual_add_f32 v1, v1, v3 :: v_dual_add_f32 v2, v2, v4
	;; [unrolled: 4-line block ×4, first 2 shown]
.LBB90_12:
	s_or_b32 exec_lo, exec_lo, s2
	s_delay_alu instid0(SALU_CYCLE_1)
	s_mov_b32 s2, exec_lo
	v_cmpx_eq_u32_e32 0, v0
	s_cbranch_execz .LBB90_18
; %bb.13:
	s_cmp_lg_u32 s3, 1
	s_cbranch_scc0 .LBB90_15
; %bb.14:
	s_load_b64 s[4:5], s[0:1], 0x50
	s_mul_hi_u32 s7, s3, s12
	s_mul_i32 s6, s3, s12
	s_mov_b32 s15, 0
	s_lshl_b64 s[2:3], s[6:7], 3
	s_waitcnt lgkmcnt(0)
	s_add_u32 s4, s4, s2
	s_addc_u32 s5, s5, s3
	s_lshl_b64 s[2:3], s[14:15], 3
	s_delay_alu instid0(SALU_CYCLE_1)
	s_add_u32 s2, s4, s2
	s_addc_u32 s3, s5, s3
	s_cbranch_execz .LBB90_16
	s_branch .LBB90_17
.LBB90_15:
                                        ; implicit-def: $sgpr2_sgpr3
.LBB90_16:
	s_load_b64 s[0:1], s[0:1], 0x58
	s_lshl_b64 s[2:3], s[12:13], 3
	s_waitcnt lgkmcnt(0)
	s_add_u32 s2, s0, s2
	s_addc_u32 s3, s1, s3
.LBB90_17:
	v_mov_b32_e32 v0, 0
	s_waitcnt lgkmcnt(0)
	global_store_b64 v0, v[1:2], s[2:3]
.LBB90_18:
	s_nop 0
	s_sendmsg sendmsg(MSG_DEALLOC_VGPRS)
	s_endpgm
	.section	.rodata,"a",@progbits
	.p2align	6, 0x0
	.amdhsa_kernel _ZL18rocblas_dot_kernelIlLb0ELi512ELi2ELb0E19rocblas_complex_numIfEPKS1_S1_EviT5_lT_lS4_lS5_liPT6_PT4_
		.amdhsa_group_segment_fixed_size 256
		.amdhsa_private_segment_fixed_size 0
		.amdhsa_kernarg_size 352
		.amdhsa_user_sgpr_count 14
		.amdhsa_user_sgpr_dispatch_ptr 0
		.amdhsa_user_sgpr_queue_ptr 0
		.amdhsa_user_sgpr_kernarg_segment_ptr 1
		.amdhsa_user_sgpr_dispatch_id 0
		.amdhsa_user_sgpr_private_segment_size 0
		.amdhsa_wavefront_size32 1
		.amdhsa_uses_dynamic_stack 0
		.amdhsa_enable_private_segment 0
		.amdhsa_system_sgpr_workgroup_id_x 1
		.amdhsa_system_sgpr_workgroup_id_y 0
		.amdhsa_system_sgpr_workgroup_id_z 1
		.amdhsa_system_sgpr_workgroup_info 0
		.amdhsa_system_vgpr_workitem_id 0
		.amdhsa_next_free_vgpr 12
		.amdhsa_next_free_sgpr 26
		.amdhsa_reserve_vcc 1
		.amdhsa_float_round_mode_32 0
		.amdhsa_float_round_mode_16_64 0
		.amdhsa_float_denorm_mode_32 3
		.amdhsa_float_denorm_mode_16_64 3
		.amdhsa_dx10_clamp 1
		.amdhsa_ieee_mode 1
		.amdhsa_fp16_overflow 0
		.amdhsa_workgroup_processor_mode 1
		.amdhsa_memory_ordered 1
		.amdhsa_forward_progress 0
		.amdhsa_shared_vgpr_count 0
		.amdhsa_exception_fp_ieee_invalid_op 0
		.amdhsa_exception_fp_denorm_src 0
		.amdhsa_exception_fp_ieee_div_zero 0
		.amdhsa_exception_fp_ieee_overflow 0
		.amdhsa_exception_fp_ieee_underflow 0
		.amdhsa_exception_fp_ieee_inexact 0
		.amdhsa_exception_int_div_zero 0
	.end_amdhsa_kernel
	.section	.text._ZL18rocblas_dot_kernelIlLb0ELi512ELi2ELb0E19rocblas_complex_numIfEPKS1_S1_EviT5_lT_lS4_lS5_liPT6_PT4_,"axG",@progbits,_ZL18rocblas_dot_kernelIlLb0ELi512ELi2ELb0E19rocblas_complex_numIfEPKS1_S1_EviT5_lT_lS4_lS5_liPT6_PT4_,comdat
.Lfunc_end90:
	.size	_ZL18rocblas_dot_kernelIlLb0ELi512ELi2ELb0E19rocblas_complex_numIfEPKS1_S1_EviT5_lT_lS4_lS5_liPT6_PT4_, .Lfunc_end90-_ZL18rocblas_dot_kernelIlLb0ELi512ELi2ELb0E19rocblas_complex_numIfEPKS1_S1_EviT5_lT_lS4_lS5_liPT6_PT4_
                                        ; -- End function
	.section	.AMDGPU.csdata,"",@progbits
; Kernel info:
; codeLenInByte = 1300
; NumSgprs: 28
; NumVgprs: 12
; ScratchSize: 0
; MemoryBound: 0
; FloatMode: 240
; IeeeMode: 1
; LDSByteSize: 256 bytes/workgroup (compile time only)
; SGPRBlocks: 3
; VGPRBlocks: 1
; NumSGPRsForWavesPerEU: 28
; NumVGPRsForWavesPerEU: 12
; Occupancy: 16
; WaveLimiterHint : 0
; COMPUTE_PGM_RSRC2:SCRATCH_EN: 0
; COMPUTE_PGM_RSRC2:USER_SGPR: 14
; COMPUTE_PGM_RSRC2:TRAP_HANDLER: 0
; COMPUTE_PGM_RSRC2:TGID_X_EN: 1
; COMPUTE_PGM_RSRC2:TGID_Y_EN: 0
; COMPUTE_PGM_RSRC2:TGID_Z_EN: 1
; COMPUTE_PGM_RSRC2:TIDIG_COMP_CNT: 0
	.section	.text._ZL24rocblas_dot_kernel_magsqIlLb0ELi512ELi2ELb0E19rocblas_complex_numIfEPKS1_S1_EviT5_lT_liPT6_PT4_,"axG",@progbits,_ZL24rocblas_dot_kernel_magsqIlLb0ELi512ELi2ELb0E19rocblas_complex_numIfEPKS1_S1_EviT5_lT_liPT6_PT4_,comdat
	.globl	_ZL24rocblas_dot_kernel_magsqIlLb0ELi512ELi2ELb0E19rocblas_complex_numIfEPKS1_S1_EviT5_lT_liPT6_PT4_ ; -- Begin function _ZL24rocblas_dot_kernel_magsqIlLb0ELi512ELi2ELb0E19rocblas_complex_numIfEPKS1_S1_EviT5_lT_liPT6_PT4_
	.p2align	8
	.type	_ZL24rocblas_dot_kernel_magsqIlLb0ELi512ELi2ELb0E19rocblas_complex_numIfEPKS1_S1_EviT5_lT_liPT6_PT4_,@function
_ZL24rocblas_dot_kernel_magsqIlLb0ELi512ELi2ELb0E19rocblas_complex_numIfEPKS1_S1_EviT5_lT_liPT6_PT4_: ; @_ZL24rocblas_dot_kernel_magsqIlLb0ELi512ELi2ELb0E19rocblas_complex_numIfEPKS1_S1_EviT5_lT_liPT6_PT4_
; %bb.0:
	s_clause 0x1
	s_load_b32 s10, s[0:1], 0x0
	s_load_b32 s3, s[0:1], 0x40
	v_lshl_or_b32 v3, s14, 9, v0
	v_dual_mov_b32 v1, 0 :: v_dual_mov_b32 v2, 0
	s_mov_b32 s8, s15
	s_mov_b32 s9, 0
	s_mov_b32 s2, exec_lo
	s_waitcnt lgkmcnt(0)
	v_cmpx_gt_i32_e64 s10, v3
	s_cbranch_execz .LBB91_4
; %bb.1:
	s_clause 0x2
	s_load_b128 s[4:7], s[0:1], 0x10
	s_load_b64 s[12:13], s[0:1], 0x20
	s_load_b64 s[16:17], s[0:1], 0x8
	v_ashrrev_i32_e32 v1, 31, v3
	s_waitcnt lgkmcnt(0)
	v_mul_lo_u32 v4, v3, s7
	s_delay_alu instid0(VALU_DEP_2)
	v_mul_lo_u32 v5, v1, s6
	v_mad_u64_u32 v[1:2], null, v3, s6, 0
	s_mul_i32 s11, s8, s13
	s_mul_hi_u32 s13, s8, s12
	s_mul_i32 s12, s8, s12
	s_add_i32 s13, s13, s11
	s_delay_alu instid0(SALU_CYCLE_1) | instskip(NEXT) | instid1(VALU_DEP_1)
	s_lshl_b64 s[12:13], s[12:13], 3
	v_add3_u32 v2, v2, v4, v5
	s_add_u32 s11, s16, s12
	s_addc_u32 s12, s17, s13
	s_lshl_b64 s[4:5], s[4:5], 3
	s_delay_alu instid0(VALU_DEP_1) | instskip(SKIP_3) | instid1(SALU_CYCLE_1)
	v_lshlrev_b64 v[1:2], 3, v[1:2]
	s_add_u32 s4, s11, s4
	s_addc_u32 s5, s12, s5
	s_add_i32 s11, s14, s3
	v_lshl_or_b32 v3, s11, 9, v0
	s_delay_alu instid0(VALU_DEP_2) | instskip(SKIP_1) | instid1(VALU_DEP_3)
	v_add_co_u32 v1, vcc_lo, s4, v1
	v_add_co_ci_u32_e32 v2, vcc_lo, s5, v2, vcc_lo
	v_cmp_gt_i32_e32 vcc_lo, s10, v3
	global_load_b64 v[1:2], v[1:2], off
	s_waitcnt vmcnt(0)
	v_mul_f32_e32 v4, v2, v2
	v_mul_f32_e32 v2, v1, v2
	s_delay_alu instid0(VALU_DEP_2) | instskip(NEXT) | instid1(VALU_DEP_2)
	v_fma_f32 v1, v1, v1, -v4
	v_fma_f32 v2, v2, 2.0, 0
	s_and_saveexec_b32 s10, vcc_lo
	s_cbranch_execz .LBB91_3
; %bb.2:
	v_ashrrev_i32_e32 v6, 31, v3
	v_mul_lo_u32 v7, v3, s7
	v_mad_u64_u32 v[4:5], null, v3, s6, 0
	s_delay_alu instid0(VALU_DEP_3) | instskip(NEXT) | instid1(VALU_DEP_1)
	v_mul_lo_u32 v3, v6, s6
	v_add3_u32 v5, v5, v7, v3
	s_delay_alu instid0(VALU_DEP_1) | instskip(NEXT) | instid1(VALU_DEP_1)
	v_lshlrev_b64 v[3:4], 3, v[4:5]
	v_add_co_u32 v3, vcc_lo, s4, v3
	s_delay_alu instid0(VALU_DEP_2) | instskip(SKIP_4) | instid1(VALU_DEP_2)
	v_add_co_ci_u32_e32 v4, vcc_lo, s5, v4, vcc_lo
	global_load_b64 v[3:4], v[3:4], off
	s_waitcnt vmcnt(0)
	v_mul_f32_e32 v5, v4, v4
	v_mul_f32_e32 v4, v3, v4
	v_fma_f32 v3, v3, v3, -v5
	s_delay_alu instid0(VALU_DEP_1)
	v_dual_add_f32 v1, v1, v3 :: v_dual_fmac_f32 v2, 2.0, v4
.LBB91_3:
	s_or_b32 exec_lo, exec_lo, s10
.LBB91_4:
	s_delay_alu instid0(SALU_CYCLE_1) | instskip(SKIP_2) | instid1(VALU_DEP_2)
	s_or_b32 exec_lo, exec_lo, s2
	v_and_b32_e32 v8, 31, v0
	v_cmp_gt_u32_e32 vcc_lo, 32, v0
	v_lshlrev_b32_e32 v3, 3, v8
	s_and_saveexec_b32 s2, vcc_lo
	s_cbranch_execz .LBB91_6
; %bb.5:
	v_mov_b32_e32 v4, 0
	s_delay_alu instid0(VALU_DEP_1)
	v_mov_b32_e32 v5, v4
	ds_store_b64 v3, v[4:5]
.LBB91_6:
	s_or_b32 exec_lo, exec_lo, s2
	v_mbcnt_lo_u32_b32 v7, -1, 0
	s_mov_b32 s4, exec_lo
	s_waitcnt lgkmcnt(0)
	s_barrier
	buffer_gl0_inv
	v_cmp_gt_u32_e64 s2, 16, v7
	s_delay_alu instid0(VALU_DEP_1) | instskip(SKIP_1) | instid1(VALU_DEP_2)
	v_cndmask_b32_e64 v4, 0, 1, s2
	v_cmp_gt_u32_e64 s2, 24, v7
	v_lshlrev_b32_e32 v4, 4, v4
	s_delay_alu instid0(VALU_DEP_1)
	v_add_lshl_u32 v4, v4, v7, 2
	ds_bpermute_b32 v5, v4, v1
	ds_bpermute_b32 v6, v4, v2
	v_cndmask_b32_e64 v4, 0, 1, s2
	v_cmp_gt_u32_e64 s2, 28, v7
	s_waitcnt lgkmcnt(1)
	s_delay_alu instid0(VALU_DEP_2) | instskip(NEXT) | instid1(VALU_DEP_2)
	v_dual_add_f32 v1, v1, v5 :: v_dual_lshlrev_b32 v4, 3, v4
	v_cndmask_b32_e64 v5, 0, 1, s2
	s_waitcnt lgkmcnt(0)
	v_add_f32_e32 v2, v2, v6
	v_cmp_gt_u32_e64 s2, 30, v7
	v_add_lshl_u32 v4, v4, v7, 2
	v_lshlrev_b32_e32 v5, 2, v5
	ds_bpermute_b32 v6, v4, v1
	ds_bpermute_b32 v9, v4, v2
	v_add_lshl_u32 v5, v5, v7, 2
	s_waitcnt lgkmcnt(1)
	v_add_f32_e32 v1, v1, v6
	v_cndmask_b32_e64 v6, 0, 1, s2
	v_cmp_ne_u32_e64 s2, 31, v7
	s_delay_alu instid0(VALU_DEP_2) | instskip(NEXT) | instid1(VALU_DEP_1)
	v_lshlrev_b32_e32 v6, 1, v6
	v_add_lshl_u32 v6, v6, v7, 2
	s_delay_alu instid0(VALU_DEP_3)
	v_add_co_ci_u32_e64 v7, s2, 0, v7, s2
	s_waitcnt lgkmcnt(0)
	v_add_f32_e32 v2, v2, v9
	ds_bpermute_b32 v9, v5, v1
	v_lshlrev_b32_e32 v7, 2, v7
	ds_bpermute_b32 v10, v5, v2
	s_waitcnt lgkmcnt(1)
	v_add_f32_e32 v1, v1, v9
	ds_bpermute_b32 v9, v6, v1
	s_waitcnt lgkmcnt(0)
	v_dual_add_f32 v2, v2, v10 :: v_dual_add_f32 v1, v1, v9
	ds_bpermute_b32 v10, v6, v2
	ds_bpermute_b32 v9, v7, v1
	s_waitcnt lgkmcnt(1)
	v_add_f32_e32 v2, v2, v10
	ds_bpermute_b32 v10, v7, v2
	v_cmpx_eq_u32_e32 0, v8
	s_cbranch_execz .LBB91_8
; %bb.7:
	v_lshrrev_b32_e32 v8, 2, v0
	s_waitcnt lgkmcnt(0)
	v_dual_add_f32 v1, v1, v9 :: v_dual_add_f32 v2, v2, v10
	s_delay_alu instid0(VALU_DEP_2)
	v_and_b32_e32 v8, 0x78, v8
	ds_store_b64 v8, v[1:2]
.LBB91_8:
	s_or_b32 exec_lo, exec_lo, s4
	v_dual_mov_b32 v2, 0 :: v_dual_mov_b32 v1, 0
	s_mov_b32 s4, exec_lo
	s_waitcnt lgkmcnt(0)
	s_barrier
	buffer_gl0_inv
	v_cmpx_gt_u32_e32 16, v0
	s_cbranch_execz .LBB91_10
; %bb.9:
	ds_load_b64 v[1:2], v3
.LBB91_10:
	s_or_b32 exec_lo, exec_lo, s4
	s_and_saveexec_b32 s2, vcc_lo
	s_cbranch_execz .LBB91_12
; %bb.11:
	s_waitcnt lgkmcnt(0)
	ds_bpermute_b32 v3, v4, v1
	ds_bpermute_b32 v4, v4, v2
	s_waitcnt lgkmcnt(0)
	v_dual_add_f32 v1, v1, v3 :: v_dual_add_f32 v2, v2, v4
	ds_bpermute_b32 v3, v5, v1
	ds_bpermute_b32 v4, v5, v2
	s_waitcnt lgkmcnt(0)
	v_dual_add_f32 v1, v1, v3 :: v_dual_add_f32 v2, v2, v4
	;; [unrolled: 4-line block ×4, first 2 shown]
.LBB91_12:
	s_or_b32 exec_lo, exec_lo, s2
	s_delay_alu instid0(SALU_CYCLE_1)
	s_mov_b32 s2, exec_lo
	v_cmpx_eq_u32_e32 0, v0
	s_cbranch_execz .LBB91_18
; %bb.13:
	s_cmp_lg_u32 s3, 1
	s_cbranch_scc0 .LBB91_15
; %bb.14:
	s_load_b64 s[4:5], s[0:1], 0x30
	s_mul_hi_u32 s7, s3, s8
	s_mul_i32 s6, s3, s8
	s_mov_b32 s15, 0
	s_lshl_b64 s[2:3], s[6:7], 3
	s_waitcnt lgkmcnt(0)
	s_add_u32 s4, s4, s2
	s_addc_u32 s5, s5, s3
	s_lshl_b64 s[2:3], s[14:15], 3
	s_delay_alu instid0(SALU_CYCLE_1)
	s_add_u32 s2, s4, s2
	s_addc_u32 s3, s5, s3
	s_cbranch_execz .LBB91_16
	s_branch .LBB91_17
.LBB91_15:
                                        ; implicit-def: $sgpr2_sgpr3
.LBB91_16:
	s_load_b64 s[0:1], s[0:1], 0x38
	s_lshl_b64 s[2:3], s[8:9], 3
	s_waitcnt lgkmcnt(0)
	s_add_u32 s2, s0, s2
	s_addc_u32 s3, s1, s3
.LBB91_17:
	v_mov_b32_e32 v0, 0
	s_waitcnt lgkmcnt(0)
	global_store_b64 v0, v[1:2], s[2:3]
.LBB91_18:
	s_nop 0
	s_sendmsg sendmsg(MSG_DEALLOC_VGPRS)
	s_endpgm
	.section	.rodata,"a",@progbits
	.p2align	6, 0x0
	.amdhsa_kernel _ZL24rocblas_dot_kernel_magsqIlLb0ELi512ELi2ELb0E19rocblas_complex_numIfEPKS1_S1_EviT5_lT_liPT6_PT4_
		.amdhsa_group_segment_fixed_size 256
		.amdhsa_private_segment_fixed_size 0
		.amdhsa_kernarg_size 320
		.amdhsa_user_sgpr_count 14
		.amdhsa_user_sgpr_dispatch_ptr 0
		.amdhsa_user_sgpr_queue_ptr 0
		.amdhsa_user_sgpr_kernarg_segment_ptr 1
		.amdhsa_user_sgpr_dispatch_id 0
		.amdhsa_user_sgpr_private_segment_size 0
		.amdhsa_wavefront_size32 1
		.amdhsa_uses_dynamic_stack 0
		.amdhsa_enable_private_segment 0
		.amdhsa_system_sgpr_workgroup_id_x 1
		.amdhsa_system_sgpr_workgroup_id_y 0
		.amdhsa_system_sgpr_workgroup_id_z 1
		.amdhsa_system_sgpr_workgroup_info 0
		.amdhsa_system_vgpr_workitem_id 0
		.amdhsa_next_free_vgpr 11
		.amdhsa_next_free_sgpr 18
		.amdhsa_reserve_vcc 1
		.amdhsa_float_round_mode_32 0
		.amdhsa_float_round_mode_16_64 0
		.amdhsa_float_denorm_mode_32 3
		.amdhsa_float_denorm_mode_16_64 3
		.amdhsa_dx10_clamp 1
		.amdhsa_ieee_mode 1
		.amdhsa_fp16_overflow 0
		.amdhsa_workgroup_processor_mode 1
		.amdhsa_memory_ordered 1
		.amdhsa_forward_progress 0
		.amdhsa_shared_vgpr_count 0
		.amdhsa_exception_fp_ieee_invalid_op 0
		.amdhsa_exception_fp_denorm_src 0
		.amdhsa_exception_fp_ieee_div_zero 0
		.amdhsa_exception_fp_ieee_overflow 0
		.amdhsa_exception_fp_ieee_underflow 0
		.amdhsa_exception_fp_ieee_inexact 0
		.amdhsa_exception_int_div_zero 0
	.end_amdhsa_kernel
	.section	.text._ZL24rocblas_dot_kernel_magsqIlLb0ELi512ELi2ELb0E19rocblas_complex_numIfEPKS1_S1_EviT5_lT_liPT6_PT4_,"axG",@progbits,_ZL24rocblas_dot_kernel_magsqIlLb0ELi512ELi2ELb0E19rocblas_complex_numIfEPKS1_S1_EviT5_lT_liPT6_PT4_,comdat
.Lfunc_end91:
	.size	_ZL24rocblas_dot_kernel_magsqIlLb0ELi512ELi2ELb0E19rocblas_complex_numIfEPKS1_S1_EviT5_lT_liPT6_PT4_, .Lfunc_end91-_ZL24rocblas_dot_kernel_magsqIlLb0ELi512ELi2ELb0E19rocblas_complex_numIfEPKS1_S1_EviT5_lT_liPT6_PT4_
                                        ; -- End function
	.section	.AMDGPU.csdata,"",@progbits
; Kernel info:
; codeLenInByte = 1116
; NumSgprs: 20
; NumVgprs: 11
; ScratchSize: 0
; MemoryBound: 0
; FloatMode: 240
; IeeeMode: 1
; LDSByteSize: 256 bytes/workgroup (compile time only)
; SGPRBlocks: 2
; VGPRBlocks: 1
; NumSGPRsForWavesPerEU: 20
; NumVGPRsForWavesPerEU: 11
; Occupancy: 16
; WaveLimiterHint : 0
; COMPUTE_PGM_RSRC2:SCRATCH_EN: 0
; COMPUTE_PGM_RSRC2:USER_SGPR: 14
; COMPUTE_PGM_RSRC2:TRAP_HANDLER: 0
; COMPUTE_PGM_RSRC2:TGID_X_EN: 1
; COMPUTE_PGM_RSRC2:TGID_Y_EN: 0
; COMPUTE_PGM_RSRC2:TGID_Z_EN: 1
; COMPUTE_PGM_RSRC2:TIDIG_COMP_CNT: 0
	.section	.text._ZL28rocblas_dot_batched_4_kernelIiLi32ELi4ELb0E19rocblas_complex_numIdES1_PKS1_EviT5_lT_lS4_lS5_liPT4_,"axG",@progbits,_ZL28rocblas_dot_batched_4_kernelIiLi32ELi4ELb0E19rocblas_complex_numIdES1_PKS1_EviT5_lT_lS4_lS5_liPT4_,comdat
	.globl	_ZL28rocblas_dot_batched_4_kernelIiLi32ELi4ELb0E19rocblas_complex_numIdES1_PKS1_EviT5_lT_lS4_lS5_liPT4_ ; -- Begin function _ZL28rocblas_dot_batched_4_kernelIiLi32ELi4ELb0E19rocblas_complex_numIdES1_PKS1_EviT5_lT_lS4_lS5_liPT4_
	.p2align	8
	.type	_ZL28rocblas_dot_batched_4_kernelIiLi32ELi4ELb0E19rocblas_complex_numIdES1_PKS1_EviT5_lT_lS4_lS5_liPT4_,@function
_ZL28rocblas_dot_batched_4_kernelIiLi32ELi4ELb0E19rocblas_complex_numIdES1_PKS1_EviT5_lT_lS4_lS5_liPT4_: ; @_ZL28rocblas_dot_batched_4_kernelIiLi32ELi4ELb0E19rocblas_complex_numIdES1_PKS1_EviT5_lT_lS4_lS5_liPT4_
; %bb.0:
	s_load_b32 s2, s[0:1], 0x48
	v_bfe_u32 v1, v0, 10, 10
	s_delay_alu instid0(VALU_DEP_1) | instskip(SKIP_1) | instid1(VALU_DEP_1)
	v_lshl_add_u32 v1, s15, 2, v1
	s_waitcnt lgkmcnt(0)
	v_cmp_gt_u32_e32 vcc_lo, s2, v1
	s_and_saveexec_b32 s2, vcc_lo
	s_cbranch_execz .LBB92_7
; %bb.1:
	s_clause 0x1
	s_load_b32 s10, s[0:1], 0x0
	s_load_b64 s[8:9], s[0:1], 0x50
	v_dual_mov_b32 v3, 0 :: v_dual_and_b32 v0, 0x3ff, v0
	v_mov_b32_e32 v4, 0
	v_mov_b32_e32 v2, 0
	s_mov_b32 s11, exec_lo
	s_delay_alu instid0(VALU_DEP_2)
	v_dual_mov_b32 v6, v4 :: v_dual_mov_b32 v5, v3
	s_waitcnt lgkmcnt(0)
	v_cmpx_gt_i32_e64 s10, v0
	s_cbranch_execz .LBB92_5
; %bb.2:
	s_clause 0x5
	s_load_b64 s[12:13], s[0:1], 0x40
	s_load_b128 s[4:7], s[0:1], 0x20
	s_load_b32 s14, s[0:1], 0x18
	s_load_b32 s16, s[0:1], 0x38
	s_load_b64 s[18:19], s[0:1], 0x30
	s_load_b128 s[0:3], s[0:1], 0x8
	v_mov_b32_e32 v11, v0
	s_waitcnt lgkmcnt(0)
	v_mad_u64_u32 v[5:6], null, s12, v1, 0
	v_mad_u64_u32 v[7:8], null, s4, v1, 0
	v_mad_i64_i32 v[9:10], null, s16, v0, 0
	s_ashr_i32 s15, s14, 31
	s_ashr_i32 s17, s16, 31
	s_delay_alu instid0(VALU_DEP_2) | instskip(NEXT) | instid1(VALU_DEP_2)
	v_mad_u64_u32 v[12:13], null, s13, v1, v[6:7]
	v_mad_u64_u32 v[13:14], null, s5, v1, v[8:9]
	v_mov_b32_e32 v3, 0
	v_mad_i64_i32 v[14:15], null, s14, v0, 0
	v_mov_b32_e32 v4, 0
	v_mov_b32_e32 v6, v12
	v_lshlrev_b64 v[9:10], 4, v[9:10]
	v_mov_b32_e32 v8, v13
	s_lshl_b64 s[12:13], s[18:19], 4
	s_delay_alu instid0(VALU_DEP_3) | instskip(SKIP_1) | instid1(VALU_DEP_3)
	v_lshlrev_b64 v[5:6], 4, v[5:6]
	v_lshlrev_b64 v[12:13], 4, v[14:15]
	;; [unrolled: 1-line block ×3, first 2 shown]
	s_add_u32 s6, s6, s12
	s_addc_u32 s7, s7, s13
	s_lshl_b64 s[2:3], s[2:3], 4
	v_add_co_u32 v5, vcc_lo, v9, v5
	v_add_co_ci_u32_e32 v6, vcc_lo, v10, v6, vcc_lo
	v_add_co_u32 v7, vcc_lo, v12, v7
	v_add_co_ci_u32_e32 v8, vcc_lo, v13, v8, vcc_lo
	s_lshl_b64 s[4:5], s[16:17], 9
	v_add_co_u32 v5, vcc_lo, s6, v5
	s_add_u32 s0, s0, s2
	v_add_co_ci_u32_e32 v6, vcc_lo, s7, v6, vcc_lo
	s_addc_u32 s1, s1, s3
	v_add_co_u32 v9, vcc_lo, s0, v7
	v_add_co_ci_u32_e32 v10, vcc_lo, s1, v8, vcc_lo
	v_add_co_u32 v7, vcc_lo, v5, 8
	v_add_co_ci_u32_e32 v8, vcc_lo, 0, v6, vcc_lo
	s_delay_alu instid0(VALU_DEP_4)
	v_add_co_u32 v9, vcc_lo, v9, 8
	v_dual_mov_b32 v6, v4 :: v_dual_mov_b32 v5, v3
	v_add_co_ci_u32_e32 v10, vcc_lo, 0, v10, vcc_lo
	s_lshl_b64 s[2:3], s[14:15], 9
	s_mov_b32 s1, 0
	.p2align	6
.LBB92_3:                               ; =>This Inner Loop Header: Depth=1
	global_load_b128 v[12:15], v[9:10], off offset:-8
	global_load_b128 v[16:19], v[7:8], off offset:-8
	v_add_nc_u32_e32 v11, 32, v11
	v_add_co_u32 v7, vcc_lo, v7, s4
	v_add_co_ci_u32_e32 v8, vcc_lo, s5, v8, vcc_lo
	s_delay_alu instid0(VALU_DEP_3) | instskip(SKIP_1) | instid1(VALU_DEP_1)
	v_cmp_le_i32_e32 vcc_lo, s10, v11
	v_add_co_u32 v9, s0, v9, s2
	v_add_co_ci_u32_e64 v10, s0, s3, v10, s0
	s_or_b32 s1, vcc_lo, s1
	s_waitcnt vmcnt(0)
	v_mul_f64 v[20:21], v[14:15], v[18:19]
	v_mul_f64 v[18:19], v[12:13], v[18:19]
	s_delay_alu instid0(VALU_DEP_2) | instskip(NEXT) | instid1(VALU_DEP_2)
	v_fma_f64 v[12:13], v[12:13], v[16:17], -v[20:21]
	v_fma_f64 v[14:15], v[14:15], v[16:17], v[18:19]
	s_delay_alu instid0(VALU_DEP_2) | instskip(NEXT) | instid1(VALU_DEP_2)
	v_add_f64 v[3:4], v[3:4], v[12:13]
	v_add_f64 v[5:6], v[5:6], v[14:15]
	s_and_not1_b32 exec_lo, exec_lo, s1
	s_cbranch_execnz .LBB92_3
; %bb.4:
	s_or_b32 exec_lo, exec_lo, s1
.LBB92_5:
	s_delay_alu instid0(SALU_CYCLE_1)
	s_or_b32 exec_lo, exec_lo, s11
	v_mbcnt_lo_u32_b32 v11, -1, 0
	s_barrier
	buffer_gl0_inv
	v_cmp_gt_u32_e32 vcc_lo, 16, v11
	v_cndmask_b32_e64 v7, 0, 1, vcc_lo
	v_cmp_gt_u32_e32 vcc_lo, 24, v11
	s_delay_alu instid0(VALU_DEP_2) | instskip(NEXT) | instid1(VALU_DEP_1)
	v_lshlrev_b32_e32 v7, 4, v7
	v_add_lshl_u32 v10, v7, v11, 2
	ds_bpermute_b32 v7, v10, v3
	ds_bpermute_b32 v8, v10, v4
	;; [unrolled: 1-line block ×4, first 2 shown]
	s_waitcnt lgkmcnt(2)
	v_add_f64 v[3:4], v[3:4], v[7:8]
	v_cndmask_b32_e64 v7, 0, 1, vcc_lo
	s_waitcnt lgkmcnt(0)
	v_add_f64 v[5:6], v[5:6], v[9:10]
	v_cmp_gt_u32_e32 vcc_lo, 28, v11
	s_delay_alu instid0(VALU_DEP_3) | instskip(NEXT) | instid1(VALU_DEP_1)
	v_lshlrev_b32_e32 v7, 3, v7
	v_add_lshl_u32 v10, v7, v11, 2
	ds_bpermute_b32 v7, v10, v3
	ds_bpermute_b32 v8, v10, v4
	;; [unrolled: 1-line block ×4, first 2 shown]
	s_waitcnt lgkmcnt(2)
	v_add_f64 v[3:4], v[3:4], v[7:8]
	v_cndmask_b32_e64 v7, 0, 1, vcc_lo
	s_waitcnt lgkmcnt(0)
	v_add_f64 v[5:6], v[5:6], v[9:10]
	v_cmp_gt_u32_e32 vcc_lo, 30, v11
	s_delay_alu instid0(VALU_DEP_3) | instskip(NEXT) | instid1(VALU_DEP_1)
	v_lshlrev_b32_e32 v7, 2, v7
	v_add_lshl_u32 v10, v7, v11, 2
	ds_bpermute_b32 v7, v10, v3
	ds_bpermute_b32 v8, v10, v4
	;; [unrolled: 1-line block ×4, first 2 shown]
	s_waitcnt lgkmcnt(2)
	v_add_f64 v[3:4], v[3:4], v[7:8]
	v_cndmask_b32_e64 v7, 0, 1, vcc_lo
	s_waitcnt lgkmcnt(0)
	v_add_f64 v[5:6], v[5:6], v[9:10]
	v_cmp_ne_u32_e32 vcc_lo, 31, v11
	s_delay_alu instid0(VALU_DEP_3) | instskip(NEXT) | instid1(VALU_DEP_1)
	v_lshlrev_b32_e32 v7, 1, v7
	v_add_lshl_u32 v10, v7, v11, 2
	ds_bpermute_b32 v7, v10, v3
	ds_bpermute_b32 v8, v10, v4
	;; [unrolled: 1-line block ×4, first 2 shown]
	s_waitcnt lgkmcnt(2)
	v_add_f64 v[3:4], v[3:4], v[7:8]
	s_waitcnt lgkmcnt(0)
	v_add_f64 v[7:8], v[5:6], v[9:10]
	v_add_co_ci_u32_e32 v5, vcc_lo, 0, v11, vcc_lo
	v_cmp_eq_u32_e32 vcc_lo, 0, v0
	s_delay_alu instid0(VALU_DEP_2)
	v_lshlrev_b32_e32 v10, 2, v5
	ds_bpermute_b32 v5, v10, v3
	ds_bpermute_b32 v6, v10, v4
	;; [unrolled: 1-line block ×4, first 2 shown]
	s_and_b32 exec_lo, exec_lo, vcc_lo
	s_cbranch_execz .LBB92_7
; %bb.6:
	s_waitcnt lgkmcnt(0)
	v_add_f64 v[7:8], v[7:8], v[9:10]
	v_add_f64 v[5:6], v[3:4], v[5:6]
	v_lshlrev_b64 v[0:1], 4, v[1:2]
	s_delay_alu instid0(VALU_DEP_1) | instskip(NEXT) | instid1(VALU_DEP_2)
	v_add_co_u32 v0, vcc_lo, s8, v0
	v_add_co_ci_u32_e32 v1, vcc_lo, s9, v1, vcc_lo
	global_store_b128 v[0:1], v[5:8], off
.LBB92_7:
	s_nop 0
	s_sendmsg sendmsg(MSG_DEALLOC_VGPRS)
	s_endpgm
	.section	.rodata,"a",@progbits
	.p2align	6, 0x0
	.amdhsa_kernel _ZL28rocblas_dot_batched_4_kernelIiLi32ELi4ELb0E19rocblas_complex_numIdES1_PKS1_EviT5_lT_lS4_lS5_liPT4_
		.amdhsa_group_segment_fixed_size 0
		.amdhsa_private_segment_fixed_size 0
		.amdhsa_kernarg_size 88
		.amdhsa_user_sgpr_count 15
		.amdhsa_user_sgpr_dispatch_ptr 0
		.amdhsa_user_sgpr_queue_ptr 0
		.amdhsa_user_sgpr_kernarg_segment_ptr 1
		.amdhsa_user_sgpr_dispatch_id 0
		.amdhsa_user_sgpr_private_segment_size 0
		.amdhsa_wavefront_size32 1
		.amdhsa_uses_dynamic_stack 0
		.amdhsa_enable_private_segment 0
		.amdhsa_system_sgpr_workgroup_id_x 1
		.amdhsa_system_sgpr_workgroup_id_y 0
		.amdhsa_system_sgpr_workgroup_id_z 0
		.amdhsa_system_sgpr_workgroup_info 0
		.amdhsa_system_vgpr_workitem_id 1
		.amdhsa_next_free_vgpr 22
		.amdhsa_next_free_sgpr 20
		.amdhsa_reserve_vcc 1
		.amdhsa_float_round_mode_32 0
		.amdhsa_float_round_mode_16_64 0
		.amdhsa_float_denorm_mode_32 3
		.amdhsa_float_denorm_mode_16_64 3
		.amdhsa_dx10_clamp 1
		.amdhsa_ieee_mode 1
		.amdhsa_fp16_overflow 0
		.amdhsa_workgroup_processor_mode 1
		.amdhsa_memory_ordered 1
		.amdhsa_forward_progress 0
		.amdhsa_shared_vgpr_count 0
		.amdhsa_exception_fp_ieee_invalid_op 0
		.amdhsa_exception_fp_denorm_src 0
		.amdhsa_exception_fp_ieee_div_zero 0
		.amdhsa_exception_fp_ieee_overflow 0
		.amdhsa_exception_fp_ieee_underflow 0
		.amdhsa_exception_fp_ieee_inexact 0
		.amdhsa_exception_int_div_zero 0
	.end_amdhsa_kernel
	.section	.text._ZL28rocblas_dot_batched_4_kernelIiLi32ELi4ELb0E19rocblas_complex_numIdES1_PKS1_EviT5_lT_lS4_lS5_liPT4_,"axG",@progbits,_ZL28rocblas_dot_batched_4_kernelIiLi32ELi4ELb0E19rocblas_complex_numIdES1_PKS1_EviT5_lT_lS4_lS5_liPT4_,comdat
.Lfunc_end92:
	.size	_ZL28rocblas_dot_batched_4_kernelIiLi32ELi4ELb0E19rocblas_complex_numIdES1_PKS1_EviT5_lT_lS4_lS5_liPT4_, .Lfunc_end92-_ZL28rocblas_dot_batched_4_kernelIiLi32ELi4ELb0E19rocblas_complex_numIdES1_PKS1_EviT5_lT_lS4_lS5_liPT4_
                                        ; -- End function
	.section	.AMDGPU.csdata,"",@progbits
; Kernel info:
; codeLenInByte = 1028
; NumSgprs: 22
; NumVgprs: 22
; ScratchSize: 0
; MemoryBound: 0
; FloatMode: 240
; IeeeMode: 1
; LDSByteSize: 0 bytes/workgroup (compile time only)
; SGPRBlocks: 2
; VGPRBlocks: 2
; NumSGPRsForWavesPerEU: 22
; NumVGPRsForWavesPerEU: 22
; Occupancy: 16
; WaveLimiterHint : 0
; COMPUTE_PGM_RSRC2:SCRATCH_EN: 0
; COMPUTE_PGM_RSRC2:USER_SGPR: 15
; COMPUTE_PGM_RSRC2:TRAP_HANDLER: 0
; COMPUTE_PGM_RSRC2:TGID_X_EN: 1
; COMPUTE_PGM_RSRC2:TGID_Y_EN: 0
; COMPUTE_PGM_RSRC2:TGID_Z_EN: 0
; COMPUTE_PGM_RSRC2:TIDIG_COMP_CNT: 1
	.section	.text._ZL28rocblas_dot_batched_4_kernelIiLi64ELi4ELb0E19rocblas_complex_numIdES1_PKS1_EviT5_lT_lS4_lS5_liPT4_,"axG",@progbits,_ZL28rocblas_dot_batched_4_kernelIiLi64ELi4ELb0E19rocblas_complex_numIdES1_PKS1_EviT5_lT_lS4_lS5_liPT4_,comdat
	.globl	_ZL28rocblas_dot_batched_4_kernelIiLi64ELi4ELb0E19rocblas_complex_numIdES1_PKS1_EviT5_lT_lS4_lS5_liPT4_ ; -- Begin function _ZL28rocblas_dot_batched_4_kernelIiLi64ELi4ELb0E19rocblas_complex_numIdES1_PKS1_EviT5_lT_lS4_lS5_liPT4_
	.p2align	8
	.type	_ZL28rocblas_dot_batched_4_kernelIiLi64ELi4ELb0E19rocblas_complex_numIdES1_PKS1_EviT5_lT_lS4_lS5_liPT4_,@function
_ZL28rocblas_dot_batched_4_kernelIiLi64ELi4ELb0E19rocblas_complex_numIdES1_PKS1_EviT5_lT_lS4_lS5_liPT4_: ; @_ZL28rocblas_dot_batched_4_kernelIiLi64ELi4ELb0E19rocblas_complex_numIdES1_PKS1_EviT5_lT_lS4_lS5_liPT4_
; %bb.0:
	s_load_b32 s2, s[0:1], 0x48
	v_bfe_u32 v1, v0, 10, 10
	s_delay_alu instid0(VALU_DEP_1) | instskip(SKIP_1) | instid1(VALU_DEP_1)
	v_lshl_add_u32 v1, s15, 2, v1
	s_waitcnt lgkmcnt(0)
	v_cmp_gt_u32_e32 vcc_lo, s2, v1
	s_and_saveexec_b32 s2, vcc_lo
	s_cbranch_execz .LBB93_7
; %bb.1:
	s_clause 0x1
	s_load_b32 s10, s[0:1], 0x0
	s_load_b64 s[8:9], s[0:1], 0x50
	v_dual_mov_b32 v3, 0 :: v_dual_and_b32 v0, 0x3ff, v0
	v_mov_b32_e32 v4, 0
	v_mov_b32_e32 v2, 0
	s_mov_b32 s11, exec_lo
	s_delay_alu instid0(VALU_DEP_2)
	v_dual_mov_b32 v6, v4 :: v_dual_mov_b32 v5, v3
	s_waitcnt lgkmcnt(0)
	v_cmpx_gt_i32_e64 s10, v0
	s_cbranch_execz .LBB93_5
; %bb.2:
	s_clause 0x5
	s_load_b64 s[12:13], s[0:1], 0x40
	s_load_b128 s[4:7], s[0:1], 0x20
	s_load_b32 s14, s[0:1], 0x18
	s_load_b32 s16, s[0:1], 0x38
	s_load_b64 s[18:19], s[0:1], 0x30
	s_load_b128 s[0:3], s[0:1], 0x8
	v_mov_b32_e32 v11, v0
	s_waitcnt lgkmcnt(0)
	v_mad_u64_u32 v[5:6], null, s12, v1, 0
	v_mad_u64_u32 v[7:8], null, s4, v1, 0
	v_mad_i64_i32 v[9:10], null, s16, v0, 0
	s_ashr_i32 s15, s14, 31
	s_ashr_i32 s17, s16, 31
	s_delay_alu instid0(VALU_DEP_2) | instskip(NEXT) | instid1(VALU_DEP_2)
	v_mad_u64_u32 v[12:13], null, s13, v1, v[6:7]
	v_mad_u64_u32 v[13:14], null, s5, v1, v[8:9]
	v_mov_b32_e32 v3, 0
	v_mad_i64_i32 v[14:15], null, s14, v0, 0
	v_mov_b32_e32 v4, 0
	v_mov_b32_e32 v6, v12
	v_lshlrev_b64 v[9:10], 4, v[9:10]
	v_mov_b32_e32 v8, v13
	s_lshl_b64 s[12:13], s[18:19], 4
	s_delay_alu instid0(VALU_DEP_3) | instskip(SKIP_1) | instid1(VALU_DEP_3)
	v_lshlrev_b64 v[5:6], 4, v[5:6]
	v_lshlrev_b64 v[12:13], 4, v[14:15]
	;; [unrolled: 1-line block ×3, first 2 shown]
	s_add_u32 s6, s6, s12
	s_addc_u32 s7, s7, s13
	s_lshl_b64 s[2:3], s[2:3], 4
	v_add_co_u32 v5, vcc_lo, v9, v5
	v_add_co_ci_u32_e32 v6, vcc_lo, v10, v6, vcc_lo
	v_add_co_u32 v7, vcc_lo, v12, v7
	v_add_co_ci_u32_e32 v8, vcc_lo, v13, v8, vcc_lo
	s_lshl_b64 s[4:5], s[16:17], 10
	v_add_co_u32 v5, vcc_lo, s6, v5
	s_add_u32 s0, s0, s2
	v_add_co_ci_u32_e32 v6, vcc_lo, s7, v6, vcc_lo
	s_addc_u32 s1, s1, s3
	v_add_co_u32 v9, vcc_lo, s0, v7
	v_add_co_ci_u32_e32 v10, vcc_lo, s1, v8, vcc_lo
	v_add_co_u32 v7, vcc_lo, v5, 8
	v_add_co_ci_u32_e32 v8, vcc_lo, 0, v6, vcc_lo
	s_delay_alu instid0(VALU_DEP_4)
	v_add_co_u32 v9, vcc_lo, v9, 8
	v_dual_mov_b32 v6, v4 :: v_dual_mov_b32 v5, v3
	v_add_co_ci_u32_e32 v10, vcc_lo, 0, v10, vcc_lo
	s_lshl_b64 s[2:3], s[14:15], 10
	s_mov_b32 s1, 0
	.p2align	6
.LBB93_3:                               ; =>This Inner Loop Header: Depth=1
	global_load_b128 v[12:15], v[9:10], off offset:-8
	global_load_b128 v[16:19], v[7:8], off offset:-8
	v_add_nc_u32_e32 v11, 64, v11
	v_add_co_u32 v7, vcc_lo, v7, s4
	v_add_co_ci_u32_e32 v8, vcc_lo, s5, v8, vcc_lo
	s_delay_alu instid0(VALU_DEP_3) | instskip(SKIP_1) | instid1(VALU_DEP_1)
	v_cmp_le_i32_e32 vcc_lo, s10, v11
	v_add_co_u32 v9, s0, v9, s2
	v_add_co_ci_u32_e64 v10, s0, s3, v10, s0
	s_or_b32 s1, vcc_lo, s1
	s_waitcnt vmcnt(0)
	v_mul_f64 v[20:21], v[14:15], v[18:19]
	v_mul_f64 v[18:19], v[12:13], v[18:19]
	s_delay_alu instid0(VALU_DEP_2) | instskip(NEXT) | instid1(VALU_DEP_2)
	v_fma_f64 v[12:13], v[12:13], v[16:17], -v[20:21]
	v_fma_f64 v[14:15], v[14:15], v[16:17], v[18:19]
	s_delay_alu instid0(VALU_DEP_2) | instskip(NEXT) | instid1(VALU_DEP_2)
	v_add_f64 v[3:4], v[3:4], v[12:13]
	v_add_f64 v[5:6], v[5:6], v[14:15]
	s_and_not1_b32 exec_lo, exec_lo, s1
	s_cbranch_execnz .LBB93_3
; %bb.4:
	s_or_b32 exec_lo, exec_lo, s1
.LBB93_5:
	s_delay_alu instid0(SALU_CYCLE_1)
	s_or_b32 exec_lo, exec_lo, s11
	v_mbcnt_lo_u32_b32 v11, -1, 0
	s_barrier
	buffer_gl0_inv
	v_lshlrev_b32_e32 v10, 2, v11
	v_cmp_gt_u32_e32 vcc_lo, 16, v11
	ds_bpermute_b32 v7, v10, v3
	ds_bpermute_b32 v8, v10, v4
	ds_bpermute_b32 v9, v10, v5
	ds_bpermute_b32 v10, v10, v6
	s_waitcnt lgkmcnt(2)
	v_add_f64 v[3:4], v[3:4], v[7:8]
	v_cndmask_b32_e64 v7, 0, 1, vcc_lo
	s_waitcnt lgkmcnt(0)
	v_add_f64 v[5:6], v[5:6], v[9:10]
	v_cmp_gt_u32_e32 vcc_lo, 24, v11
	s_delay_alu instid0(VALU_DEP_3) | instskip(NEXT) | instid1(VALU_DEP_1)
	v_lshlrev_b32_e32 v7, 4, v7
	v_add_lshl_u32 v10, v7, v11, 2
	ds_bpermute_b32 v7, v10, v3
	ds_bpermute_b32 v8, v10, v4
	ds_bpermute_b32 v9, v10, v5
	ds_bpermute_b32 v10, v10, v6
	s_waitcnt lgkmcnt(2)
	v_add_f64 v[3:4], v[3:4], v[7:8]
	v_cndmask_b32_e64 v7, 0, 1, vcc_lo
	s_waitcnt lgkmcnt(0)
	v_add_f64 v[5:6], v[5:6], v[9:10]
	v_cmp_gt_u32_e32 vcc_lo, 28, v11
	s_delay_alu instid0(VALU_DEP_3) | instskip(NEXT) | instid1(VALU_DEP_1)
	v_lshlrev_b32_e32 v7, 3, v7
	v_add_lshl_u32 v10, v7, v11, 2
	;; [unrolled: 13-line block ×3, first 2 shown]
	ds_bpermute_b32 v7, v10, v3
	ds_bpermute_b32 v8, v10, v4
	;; [unrolled: 1-line block ×4, first 2 shown]
	s_waitcnt lgkmcnt(2)
	v_add_f64 v[3:4], v[3:4], v[7:8]
	v_cndmask_b32_e64 v7, 0, 1, vcc_lo
	s_waitcnt lgkmcnt(0)
	v_add_f64 v[5:6], v[5:6], v[9:10]
	v_cmp_ne_u32_e32 vcc_lo, 31, v11
	s_delay_alu instid0(VALU_DEP_3) | instskip(NEXT) | instid1(VALU_DEP_1)
	v_lshlrev_b32_e32 v7, 1, v7
	v_add_lshl_u32 v10, v7, v11, 2
	ds_bpermute_b32 v7, v10, v3
	ds_bpermute_b32 v8, v10, v4
	;; [unrolled: 1-line block ×4, first 2 shown]
	s_waitcnt lgkmcnt(2)
	v_add_f64 v[3:4], v[3:4], v[7:8]
	s_waitcnt lgkmcnt(0)
	v_add_f64 v[7:8], v[5:6], v[9:10]
	v_add_co_ci_u32_e32 v5, vcc_lo, 0, v11, vcc_lo
	v_cmp_eq_u32_e32 vcc_lo, 0, v0
	s_delay_alu instid0(VALU_DEP_2)
	v_lshlrev_b32_e32 v10, 2, v5
	ds_bpermute_b32 v5, v10, v3
	ds_bpermute_b32 v6, v10, v4
	;; [unrolled: 1-line block ×4, first 2 shown]
	s_and_b32 exec_lo, exec_lo, vcc_lo
	s_cbranch_execz .LBB93_7
; %bb.6:
	s_waitcnt lgkmcnt(0)
	v_add_f64 v[7:8], v[7:8], v[9:10]
	v_add_f64 v[5:6], v[3:4], v[5:6]
	v_lshlrev_b64 v[0:1], 4, v[1:2]
	s_delay_alu instid0(VALU_DEP_1) | instskip(NEXT) | instid1(VALU_DEP_2)
	v_add_co_u32 v0, vcc_lo, s8, v0
	v_add_co_ci_u32_e32 v1, vcc_lo, s9, v1, vcc_lo
	global_store_b128 v[0:1], v[5:8], off
.LBB93_7:
	s_nop 0
	s_sendmsg sendmsg(MSG_DEALLOC_VGPRS)
	s_endpgm
	.section	.rodata,"a",@progbits
	.p2align	6, 0x0
	.amdhsa_kernel _ZL28rocblas_dot_batched_4_kernelIiLi64ELi4ELb0E19rocblas_complex_numIdES1_PKS1_EviT5_lT_lS4_lS5_liPT4_
		.amdhsa_group_segment_fixed_size 0
		.amdhsa_private_segment_fixed_size 0
		.amdhsa_kernarg_size 88
		.amdhsa_user_sgpr_count 15
		.amdhsa_user_sgpr_dispatch_ptr 0
		.amdhsa_user_sgpr_queue_ptr 0
		.amdhsa_user_sgpr_kernarg_segment_ptr 1
		.amdhsa_user_sgpr_dispatch_id 0
		.amdhsa_user_sgpr_private_segment_size 0
		.amdhsa_wavefront_size32 1
		.amdhsa_uses_dynamic_stack 0
		.amdhsa_enable_private_segment 0
		.amdhsa_system_sgpr_workgroup_id_x 1
		.amdhsa_system_sgpr_workgroup_id_y 0
		.amdhsa_system_sgpr_workgroup_id_z 0
		.amdhsa_system_sgpr_workgroup_info 0
		.amdhsa_system_vgpr_workitem_id 1
		.amdhsa_next_free_vgpr 22
		.amdhsa_next_free_sgpr 20
		.amdhsa_reserve_vcc 1
		.amdhsa_float_round_mode_32 0
		.amdhsa_float_round_mode_16_64 0
		.amdhsa_float_denorm_mode_32 3
		.amdhsa_float_denorm_mode_16_64 3
		.amdhsa_dx10_clamp 1
		.amdhsa_ieee_mode 1
		.amdhsa_fp16_overflow 0
		.amdhsa_workgroup_processor_mode 1
		.amdhsa_memory_ordered 1
		.amdhsa_forward_progress 0
		.amdhsa_shared_vgpr_count 0
		.amdhsa_exception_fp_ieee_invalid_op 0
		.amdhsa_exception_fp_denorm_src 0
		.amdhsa_exception_fp_ieee_div_zero 0
		.amdhsa_exception_fp_ieee_overflow 0
		.amdhsa_exception_fp_ieee_underflow 0
		.amdhsa_exception_fp_ieee_inexact 0
		.amdhsa_exception_int_div_zero 0
	.end_amdhsa_kernel
	.section	.text._ZL28rocblas_dot_batched_4_kernelIiLi64ELi4ELb0E19rocblas_complex_numIdES1_PKS1_EviT5_lT_lS4_lS5_liPT4_,"axG",@progbits,_ZL28rocblas_dot_batched_4_kernelIiLi64ELi4ELb0E19rocblas_complex_numIdES1_PKS1_EviT5_lT_lS4_lS5_liPT4_,comdat
.Lfunc_end93:
	.size	_ZL28rocblas_dot_batched_4_kernelIiLi64ELi4ELb0E19rocblas_complex_numIdES1_PKS1_EviT5_lT_lS4_lS5_liPT4_, .Lfunc_end93-_ZL28rocblas_dot_batched_4_kernelIiLi64ELi4ELb0E19rocblas_complex_numIdES1_PKS1_EviT5_lT_lS4_lS5_liPT4_
                                        ; -- End function
	.section	.AMDGPU.csdata,"",@progbits
; Kernel info:
; codeLenInByte = 1088
; NumSgprs: 22
; NumVgprs: 22
; ScratchSize: 0
; MemoryBound: 0
; FloatMode: 240
; IeeeMode: 1
; LDSByteSize: 0 bytes/workgroup (compile time only)
; SGPRBlocks: 2
; VGPRBlocks: 2
; NumSGPRsForWavesPerEU: 22
; NumVGPRsForWavesPerEU: 22
; Occupancy: 16
; WaveLimiterHint : 0
; COMPUTE_PGM_RSRC2:SCRATCH_EN: 0
; COMPUTE_PGM_RSRC2:USER_SGPR: 15
; COMPUTE_PGM_RSRC2:TRAP_HANDLER: 0
; COMPUTE_PGM_RSRC2:TGID_X_EN: 1
; COMPUTE_PGM_RSRC2:TGID_Y_EN: 0
; COMPUTE_PGM_RSRC2:TGID_Z_EN: 0
; COMPUTE_PGM_RSRC2:TIDIG_COMP_CNT: 1
	.section	.text._ZL26rocblas_dot_kernel_inc1by2ILb1ELi1024ELi32ELb0E19rocblas_complex_numIdEPKS1_S1_EviT4_llS4_lliPT5_PT3_,"axG",@progbits,_ZL26rocblas_dot_kernel_inc1by2ILb1ELi1024ELi32ELb0E19rocblas_complex_numIdEPKS1_S1_EviT4_llS4_lliPT5_PT3_,comdat
	.globl	_ZL26rocblas_dot_kernel_inc1by2ILb1ELi1024ELi32ELb0E19rocblas_complex_numIdEPKS1_S1_EviT4_llS4_lliPT5_PT3_ ; -- Begin function _ZL26rocblas_dot_kernel_inc1by2ILb1ELi1024ELi32ELb0E19rocblas_complex_numIdEPKS1_S1_EviT4_llS4_lliPT5_PT3_
	.p2align	8
	.type	_ZL26rocblas_dot_kernel_inc1by2ILb1ELi1024ELi32ELb0E19rocblas_complex_numIdEPKS1_S1_EviT4_llS4_lliPT5_PT3_,@function
_ZL26rocblas_dot_kernel_inc1by2ILb1ELi1024ELi32ELb0E19rocblas_complex_numIdEPKS1_S1_EviT4_llS4_lliPT5_PT3_: ; @_ZL26rocblas_dot_kernel_inc1by2ILb1ELi1024ELi32ELb0E19rocblas_complex_numIdEPKS1_S1_EviT4_llS4_lliPT5_PT3_
; %bb.0:
	s_clause 0x1
	s_load_b32 s14, s[0:1], 0x0
	s_load_b64 s[2:3], s[0:1], 0x48
	v_mov_b32_e32 v1, 0
	v_mov_b32_e32 v2, 0
	s_mov_b32 s12, s15
	s_mov_b32 s13, 0
	s_mov_b32 s15, exec_lo
	s_delay_alu instid0(VALU_DEP_1)
	v_dual_mov_b32 v4, v2 :: v_dual_mov_b32 v3, v1
	s_waitcnt lgkmcnt(0)
	v_cmpx_gt_i32_e64 s14, v0
	s_cbranch_execz .LBB94_4
; %bb.1:
	s_clause 0x3
	s_load_b128 s[8:11], s[0:1], 0x28
	s_load_b128 s[4:7], s[0:1], 0x10
	s_load_b64 s[16:17], s[0:1], 0x20
	s_load_b64 s[0:1], s[0:1], 0x8
	v_lshlrev_b32_e32 v3, 4, v0
	v_mov_b32_e32 v1, 0
	v_mov_b32_e32 v2, 0
	v_or_b32_e32 v9, 0x400, v0
	s_waitcnt lgkmcnt(0)
	s_mul_i32 s11, s11, s12
	s_mul_hi_u32 s18, s10, s12
	s_mul_i32 s10, s10, s12
	s_add_i32 s11, s18, s11
	s_lshl_b64 s[8:9], s[8:9], 4
	s_lshl_b64 s[10:11], s[10:11], 4
	s_mul_i32 s7, s7, s12
	s_add_u32 s8, s10, s8
	s_mul_hi_u32 s18, s6, s12
	s_addc_u32 s9, s11, s9
	s_add_u32 s8, s16, s8
	s_mul_i32 s6, s6, s12
	s_addc_u32 s9, s17, s9
	s_add_i32 s7, s18, s7
	s_lshl_b64 s[4:5], s[4:5], 4
	s_lshl_b64 s[6:7], s[6:7], 4
	v_add_co_u32 v4, s8, s8, v3
	s_add_u32 s4, s6, s4
	s_addc_u32 s5, s7, s5
	s_add_u32 s0, s0, s4
	v_add_co_ci_u32_e64 v6, null, s9, 0, s8
	s_addc_u32 s1, s1, s5
	v_add_co_u32 v3, s0, s0, v3
	s_delay_alu instid0(VALU_DEP_1) | instskip(SKIP_2) | instid1(VALU_DEP_4)
	v_add_co_ci_u32_e64 v8, null, s1, 0, s0
	v_add_co_u32 v5, vcc_lo, v4, 8
	v_add_co_ci_u32_e32 v6, vcc_lo, 0, v6, vcc_lo
	v_add_co_u32 v7, vcc_lo, v3, 8
	s_delay_alu instid0(VALU_DEP_4)
	v_add_co_ci_u32_e32 v8, vcc_lo, 0, v8, vcc_lo
	v_dual_mov_b32 v4, v2 :: v_dual_mov_b32 v3, v1
	s_mov_b32 s1, s13
	s_mov_b32 s4, s13
	s_set_inst_prefetch_distance 0x1
	.p2align	6
.LBB94_2:                               ; =>This Inner Loop Header: Depth=1
	global_load_b128 v[10:13], v[5:6], off offset:-8
	global_load_b128 v[14:17], v[7:8], off offset:-8
	s_add_i32 s5, s4, 1
	v_cmp_le_i32_e32 vcc_lo, s14, v9
	v_add_co_u32 v5, s0, 0x4000, v5
	s_cmp_gt_u32 s4, 30
	v_add_co_ci_u32_e64 v6, s0, 0, v6, s0
	s_cselect_b32 s4, -1, 0
	v_add_co_u32 v7, s0, 0x4000, v7
	s_or_b32 s4, s4, vcc_lo
	v_add_nc_u32_e32 v9, 0x400, v9
	v_add_co_ci_u32_e64 v8, vcc_lo, 0, v8, s0
	s_and_b32 s0, exec_lo, s4
	s_mov_b32 s4, s5
	s_or_b32 s1, s0, s1
	s_waitcnt vmcnt(0)
	v_mul_f64 v[18:19], v[12:13], v[16:17]
	v_mul_f64 v[16:17], v[10:11], v[16:17]
	s_delay_alu instid0(VALU_DEP_2) | instskip(NEXT) | instid1(VALU_DEP_2)
	v_fma_f64 v[10:11], v[10:11], v[14:15], -v[18:19]
	v_fma_f64 v[12:13], v[12:13], v[14:15], v[16:17]
	s_delay_alu instid0(VALU_DEP_2) | instskip(NEXT) | instid1(VALU_DEP_2)
	v_add_f64 v[3:4], v[3:4], v[10:11]
	v_add_f64 v[1:2], v[1:2], v[12:13]
	s_and_not1_b32 exec_lo, exec_lo, s1
	s_cbranch_execnz .LBB94_2
; %bb.3:
	s_set_inst_prefetch_distance 0x2
	s_or_b32 exec_lo, exec_lo, s1
.LBB94_4:
	s_delay_alu instid0(SALU_CYCLE_1) | instskip(SKIP_2) | instid1(VALU_DEP_2)
	s_or_b32 exec_lo, exec_lo, s15
	v_and_b32_e32 v15, 31, v0
	v_cmp_gt_u32_e32 vcc_lo, 32, v0
	v_lshlrev_b32_e32 v11, 4, v15
	s_and_saveexec_b32 s0, vcc_lo
	s_cbranch_execz .LBB94_6
; %bb.5:
	v_mov_b32_e32 v5, 0
	s_delay_alu instid0(VALU_DEP_1)
	v_mov_b32_e32 v6, v5
	v_mov_b32_e32 v7, v5
	;; [unrolled: 1-line block ×3, first 2 shown]
	ds_store_b128 v11, v[5:8]
.LBB94_6:
	s_or_b32 exec_lo, exec_lo, s0
	v_mbcnt_lo_u32_b32 v14, -1, 0
	s_mov_b32 s1, exec_lo
	s_waitcnt lgkmcnt(0)
	s_barrier
	buffer_gl0_inv
	v_cmp_gt_u32_e64 s0, 16, v14
	s_delay_alu instid0(VALU_DEP_1) | instskip(SKIP_1) | instid1(VALU_DEP_2)
	v_cndmask_b32_e64 v5, 0, 1, s0
	v_cmp_gt_u32_e64 s0, 24, v14
	v_lshlrev_b32_e32 v5, 4, v5
	s_delay_alu instid0(VALU_DEP_1)
	v_add_lshl_u32 v9, v5, v14, 2
	ds_bpermute_b32 v5, v9, v3
	ds_bpermute_b32 v6, v9, v4
	;; [unrolled: 1-line block ×4, first 2 shown]
	s_waitcnt lgkmcnt(2)
	v_add_f64 v[3:4], v[3:4], v[5:6]
	v_cndmask_b32_e64 v5, 0, 1, s0
	s_waitcnt lgkmcnt(0)
	v_add_f64 v[1:2], v[1:2], v[7:8]
	v_cmp_gt_u32_e64 s0, 28, v14
	s_delay_alu instid0(VALU_DEP_3) | instskip(NEXT) | instid1(VALU_DEP_1)
	v_lshlrev_b32_e32 v5, 3, v5
	v_add_lshl_u32 v10, v5, v14, 2
	ds_bpermute_b32 v5, v10, v3
	ds_bpermute_b32 v6, v10, v4
	;; [unrolled: 1-line block ×4, first 2 shown]
	s_waitcnt lgkmcnt(2)
	v_add_f64 v[3:4], v[3:4], v[5:6]
	v_cndmask_b32_e64 v5, 0, 1, s0
	s_waitcnt lgkmcnt(0)
	v_add_f64 v[1:2], v[1:2], v[7:8]
	v_cmp_gt_u32_e64 s0, 30, v14
	s_delay_alu instid0(VALU_DEP_3) | instskip(NEXT) | instid1(VALU_DEP_1)
	v_lshlrev_b32_e32 v5, 2, v5
	v_add_lshl_u32 v12, v5, v14, 2
	ds_bpermute_b32 v5, v12, v3
	ds_bpermute_b32 v6, v12, v4
	;; [unrolled: 1-line block ×4, first 2 shown]
	s_waitcnt lgkmcnt(2)
	v_add_f64 v[3:4], v[3:4], v[5:6]
	s_waitcnt lgkmcnt(0)
	v_add_f64 v[5:6], v[1:2], v[7:8]
	v_cndmask_b32_e64 v1, 0, 1, s0
	v_cmp_ne_u32_e64 s0, 31, v14
	s_delay_alu instid0(VALU_DEP_2) | instskip(NEXT) | instid1(VALU_DEP_1)
	v_lshlrev_b32_e32 v1, 1, v1
	v_add_lshl_u32 v13, v1, v14, 2
	ds_bpermute_b32 v1, v13, v3
	ds_bpermute_b32 v2, v13, v4
	;; [unrolled: 1-line block ×4, first 2 shown]
	s_waitcnt lgkmcnt(2)
	v_add_f64 v[1:2], v[3:4], v[1:2]
	v_add_co_ci_u32_e64 v3, s0, 0, v14, s0
	s_waitcnt lgkmcnt(0)
	v_add_f64 v[5:6], v[5:6], v[7:8]
	s_delay_alu instid0(VALU_DEP_2)
	v_lshlrev_b32_e32 v14, 2, v3
	ds_bpermute_b32 v3, v14, v1
	ds_bpermute_b32 v4, v14, v2
	ds_bpermute_b32 v7, v14, v5
	ds_bpermute_b32 v8, v14, v6
	v_cmpx_eq_u32_e32 0, v15
	s_cbranch_execz .LBB94_8
; %bb.7:
	s_waitcnt lgkmcnt(0)
	v_add_f64 v[5:6], v[5:6], v[7:8]
	v_add_f64 v[3:4], v[1:2], v[3:4]
	v_lshrrev_b32_e32 v1, 1, v0
	s_delay_alu instid0(VALU_DEP_1)
	v_and_b32_e32 v1, 0x1f0, v1
	ds_store_b128 v1, v[3:6]
.LBB94_8:
	s_or_b32 exec_lo, exec_lo, s1
	s_waitcnt lgkmcnt(2)
	v_mov_b32_e32 v3, 0
	v_mov_b32_e32 v4, 0
	s_delay_alu instid0(VALU_DEP_2)
	v_mov_b32_e32 v1, v3
	s_waitcnt lgkmcnt(0)
	s_barrier
	buffer_gl0_inv
	v_mov_b32_e32 v2, v4
	s_and_saveexec_b32 s0, vcc_lo
	s_cbranch_execz .LBB94_10
; %bb.9:
	ds_load_b128 v[1:4], v11
.LBB94_10:
	s_or_b32 exec_lo, exec_lo, s0
	s_and_saveexec_b32 s0, vcc_lo
	s_cbranch_execz .LBB94_12
; %bb.11:
	s_waitcnt lgkmcnt(0)
	ds_bpermute_b32 v5, v9, v1
	ds_bpermute_b32 v6, v9, v2
	ds_bpermute_b32 v7, v9, v3
	ds_bpermute_b32 v8, v9, v4
	s_waitcnt lgkmcnt(2)
	v_add_f64 v[1:2], v[1:2], v[5:6]
	s_waitcnt lgkmcnt(0)
	v_add_f64 v[3:4], v[3:4], v[7:8]
	ds_bpermute_b32 v5, v10, v1
	ds_bpermute_b32 v6, v10, v2
	ds_bpermute_b32 v7, v10, v3
	ds_bpermute_b32 v8, v10, v4
	s_waitcnt lgkmcnt(2)
	v_add_f64 v[1:2], v[1:2], v[5:6]
	s_waitcnt lgkmcnt(0)
	v_add_f64 v[3:4], v[3:4], v[7:8]
	;; [unrolled: 8-line block ×5, first 2 shown]
.LBB94_12:
	s_or_b32 exec_lo, exec_lo, s0
	s_delay_alu instid0(SALU_CYCLE_1)
	s_mov_b32 s0, exec_lo
	v_cmpx_eq_u32_e32 0, v0
	s_cbranch_execz .LBB94_14
; %bb.13:
	s_lshl_b64 s[0:1], s[12:13], 4
	v_mov_b32_e32 v0, 0
	s_add_u32 s0, s2, s0
	s_addc_u32 s1, s3, s1
	s_waitcnt lgkmcnt(0)
	global_store_b128 v0, v[1:4], s[0:1]
.LBB94_14:
	s_nop 0
	s_sendmsg sendmsg(MSG_DEALLOC_VGPRS)
	s_endpgm
	.section	.rodata,"a",@progbits
	.p2align	6, 0x0
	.amdhsa_kernel _ZL26rocblas_dot_kernel_inc1by2ILb1ELi1024ELi32ELb0E19rocblas_complex_numIdEPKS1_S1_EviT4_llS4_lliPT5_PT3_
		.amdhsa_group_segment_fixed_size 512
		.amdhsa_private_segment_fixed_size 0
		.amdhsa_kernarg_size 80
		.amdhsa_user_sgpr_count 14
		.amdhsa_user_sgpr_dispatch_ptr 0
		.amdhsa_user_sgpr_queue_ptr 0
		.amdhsa_user_sgpr_kernarg_segment_ptr 1
		.amdhsa_user_sgpr_dispatch_id 0
		.amdhsa_user_sgpr_private_segment_size 0
		.amdhsa_wavefront_size32 1
		.amdhsa_uses_dynamic_stack 0
		.amdhsa_enable_private_segment 0
		.amdhsa_system_sgpr_workgroup_id_x 1
		.amdhsa_system_sgpr_workgroup_id_y 0
		.amdhsa_system_sgpr_workgroup_id_z 1
		.amdhsa_system_sgpr_workgroup_info 0
		.amdhsa_system_vgpr_workitem_id 0
		.amdhsa_next_free_vgpr 20
		.amdhsa_next_free_sgpr 19
		.amdhsa_reserve_vcc 1
		.amdhsa_float_round_mode_32 0
		.amdhsa_float_round_mode_16_64 0
		.amdhsa_float_denorm_mode_32 3
		.amdhsa_float_denorm_mode_16_64 3
		.amdhsa_dx10_clamp 1
		.amdhsa_ieee_mode 1
		.amdhsa_fp16_overflow 0
		.amdhsa_workgroup_processor_mode 1
		.amdhsa_memory_ordered 1
		.amdhsa_forward_progress 0
		.amdhsa_shared_vgpr_count 0
		.amdhsa_exception_fp_ieee_invalid_op 0
		.amdhsa_exception_fp_denorm_src 0
		.amdhsa_exception_fp_ieee_div_zero 0
		.amdhsa_exception_fp_ieee_overflow 0
		.amdhsa_exception_fp_ieee_underflow 0
		.amdhsa_exception_fp_ieee_inexact 0
		.amdhsa_exception_int_div_zero 0
	.end_amdhsa_kernel
	.section	.text._ZL26rocblas_dot_kernel_inc1by2ILb1ELi1024ELi32ELb0E19rocblas_complex_numIdEPKS1_S1_EviT4_llS4_lliPT5_PT3_,"axG",@progbits,_ZL26rocblas_dot_kernel_inc1by2ILb1ELi1024ELi32ELb0E19rocblas_complex_numIdEPKS1_S1_EviT4_llS4_lliPT5_PT3_,comdat
.Lfunc_end94:
	.size	_ZL26rocblas_dot_kernel_inc1by2ILb1ELi1024ELi32ELb0E19rocblas_complex_numIdEPKS1_S1_EviT4_llS4_lliPT5_PT3_, .Lfunc_end94-_ZL26rocblas_dot_kernel_inc1by2ILb1ELi1024ELi32ELb0E19rocblas_complex_numIdEPKS1_S1_EviT4_llS4_lliPT5_PT3_
                                        ; -- End function
	.section	.AMDGPU.csdata,"",@progbits
; Kernel info:
; codeLenInByte = 1432
; NumSgprs: 21
; NumVgprs: 20
; ScratchSize: 0
; MemoryBound: 0
; FloatMode: 240
; IeeeMode: 1
; LDSByteSize: 512 bytes/workgroup (compile time only)
; SGPRBlocks: 2
; VGPRBlocks: 2
; NumSGPRsForWavesPerEU: 21
; NumVGPRsForWavesPerEU: 20
; Occupancy: 16
; WaveLimiterHint : 0
; COMPUTE_PGM_RSRC2:SCRATCH_EN: 0
; COMPUTE_PGM_RSRC2:USER_SGPR: 14
; COMPUTE_PGM_RSRC2:TRAP_HANDLER: 0
; COMPUTE_PGM_RSRC2:TGID_X_EN: 1
; COMPUTE_PGM_RSRC2:TGID_Y_EN: 0
; COMPUTE_PGM_RSRC2:TGID_Z_EN: 1
; COMPUTE_PGM_RSRC2:TIDIG_COMP_CNT: 0
	.section	.text._ZL18rocblas_dot_kernelIiLb1ELi1024ELi32ELb0E19rocblas_complex_numIdEPKS1_S1_EviT5_lT_lS4_lS5_liPT6_PT4_,"axG",@progbits,_ZL18rocblas_dot_kernelIiLb1ELi1024ELi32ELb0E19rocblas_complex_numIdEPKS1_S1_EviT5_lT_lS4_lS5_liPT6_PT4_,comdat
	.globl	_ZL18rocblas_dot_kernelIiLb1ELi1024ELi32ELb0E19rocblas_complex_numIdEPKS1_S1_EviT5_lT_lS4_lS5_liPT6_PT4_ ; -- Begin function _ZL18rocblas_dot_kernelIiLb1ELi1024ELi32ELb0E19rocblas_complex_numIdEPKS1_S1_EviT5_lT_lS4_lS5_liPT6_PT4_
	.p2align	8
	.type	_ZL18rocblas_dot_kernelIiLb1ELi1024ELi32ELb0E19rocblas_complex_numIdEPKS1_S1_EviT5_lT_lS4_lS5_liPT6_PT4_,@function
_ZL18rocblas_dot_kernelIiLb1ELi1024ELi32ELb0E19rocblas_complex_numIdEPKS1_S1_EviT5_lT_lS4_lS5_liPT6_PT4_: ; @_ZL18rocblas_dot_kernelIiLb1ELi1024ELi32ELb0E19rocblas_complex_numIdEPKS1_S1_EviT5_lT_lS4_lS5_liPT6_PT4_
; %bb.0:
	s_clause 0x1
	s_load_b32 s10, s[0:1], 0x0
	s_load_b64 s[2:3], s[0:1], 0x58
	v_mov_b32_e32 v1, 0
	v_mov_b32_e32 v2, 0
	s_mov_b32 s8, s15
	s_mov_b32 s9, 0
	s_mov_b32 s11, exec_lo
	s_delay_alu instid0(VALU_DEP_1)
	v_dual_mov_b32 v4, v2 :: v_dual_mov_b32 v3, v1
	s_waitcnt lgkmcnt(0)
	v_cmpx_gt_i32_e64 s10, v0
	s_cbranch_execz .LBB95_4
; %bb.1:
	s_clause 0x6
	s_load_b32 s20, s[0:1], 0x60
	s_load_b128 s[4:7], s[0:1], 0x20
	s_load_b32 s22, s[0:1], 0x18
	s_load_b128 s[12:15], s[0:1], 0x8
	s_load_b64 s[16:17], s[0:1], 0x40
	s_load_b32 s23, s[0:1], 0x38
	s_load_b64 s[18:19], s[0:1], 0x30
	s_waitcnt lgkmcnt(0)
	s_lshl_b32 s1, s20, 10
	s_mul_i32 s0, s5, s8
	v_mad_i64_i32 v[1:2], null, s22, v0, 0
	s_mul_hi_u32 s5, s4, s8
	s_mul_i32 s4, s4, s8
	s_add_i32 s5, s5, s0
	s_lshl_b64 s[14:15], s[14:15], 4
	s_lshl_b64 s[4:5], s[4:5], 4
	s_add_u32 s0, s12, s14
	s_delay_alu instid0(VALU_DEP_1) | instskip(SKIP_4) | instid1(VALU_DEP_2)
	v_lshlrev_b64 v[1:2], 4, v[1:2]
	s_addc_u32 s12, s13, s15
	s_add_u32 s0, s0, s4
	v_mad_i64_i32 v[3:4], null, s23, v0, 0
	s_addc_u32 s12, s12, s5
	v_add_co_u32 v1, vcc_lo, s0, v1
	v_add_co_ci_u32_e32 v2, vcc_lo, s12, v2, vcc_lo
	s_mul_i32 s17, s17, s8
	s_mul_hi_u32 s24, s16, s8
	s_delay_alu instid0(VALU_DEP_2)
	v_add_co_u32 v5, vcc_lo, v1, 8
	s_mul_i32 s16, s16, s8
	s_mul_hi_i32 s21, s22, s1
	s_mul_i32 s20, s22, s1
	s_add_i32 s17, s24, s17
	v_add_co_ci_u32_e32 v6, vcc_lo, 0, v2, vcc_lo
	s_lshl_b64 s[14:15], s[18:19], 4
	v_lshlrev_b64 v[1:2], 4, v[3:4]
	s_lshl_b64 s[4:5], s[20:21], 4
	s_lshl_b64 s[12:13], s[16:17], 4
	s_add_u32 s0, s6, s14
	s_addc_u32 s6, s7, s15
	s_add_u32 s0, s0, s12
	s_addc_u32 s6, s6, s13
	v_add_co_u32 v3, vcc_lo, s0, v1
	v_add_co_ci_u32_e32 v4, vcc_lo, s6, v2, vcc_lo
	v_mov_b32_e32 v1, 0
	v_mov_b32_e32 v2, 0
	s_delay_alu instid0(VALU_DEP_4) | instskip(SKIP_2) | instid1(VALU_DEP_4)
	v_add_co_u32 v7, vcc_lo, v3, 8
	v_or_b32_e32 v9, s1, v0
	v_add_co_ci_u32_e32 v8, vcc_lo, 0, v4, vcc_lo
	v_dual_mov_b32 v4, v2 :: v_dual_mov_b32 v3, v1
	s_mul_hi_i32 s7, s23, s1
	s_mul_i32 s6, s23, s1
	s_mov_b32 s12, s9
	s_lshl_b64 s[6:7], s[6:7], 4
	s_mov_b32 s13, s9
	s_set_inst_prefetch_distance 0x1
	.p2align	6
.LBB95_2:                               ; =>This Inner Loop Header: Depth=1
	global_load_b128 v[10:13], v[7:8], off offset:-8
	global_load_b128 v[14:17], v[5:6], off offset:-8
	s_add_i32 s14, s13, 1
	v_cmp_le_i32_e32 vcc_lo, s10, v9
	v_add_co_u32 v5, s0, v5, s4
	s_cmp_gt_u32 s13, 30
	v_add_co_ci_u32_e64 v6, s0, s5, v6, s0
	s_cselect_b32 s13, -1, 0
	v_add_co_u32 v7, s0, v7, s6
	s_or_b32 s13, s13, vcc_lo
	v_add_nc_u32_e32 v9, s1, v9
	v_add_co_ci_u32_e64 v8, vcc_lo, s7, v8, s0
	s_and_b32 s0, exec_lo, s13
	s_mov_b32 s13, s14
	s_or_b32 s12, s0, s12
	s_waitcnt vmcnt(0)
	v_mul_f64 v[18:19], v[12:13], v[16:17]
	v_mul_f64 v[16:17], v[10:11], v[16:17]
	s_delay_alu instid0(VALU_DEP_2) | instskip(NEXT) | instid1(VALU_DEP_2)
	v_fma_f64 v[10:11], v[10:11], v[14:15], -v[18:19]
	v_fma_f64 v[12:13], v[12:13], v[14:15], v[16:17]
	s_delay_alu instid0(VALU_DEP_2) | instskip(NEXT) | instid1(VALU_DEP_2)
	v_add_f64 v[3:4], v[3:4], v[10:11]
	v_add_f64 v[1:2], v[1:2], v[12:13]
	s_and_not1_b32 exec_lo, exec_lo, s12
	s_cbranch_execnz .LBB95_2
; %bb.3:
	s_set_inst_prefetch_distance 0x2
	s_or_b32 exec_lo, exec_lo, s12
.LBB95_4:
	s_delay_alu instid0(SALU_CYCLE_1) | instskip(SKIP_2) | instid1(VALU_DEP_2)
	s_or_b32 exec_lo, exec_lo, s11
	v_and_b32_e32 v15, 31, v0
	v_cmp_gt_u32_e32 vcc_lo, 32, v0
	v_lshlrev_b32_e32 v11, 4, v15
	s_and_saveexec_b32 s0, vcc_lo
	s_cbranch_execz .LBB95_6
; %bb.5:
	v_mov_b32_e32 v5, 0
	s_delay_alu instid0(VALU_DEP_1)
	v_mov_b32_e32 v6, v5
	v_mov_b32_e32 v7, v5
	;; [unrolled: 1-line block ×3, first 2 shown]
	ds_store_b128 v11, v[5:8]
.LBB95_6:
	s_or_b32 exec_lo, exec_lo, s0
	v_mbcnt_lo_u32_b32 v14, -1, 0
	s_mov_b32 s1, exec_lo
	s_waitcnt lgkmcnt(0)
	s_barrier
	buffer_gl0_inv
	v_cmp_gt_u32_e64 s0, 16, v14
	s_delay_alu instid0(VALU_DEP_1) | instskip(SKIP_1) | instid1(VALU_DEP_2)
	v_cndmask_b32_e64 v5, 0, 1, s0
	v_cmp_gt_u32_e64 s0, 24, v14
	v_lshlrev_b32_e32 v5, 4, v5
	s_delay_alu instid0(VALU_DEP_1)
	v_add_lshl_u32 v9, v5, v14, 2
	ds_bpermute_b32 v5, v9, v3
	ds_bpermute_b32 v6, v9, v4
	;; [unrolled: 1-line block ×4, first 2 shown]
	s_waitcnt lgkmcnt(2)
	v_add_f64 v[3:4], v[3:4], v[5:6]
	v_cndmask_b32_e64 v5, 0, 1, s0
	s_waitcnt lgkmcnt(0)
	v_add_f64 v[1:2], v[1:2], v[7:8]
	v_cmp_gt_u32_e64 s0, 28, v14
	s_delay_alu instid0(VALU_DEP_3) | instskip(NEXT) | instid1(VALU_DEP_1)
	v_lshlrev_b32_e32 v5, 3, v5
	v_add_lshl_u32 v10, v5, v14, 2
	ds_bpermute_b32 v5, v10, v3
	ds_bpermute_b32 v6, v10, v4
	;; [unrolled: 1-line block ×4, first 2 shown]
	s_waitcnt lgkmcnt(2)
	v_add_f64 v[3:4], v[3:4], v[5:6]
	v_cndmask_b32_e64 v5, 0, 1, s0
	s_waitcnt lgkmcnt(0)
	v_add_f64 v[1:2], v[1:2], v[7:8]
	v_cmp_gt_u32_e64 s0, 30, v14
	s_delay_alu instid0(VALU_DEP_3) | instskip(NEXT) | instid1(VALU_DEP_1)
	v_lshlrev_b32_e32 v5, 2, v5
	v_add_lshl_u32 v12, v5, v14, 2
	ds_bpermute_b32 v5, v12, v3
	ds_bpermute_b32 v6, v12, v4
	;; [unrolled: 1-line block ×4, first 2 shown]
	s_waitcnt lgkmcnt(2)
	v_add_f64 v[3:4], v[3:4], v[5:6]
	s_waitcnt lgkmcnt(0)
	v_add_f64 v[5:6], v[1:2], v[7:8]
	v_cndmask_b32_e64 v1, 0, 1, s0
	v_cmp_ne_u32_e64 s0, 31, v14
	s_delay_alu instid0(VALU_DEP_2) | instskip(NEXT) | instid1(VALU_DEP_1)
	v_lshlrev_b32_e32 v1, 1, v1
	v_add_lshl_u32 v13, v1, v14, 2
	ds_bpermute_b32 v1, v13, v3
	ds_bpermute_b32 v2, v13, v4
	;; [unrolled: 1-line block ×4, first 2 shown]
	s_waitcnt lgkmcnt(2)
	v_add_f64 v[1:2], v[3:4], v[1:2]
	v_add_co_ci_u32_e64 v3, s0, 0, v14, s0
	s_waitcnt lgkmcnt(0)
	v_add_f64 v[5:6], v[5:6], v[7:8]
	s_delay_alu instid0(VALU_DEP_2)
	v_lshlrev_b32_e32 v14, 2, v3
	ds_bpermute_b32 v3, v14, v1
	ds_bpermute_b32 v4, v14, v2
	ds_bpermute_b32 v7, v14, v5
	ds_bpermute_b32 v8, v14, v6
	v_cmpx_eq_u32_e32 0, v15
	s_cbranch_execz .LBB95_8
; %bb.7:
	s_waitcnt lgkmcnt(0)
	v_add_f64 v[5:6], v[5:6], v[7:8]
	v_add_f64 v[3:4], v[1:2], v[3:4]
	v_lshrrev_b32_e32 v1, 1, v0
	s_delay_alu instid0(VALU_DEP_1)
	v_and_b32_e32 v1, 0x1f0, v1
	ds_store_b128 v1, v[3:6]
.LBB95_8:
	s_or_b32 exec_lo, exec_lo, s1
	s_waitcnt lgkmcnt(2)
	v_mov_b32_e32 v3, 0
	v_mov_b32_e32 v4, 0
	s_delay_alu instid0(VALU_DEP_2)
	v_mov_b32_e32 v1, v3
	s_waitcnt lgkmcnt(0)
	s_barrier
	buffer_gl0_inv
	v_mov_b32_e32 v2, v4
	s_and_saveexec_b32 s0, vcc_lo
	s_cbranch_execz .LBB95_10
; %bb.9:
	ds_load_b128 v[1:4], v11
.LBB95_10:
	s_or_b32 exec_lo, exec_lo, s0
	s_and_saveexec_b32 s0, vcc_lo
	s_cbranch_execz .LBB95_12
; %bb.11:
	s_waitcnt lgkmcnt(0)
	ds_bpermute_b32 v5, v9, v1
	ds_bpermute_b32 v6, v9, v2
	ds_bpermute_b32 v7, v9, v3
	ds_bpermute_b32 v8, v9, v4
	s_waitcnt lgkmcnt(2)
	v_add_f64 v[1:2], v[1:2], v[5:6]
	s_waitcnt lgkmcnt(0)
	v_add_f64 v[3:4], v[3:4], v[7:8]
	ds_bpermute_b32 v5, v10, v1
	ds_bpermute_b32 v6, v10, v2
	ds_bpermute_b32 v7, v10, v3
	ds_bpermute_b32 v8, v10, v4
	s_waitcnt lgkmcnt(2)
	v_add_f64 v[1:2], v[1:2], v[5:6]
	s_waitcnt lgkmcnt(0)
	v_add_f64 v[3:4], v[3:4], v[7:8]
	;; [unrolled: 8-line block ×5, first 2 shown]
.LBB95_12:
	s_or_b32 exec_lo, exec_lo, s0
	s_delay_alu instid0(SALU_CYCLE_1)
	s_mov_b32 s0, exec_lo
	v_cmpx_eq_u32_e32 0, v0
	s_cbranch_execz .LBB95_14
; %bb.13:
	s_lshl_b64 s[0:1], s[8:9], 4
	v_mov_b32_e32 v0, 0
	s_add_u32 s0, s2, s0
	s_addc_u32 s1, s3, s1
	s_waitcnt lgkmcnt(0)
	global_store_b128 v0, v[1:4], s[0:1]
.LBB95_14:
	s_nop 0
	s_sendmsg sendmsg(MSG_DEALLOC_VGPRS)
	s_endpgm
	.section	.rodata,"a",@progbits
	.p2align	6, 0x0
	.amdhsa_kernel _ZL18rocblas_dot_kernelIiLb1ELi1024ELi32ELb0E19rocblas_complex_numIdEPKS1_S1_EviT5_lT_lS4_lS5_liPT6_PT4_
		.amdhsa_group_segment_fixed_size 512
		.amdhsa_private_segment_fixed_size 0
		.amdhsa_kernarg_size 352
		.amdhsa_user_sgpr_count 14
		.amdhsa_user_sgpr_dispatch_ptr 0
		.amdhsa_user_sgpr_queue_ptr 0
		.amdhsa_user_sgpr_kernarg_segment_ptr 1
		.amdhsa_user_sgpr_dispatch_id 0
		.amdhsa_user_sgpr_private_segment_size 0
		.amdhsa_wavefront_size32 1
		.amdhsa_uses_dynamic_stack 0
		.amdhsa_enable_private_segment 0
		.amdhsa_system_sgpr_workgroup_id_x 1
		.amdhsa_system_sgpr_workgroup_id_y 0
		.amdhsa_system_sgpr_workgroup_id_z 1
		.amdhsa_system_sgpr_workgroup_info 0
		.amdhsa_system_vgpr_workitem_id 0
		.amdhsa_next_free_vgpr 20
		.amdhsa_next_free_sgpr 25
		.amdhsa_reserve_vcc 1
		.amdhsa_float_round_mode_32 0
		.amdhsa_float_round_mode_16_64 0
		.amdhsa_float_denorm_mode_32 3
		.amdhsa_float_denorm_mode_16_64 3
		.amdhsa_dx10_clamp 1
		.amdhsa_ieee_mode 1
		.amdhsa_fp16_overflow 0
		.amdhsa_workgroup_processor_mode 1
		.amdhsa_memory_ordered 1
		.amdhsa_forward_progress 0
		.amdhsa_shared_vgpr_count 0
		.amdhsa_exception_fp_ieee_invalid_op 0
		.amdhsa_exception_fp_denorm_src 0
		.amdhsa_exception_fp_ieee_div_zero 0
		.amdhsa_exception_fp_ieee_overflow 0
		.amdhsa_exception_fp_ieee_underflow 0
		.amdhsa_exception_fp_ieee_inexact 0
		.amdhsa_exception_int_div_zero 0
	.end_amdhsa_kernel
	.section	.text._ZL18rocblas_dot_kernelIiLb1ELi1024ELi32ELb0E19rocblas_complex_numIdEPKS1_S1_EviT5_lT_lS4_lS5_liPT6_PT4_,"axG",@progbits,_ZL18rocblas_dot_kernelIiLb1ELi1024ELi32ELb0E19rocblas_complex_numIdEPKS1_S1_EviT5_lT_lS4_lS5_liPT6_PT4_,comdat
.Lfunc_end95:
	.size	_ZL18rocblas_dot_kernelIiLb1ELi1024ELi32ELb0E19rocblas_complex_numIdEPKS1_S1_EviT5_lT_lS4_lS5_liPT6_PT4_, .Lfunc_end95-_ZL18rocblas_dot_kernelIiLb1ELi1024ELi32ELb0E19rocblas_complex_numIdEPKS1_S1_EviT5_lT_lS4_lS5_liPT6_PT4_
                                        ; -- End function
	.section	.AMDGPU.csdata,"",@progbits
; Kernel info:
; codeLenInByte = 1492
; NumSgprs: 27
; NumVgprs: 20
; ScratchSize: 0
; MemoryBound: 0
; FloatMode: 240
; IeeeMode: 1
; LDSByteSize: 512 bytes/workgroup (compile time only)
; SGPRBlocks: 3
; VGPRBlocks: 2
; NumSGPRsForWavesPerEU: 27
; NumVGPRsForWavesPerEU: 20
; Occupancy: 16
; WaveLimiterHint : 0
; COMPUTE_PGM_RSRC2:SCRATCH_EN: 0
; COMPUTE_PGM_RSRC2:USER_SGPR: 14
; COMPUTE_PGM_RSRC2:TRAP_HANDLER: 0
; COMPUTE_PGM_RSRC2:TGID_X_EN: 1
; COMPUTE_PGM_RSRC2:TGID_Y_EN: 0
; COMPUTE_PGM_RSRC2:TGID_Z_EN: 1
; COMPUTE_PGM_RSRC2:TIDIG_COMP_CNT: 0
	.section	.text._ZL24rocblas_dot_kernel_magsqIiLb1ELi1024ELi32ELb0E19rocblas_complex_numIdEPKS1_S1_EviT5_lT_liPT6_PT4_,"axG",@progbits,_ZL24rocblas_dot_kernel_magsqIiLb1ELi1024ELi32ELb0E19rocblas_complex_numIdEPKS1_S1_EviT5_lT_liPT6_PT4_,comdat
	.globl	_ZL24rocblas_dot_kernel_magsqIiLb1ELi1024ELi32ELb0E19rocblas_complex_numIdEPKS1_S1_EviT5_lT_liPT6_PT4_ ; -- Begin function _ZL24rocblas_dot_kernel_magsqIiLb1ELi1024ELi32ELb0E19rocblas_complex_numIdEPKS1_S1_EviT5_lT_liPT6_PT4_
	.p2align	8
	.type	_ZL24rocblas_dot_kernel_magsqIiLb1ELi1024ELi32ELb0E19rocblas_complex_numIdEPKS1_S1_EviT5_lT_liPT6_PT4_,@function
_ZL24rocblas_dot_kernel_magsqIiLb1ELi1024ELi32ELb0E19rocblas_complex_numIdEPKS1_S1_EviT5_lT_liPT6_PT4_: ; @_ZL24rocblas_dot_kernel_magsqIiLb1ELi1024ELi32ELb0E19rocblas_complex_numIdEPKS1_S1_EviT5_lT_liPT6_PT4_
; %bb.0:
	s_clause 0x1
	s_load_b32 s8, s[0:1], 0x0
	s_load_b64 s[2:3], s[0:1], 0x38
	v_mov_b32_e32 v1, 0
	v_mov_b32_e32 v2, 0
	s_mov_b32 s4, s15
	s_mov_b32 s5, 0
	s_mov_b32 s9, exec_lo
	s_delay_alu instid0(VALU_DEP_1)
	v_dual_mov_b32 v4, v2 :: v_dual_mov_b32 v3, v1
	s_waitcnt lgkmcnt(0)
	v_cmpx_gt_i32_e64 s8, v0
	s_cbranch_execz .LBB96_4
; %bb.1:
	s_clause 0x3
	s_load_b32 s10, s[0:1], 0x40
	s_load_b64 s[6:7], s[0:1], 0x20
	s_load_b32 s16, s[0:1], 0x18
	s_load_b128 s[12:15], s[0:1], 0x8
	v_mov_b32_e32 v1, 0
	v_mov_b32_e32 v2, 0
	s_waitcnt lgkmcnt(0)
	s_lshl_b32 s1, s10, 10
	s_mul_i32 s0, s7, s4
	v_mad_i64_i32 v[3:4], null, s16, v0, 0
	s_mul_hi_u32 s7, s6, s4
	s_mul_i32 s6, s6, s4
	s_add_i32 s7, s7, s0
	s_lshl_b64 s[10:11], s[14:15], 4
	s_lshl_b64 s[6:7], s[6:7], 4
	s_add_u32 s0, s12, s10
	s_delay_alu instid0(VALU_DEP_1)
	v_lshlrev_b64 v[3:4], 4, v[3:4]
	s_addc_u32 s10, s13, s11
	s_add_u32 s0, s0, s6
	s_addc_u32 s6, s10, s7
	v_or_b32_e32 v7, s1, v0
	s_mul_hi_i32 s15, s16, s1
	v_add_co_u32 v5, vcc_lo, s0, v3
	v_add_co_ci_u32_e32 v6, vcc_lo, s6, v4, vcc_lo
	v_dual_mov_b32 v4, v2 :: v_dual_mov_b32 v3, v1
	s_mul_i32 s14, s16, s1
	s_mov_b32 s10, s5
	s_lshl_b64 s[6:7], s[14:15], 4
	s_mov_b32 s11, s5
	.p2align	6
.LBB96_2:                               ; =>This Inner Loop Header: Depth=1
	global_load_b128 v[8:11], v[5:6], off
	s_add_i32 s12, s11, 1
	v_cmp_le_i32_e32 vcc_lo, s8, v7
	s_cmp_gt_u32 s11, 30
	v_add_co_u32 v5, s0, v5, s6
	s_cselect_b32 s11, -1, 0
	v_add_nc_u32_e32 v7, s1, v7
	s_or_b32 s11, s11, vcc_lo
	v_add_co_ci_u32_e64 v6, vcc_lo, s7, v6, s0
	s_and_b32 s0, exec_lo, s11
	s_mov_b32 s11, s12
	s_or_b32 s10, s0, s10
	s_waitcnt vmcnt(0)
	v_mul_f64 v[12:13], v[10:11], v[10:11]
	v_mul_f64 v[10:11], v[8:9], v[10:11]
	s_delay_alu instid0(VALU_DEP_2) | instskip(NEXT) | instid1(VALU_DEP_2)
	v_fma_f64 v[8:9], v[8:9], v[8:9], -v[12:13]
	v_fma_f64 v[1:2], v[10:11], 2.0, v[1:2]
	s_delay_alu instid0(VALU_DEP_2)
	v_add_f64 v[3:4], v[3:4], v[8:9]
	s_and_not1_b32 exec_lo, exec_lo, s10
	s_cbranch_execnz .LBB96_2
; %bb.3:
	s_or_b32 exec_lo, exec_lo, s10
.LBB96_4:
	s_delay_alu instid0(SALU_CYCLE_1) | instskip(SKIP_2) | instid1(VALU_DEP_2)
	s_or_b32 exec_lo, exec_lo, s9
	v_and_b32_e32 v15, 31, v0
	v_cmp_gt_u32_e32 vcc_lo, 32, v0
	v_lshlrev_b32_e32 v11, 4, v15
	s_and_saveexec_b32 s0, vcc_lo
	s_cbranch_execz .LBB96_6
; %bb.5:
	v_mov_b32_e32 v5, 0
	s_delay_alu instid0(VALU_DEP_1)
	v_mov_b32_e32 v6, v5
	v_mov_b32_e32 v7, v5
	;; [unrolled: 1-line block ×3, first 2 shown]
	ds_store_b128 v11, v[5:8]
.LBB96_6:
	s_or_b32 exec_lo, exec_lo, s0
	v_mbcnt_lo_u32_b32 v14, -1, 0
	s_mov_b32 s1, exec_lo
	s_waitcnt lgkmcnt(0)
	s_barrier
	buffer_gl0_inv
	v_cmp_gt_u32_e64 s0, 16, v14
	s_delay_alu instid0(VALU_DEP_1) | instskip(SKIP_1) | instid1(VALU_DEP_2)
	v_cndmask_b32_e64 v5, 0, 1, s0
	v_cmp_gt_u32_e64 s0, 24, v14
	v_lshlrev_b32_e32 v5, 4, v5
	s_delay_alu instid0(VALU_DEP_1)
	v_add_lshl_u32 v9, v5, v14, 2
	ds_bpermute_b32 v5, v9, v3
	ds_bpermute_b32 v6, v9, v4
	;; [unrolled: 1-line block ×4, first 2 shown]
	s_waitcnt lgkmcnt(2)
	v_add_f64 v[3:4], v[3:4], v[5:6]
	v_cndmask_b32_e64 v5, 0, 1, s0
	s_waitcnt lgkmcnt(0)
	v_add_f64 v[1:2], v[1:2], v[7:8]
	v_cmp_gt_u32_e64 s0, 28, v14
	s_delay_alu instid0(VALU_DEP_3) | instskip(NEXT) | instid1(VALU_DEP_1)
	v_lshlrev_b32_e32 v5, 3, v5
	v_add_lshl_u32 v10, v5, v14, 2
	ds_bpermute_b32 v5, v10, v3
	ds_bpermute_b32 v6, v10, v4
	;; [unrolled: 1-line block ×4, first 2 shown]
	s_waitcnt lgkmcnt(2)
	v_add_f64 v[3:4], v[3:4], v[5:6]
	v_cndmask_b32_e64 v5, 0, 1, s0
	s_waitcnt lgkmcnt(0)
	v_add_f64 v[1:2], v[1:2], v[7:8]
	v_cmp_gt_u32_e64 s0, 30, v14
	s_delay_alu instid0(VALU_DEP_3) | instskip(NEXT) | instid1(VALU_DEP_1)
	v_lshlrev_b32_e32 v5, 2, v5
	v_add_lshl_u32 v12, v5, v14, 2
	ds_bpermute_b32 v5, v12, v3
	ds_bpermute_b32 v6, v12, v4
	;; [unrolled: 1-line block ×4, first 2 shown]
	s_waitcnt lgkmcnt(2)
	v_add_f64 v[3:4], v[3:4], v[5:6]
	s_waitcnt lgkmcnt(0)
	v_add_f64 v[5:6], v[1:2], v[7:8]
	v_cndmask_b32_e64 v1, 0, 1, s0
	v_cmp_ne_u32_e64 s0, 31, v14
	s_delay_alu instid0(VALU_DEP_2) | instskip(NEXT) | instid1(VALU_DEP_1)
	v_lshlrev_b32_e32 v1, 1, v1
	v_add_lshl_u32 v13, v1, v14, 2
	ds_bpermute_b32 v1, v13, v3
	ds_bpermute_b32 v2, v13, v4
	;; [unrolled: 1-line block ×4, first 2 shown]
	s_waitcnt lgkmcnt(2)
	v_add_f64 v[1:2], v[3:4], v[1:2]
	v_add_co_ci_u32_e64 v3, s0, 0, v14, s0
	s_waitcnt lgkmcnt(0)
	v_add_f64 v[5:6], v[5:6], v[7:8]
	s_delay_alu instid0(VALU_DEP_2)
	v_lshlrev_b32_e32 v14, 2, v3
	ds_bpermute_b32 v3, v14, v1
	ds_bpermute_b32 v4, v14, v2
	;; [unrolled: 1-line block ×4, first 2 shown]
	v_cmpx_eq_u32_e32 0, v15
	s_cbranch_execz .LBB96_8
; %bb.7:
	s_waitcnt lgkmcnt(0)
	v_add_f64 v[5:6], v[5:6], v[7:8]
	v_add_f64 v[3:4], v[1:2], v[3:4]
	v_lshrrev_b32_e32 v1, 1, v0
	s_delay_alu instid0(VALU_DEP_1)
	v_and_b32_e32 v1, 0x1f0, v1
	ds_store_b128 v1, v[3:6]
.LBB96_8:
	s_or_b32 exec_lo, exec_lo, s1
	s_waitcnt lgkmcnt(2)
	v_mov_b32_e32 v3, 0
	v_mov_b32_e32 v4, 0
	s_delay_alu instid0(VALU_DEP_2)
	v_mov_b32_e32 v1, v3
	s_waitcnt lgkmcnt(0)
	s_barrier
	buffer_gl0_inv
	v_mov_b32_e32 v2, v4
	s_and_saveexec_b32 s0, vcc_lo
	s_cbranch_execz .LBB96_10
; %bb.9:
	ds_load_b128 v[1:4], v11
.LBB96_10:
	s_or_b32 exec_lo, exec_lo, s0
	s_and_saveexec_b32 s0, vcc_lo
	s_cbranch_execz .LBB96_12
; %bb.11:
	s_waitcnt lgkmcnt(0)
	ds_bpermute_b32 v5, v9, v1
	ds_bpermute_b32 v6, v9, v2
	ds_bpermute_b32 v7, v9, v3
	ds_bpermute_b32 v8, v9, v4
	s_waitcnt lgkmcnt(2)
	v_add_f64 v[1:2], v[1:2], v[5:6]
	s_waitcnt lgkmcnt(0)
	v_add_f64 v[3:4], v[3:4], v[7:8]
	ds_bpermute_b32 v5, v10, v1
	ds_bpermute_b32 v6, v10, v2
	ds_bpermute_b32 v7, v10, v3
	ds_bpermute_b32 v8, v10, v4
	s_waitcnt lgkmcnt(2)
	v_add_f64 v[1:2], v[1:2], v[5:6]
	s_waitcnt lgkmcnt(0)
	v_add_f64 v[3:4], v[3:4], v[7:8]
	;; [unrolled: 8-line block ×5, first 2 shown]
.LBB96_12:
	s_or_b32 exec_lo, exec_lo, s0
	s_delay_alu instid0(SALU_CYCLE_1)
	s_mov_b32 s0, exec_lo
	v_cmpx_eq_u32_e32 0, v0
	s_cbranch_execz .LBB96_14
; %bb.13:
	s_lshl_b64 s[0:1], s[4:5], 4
	v_mov_b32_e32 v0, 0
	s_add_u32 s0, s2, s0
	s_addc_u32 s1, s3, s1
	s_waitcnt lgkmcnt(0)
	global_store_b128 v0, v[1:4], s[0:1]
.LBB96_14:
	s_nop 0
	s_sendmsg sendmsg(MSG_DEALLOC_VGPRS)
	s_endpgm
	.section	.rodata,"a",@progbits
	.p2align	6, 0x0
	.amdhsa_kernel _ZL24rocblas_dot_kernel_magsqIiLb1ELi1024ELi32ELb0E19rocblas_complex_numIdEPKS1_S1_EviT5_lT_liPT6_PT4_
		.amdhsa_group_segment_fixed_size 512
		.amdhsa_private_segment_fixed_size 0
		.amdhsa_kernarg_size 320
		.amdhsa_user_sgpr_count 14
		.amdhsa_user_sgpr_dispatch_ptr 0
		.amdhsa_user_sgpr_queue_ptr 0
		.amdhsa_user_sgpr_kernarg_segment_ptr 1
		.amdhsa_user_sgpr_dispatch_id 0
		.amdhsa_user_sgpr_private_segment_size 0
		.amdhsa_wavefront_size32 1
		.amdhsa_uses_dynamic_stack 0
		.amdhsa_enable_private_segment 0
		.amdhsa_system_sgpr_workgroup_id_x 1
		.amdhsa_system_sgpr_workgroup_id_y 0
		.amdhsa_system_sgpr_workgroup_id_z 1
		.amdhsa_system_sgpr_workgroup_info 0
		.amdhsa_system_vgpr_workitem_id 0
		.amdhsa_next_free_vgpr 16
		.amdhsa_next_free_sgpr 17
		.amdhsa_reserve_vcc 1
		.amdhsa_float_round_mode_32 0
		.amdhsa_float_round_mode_16_64 0
		.amdhsa_float_denorm_mode_32 3
		.amdhsa_float_denorm_mode_16_64 3
		.amdhsa_dx10_clamp 1
		.amdhsa_ieee_mode 1
		.amdhsa_fp16_overflow 0
		.amdhsa_workgroup_processor_mode 1
		.amdhsa_memory_ordered 1
		.amdhsa_forward_progress 0
		.amdhsa_shared_vgpr_count 0
		.amdhsa_exception_fp_ieee_invalid_op 0
		.amdhsa_exception_fp_denorm_src 0
		.amdhsa_exception_fp_ieee_div_zero 0
		.amdhsa_exception_fp_ieee_overflow 0
		.amdhsa_exception_fp_ieee_underflow 0
		.amdhsa_exception_fp_ieee_inexact 0
		.amdhsa_exception_int_div_zero 0
	.end_amdhsa_kernel
	.section	.text._ZL24rocblas_dot_kernel_magsqIiLb1ELi1024ELi32ELb0E19rocblas_complex_numIdEPKS1_S1_EviT5_lT_liPT6_PT4_,"axG",@progbits,_ZL24rocblas_dot_kernel_magsqIiLb1ELi1024ELi32ELb0E19rocblas_complex_numIdEPKS1_S1_EviT5_lT_liPT6_PT4_,comdat
.Lfunc_end96:
	.size	_ZL24rocblas_dot_kernel_magsqIiLb1ELi1024ELi32ELb0E19rocblas_complex_numIdEPKS1_S1_EviT5_lT_liPT6_PT4_, .Lfunc_end96-_ZL24rocblas_dot_kernel_magsqIiLb1ELi1024ELi32ELb0E19rocblas_complex_numIdEPKS1_S1_EviT5_lT_liPT6_PT4_
                                        ; -- End function
	.section	.AMDGPU.csdata,"",@progbits
; Kernel info:
; codeLenInByte = 1316
; NumSgprs: 19
; NumVgprs: 16
; ScratchSize: 0
; MemoryBound: 0
; FloatMode: 240
; IeeeMode: 1
; LDSByteSize: 512 bytes/workgroup (compile time only)
; SGPRBlocks: 2
; VGPRBlocks: 1
; NumSGPRsForWavesPerEU: 19
; NumVGPRsForWavesPerEU: 16
; Occupancy: 16
; WaveLimiterHint : 0
; COMPUTE_PGM_RSRC2:SCRATCH_EN: 0
; COMPUTE_PGM_RSRC2:USER_SGPR: 14
; COMPUTE_PGM_RSRC2:TRAP_HANDLER: 0
; COMPUTE_PGM_RSRC2:TGID_X_EN: 1
; COMPUTE_PGM_RSRC2:TGID_Y_EN: 0
; COMPUTE_PGM_RSRC2:TGID_Z_EN: 1
; COMPUTE_PGM_RSRC2:TIDIG_COMP_CNT: 0
	.section	.text._ZL38rocblas_dot_kernel_gfx942_float_doubleIiLi1024E19rocblas_complex_numIdEPKS1_S1_EviT2_lT_lS4_lS5_lPT3_PT1_,"axG",@progbits,_ZL38rocblas_dot_kernel_gfx942_float_doubleIiLi1024E19rocblas_complex_numIdEPKS1_S1_EviT2_lT_lS4_lS5_lPT3_PT1_,comdat
	.globl	_ZL38rocblas_dot_kernel_gfx942_float_doubleIiLi1024E19rocblas_complex_numIdEPKS1_S1_EviT2_lT_lS4_lS5_lPT3_PT1_ ; -- Begin function _ZL38rocblas_dot_kernel_gfx942_float_doubleIiLi1024E19rocblas_complex_numIdEPKS1_S1_EviT2_lT_lS4_lS5_lPT3_PT1_
	.p2align	8
	.type	_ZL38rocblas_dot_kernel_gfx942_float_doubleIiLi1024E19rocblas_complex_numIdEPKS1_S1_EviT2_lT_lS4_lS5_lPT3_PT1_,@function
_ZL38rocblas_dot_kernel_gfx942_float_doubleIiLi1024E19rocblas_complex_numIdEPKS1_S1_EviT2_lT_lS4_lS5_lPT3_PT1_: ; @_ZL38rocblas_dot_kernel_gfx942_float_doubleIiLi1024E19rocblas_complex_numIdEPKS1_S1_EviT2_lT_lS4_lS5_lPT3_PT1_
; %bb.0:
	s_endpgm
	.section	.rodata,"a",@progbits
	.p2align	6, 0x0
	.amdhsa_kernel _ZL38rocblas_dot_kernel_gfx942_float_doubleIiLi1024E19rocblas_complex_numIdEPKS1_S1_EviT2_lT_lS4_lS5_lPT3_PT1_
		.amdhsa_group_segment_fixed_size 0
		.amdhsa_private_segment_fixed_size 0
		.amdhsa_kernarg_size 88
		.amdhsa_user_sgpr_count 15
		.amdhsa_user_sgpr_dispatch_ptr 0
		.amdhsa_user_sgpr_queue_ptr 0
		.amdhsa_user_sgpr_kernarg_segment_ptr 1
		.amdhsa_user_sgpr_dispatch_id 0
		.amdhsa_user_sgpr_private_segment_size 0
		.amdhsa_wavefront_size32 1
		.amdhsa_uses_dynamic_stack 0
		.amdhsa_enable_private_segment 0
		.amdhsa_system_sgpr_workgroup_id_x 1
		.amdhsa_system_sgpr_workgroup_id_y 0
		.amdhsa_system_sgpr_workgroup_id_z 0
		.amdhsa_system_sgpr_workgroup_info 0
		.amdhsa_system_vgpr_workitem_id 0
		.amdhsa_next_free_vgpr 1
		.amdhsa_next_free_sgpr 1
		.amdhsa_reserve_vcc 0
		.amdhsa_float_round_mode_32 0
		.amdhsa_float_round_mode_16_64 0
		.amdhsa_float_denorm_mode_32 3
		.amdhsa_float_denorm_mode_16_64 3
		.amdhsa_dx10_clamp 1
		.amdhsa_ieee_mode 1
		.amdhsa_fp16_overflow 0
		.amdhsa_workgroup_processor_mode 1
		.amdhsa_memory_ordered 1
		.amdhsa_forward_progress 0
		.amdhsa_shared_vgpr_count 0
		.amdhsa_exception_fp_ieee_invalid_op 0
		.amdhsa_exception_fp_denorm_src 0
		.amdhsa_exception_fp_ieee_div_zero 0
		.amdhsa_exception_fp_ieee_overflow 0
		.amdhsa_exception_fp_ieee_underflow 0
		.amdhsa_exception_fp_ieee_inexact 0
		.amdhsa_exception_int_div_zero 0
	.end_amdhsa_kernel
	.section	.text._ZL38rocblas_dot_kernel_gfx942_float_doubleIiLi1024E19rocblas_complex_numIdEPKS1_S1_EviT2_lT_lS4_lS5_lPT3_PT1_,"axG",@progbits,_ZL38rocblas_dot_kernel_gfx942_float_doubleIiLi1024E19rocblas_complex_numIdEPKS1_S1_EviT2_lT_lS4_lS5_lPT3_PT1_,comdat
.Lfunc_end97:
	.size	_ZL38rocblas_dot_kernel_gfx942_float_doubleIiLi1024E19rocblas_complex_numIdEPKS1_S1_EviT2_lT_lS4_lS5_lPT3_PT1_, .Lfunc_end97-_ZL38rocblas_dot_kernel_gfx942_float_doubleIiLi1024E19rocblas_complex_numIdEPKS1_S1_EviT2_lT_lS4_lS5_lPT3_PT1_
                                        ; -- End function
	.section	.AMDGPU.csdata,"",@progbits
; Kernel info:
; codeLenInByte = 4
; NumSgprs: 0
; NumVgprs: 0
; ScratchSize: 0
; MemoryBound: 0
; FloatMode: 240
; IeeeMode: 1
; LDSByteSize: 0 bytes/workgroup (compile time only)
; SGPRBlocks: 0
; VGPRBlocks: 0
; NumSGPRsForWavesPerEU: 1
; NumVGPRsForWavesPerEU: 1
; Occupancy: 16
; WaveLimiterHint : 0
; COMPUTE_PGM_RSRC2:SCRATCH_EN: 0
; COMPUTE_PGM_RSRC2:USER_SGPR: 15
; COMPUTE_PGM_RSRC2:TRAP_HANDLER: 0
; COMPUTE_PGM_RSRC2:TGID_X_EN: 1
; COMPUTE_PGM_RSRC2:TGID_Y_EN: 0
; COMPUTE_PGM_RSRC2:TGID_Z_EN: 0
; COMPUTE_PGM_RSRC2:TIDIG_COMP_CNT: 0
	.section	.text._ZL30rocblas_reduction_kernel_part2ILi1024ELi4E25rocblas_finalize_identity19rocblas_complex_numIdES2_EviPT2_PT3_,"axG",@progbits,_ZL30rocblas_reduction_kernel_part2ILi1024ELi4E25rocblas_finalize_identity19rocblas_complex_numIdES2_EviPT2_PT3_,comdat
	.globl	_ZL30rocblas_reduction_kernel_part2ILi1024ELi4E25rocblas_finalize_identity19rocblas_complex_numIdES2_EviPT2_PT3_ ; -- Begin function _ZL30rocblas_reduction_kernel_part2ILi1024ELi4E25rocblas_finalize_identity19rocblas_complex_numIdES2_EviPT2_PT3_
	.p2align	8
	.type	_ZL30rocblas_reduction_kernel_part2ILi1024ELi4E25rocblas_finalize_identity19rocblas_complex_numIdES2_EviPT2_PT3_,@function
_ZL30rocblas_reduction_kernel_part2ILi1024ELi4E25rocblas_finalize_identity19rocblas_complex_numIdES2_EviPT2_PT3_: ; @_ZL30rocblas_reduction_kernel_part2ILi1024ELi4E25rocblas_finalize_identity19rocblas_complex_numIdES2_EviPT2_PT3_
; %bb.0:
	s_clause 0x1
	s_load_b32 s10, s[0:1], 0x0
	s_load_b128 s[4:7], s[0:1], 0x8
	v_mov_b32_e32 v1, 0
	v_dual_mov_b32 v2, 0 :: v_dual_lshlrev_b32 v7, 2, v0
	s_mov_b32 s2, s15
	s_mov_b32 s3, 0
	s_mov_b32 s11, exec_lo
	s_delay_alu instid0(VALU_DEP_1)
	v_dual_mov_b32 v4, v2 :: v_dual_mov_b32 v3, v1
	s_waitcnt lgkmcnt(0)
	s_ashr_i32 s0, s10, 31
	s_mul_hi_u32 s8, s10, s15
	s_lshr_b32 s1, s0, 30
	s_mul_i32 s0, s0, s15
	s_add_i32 s1, s10, s1
	s_add_i32 s9, s8, s0
	s_and_b32 s1, s1, -4
	s_mul_i32 s8, s10, s15
	v_cmpx_gt_i32_e64 s1, v7
	s_cbranch_execz .LBB98_4
; %bb.1:
	v_lshlrev_b32_e32 v3, 6, v0
	s_lshl_b64 s[12:13], s[8:9], 4
	v_mov_b32_e32 v1, 0
	v_mov_b32_e32 v2, 0
	s_add_u32 s0, s4, s12
	s_addc_u32 s12, s5, s13
	v_add_co_u32 v3, s0, s0, v3
	s_delay_alu instid0(VALU_DEP_1) | instskip(SKIP_1) | instid1(VALU_DEP_2)
	v_add_co_ci_u32_e64 v4, null, s12, 0, s0
	s_mov_b32 s12, s3
	v_add_co_u32 v5, vcc_lo, v3, 56
	s_delay_alu instid0(VALU_DEP_2)
	v_add_co_ci_u32_e32 v6, vcc_lo, 0, v4, vcc_lo
	v_dual_mov_b32 v4, v2 :: v_dual_mov_b32 v3, v1
	s_set_inst_prefetch_distance 0x1
	.p2align	6
.LBB98_2:                               ; =>This Inner Loop Header: Depth=1
	s_clause 0x3
	global_load_b128 v[8:11], v[5:6], off offset:-56
	global_load_b128 v[12:15], v[5:6], off offset:-40
	;; [unrolled: 1-line block ×4, first 2 shown]
	v_add_nc_u32_e32 v7, 0x1000, v7
	v_add_co_u32 v5, s0, 0x10000, v5
	s_delay_alu instid0(VALU_DEP_1) | instskip(NEXT) | instid1(VALU_DEP_3)
	v_add_co_ci_u32_e64 v6, s0, 0, v6, s0
	v_cmp_le_i32_e32 vcc_lo, s1, v7
	s_or_b32 s12, vcc_lo, s12
	s_waitcnt vmcnt(3)
	v_add_f64 v[3:4], v[3:4], v[8:9]
	v_add_f64 v[1:2], v[1:2], v[10:11]
	s_waitcnt vmcnt(2)
	s_delay_alu instid0(VALU_DEP_2) | instskip(NEXT) | instid1(VALU_DEP_2)
	v_add_f64 v[3:4], v[3:4], v[12:13]
	v_add_f64 v[1:2], v[1:2], v[14:15]
	s_waitcnt vmcnt(1)
	s_delay_alu instid0(VALU_DEP_2) | instskip(NEXT) | instid1(VALU_DEP_2)
	;; [unrolled: 4-line block ×3, first 2 shown]
	v_add_f64 v[3:4], v[3:4], v[20:21]
	v_add_f64 v[1:2], v[1:2], v[22:23]
	s_and_not1_b32 exec_lo, exec_lo, s12
	s_cbranch_execnz .LBB98_2
; %bb.3:
	s_set_inst_prefetch_distance 0x2
	s_or_b32 exec_lo, exec_lo, s12
.LBB98_4:
	s_delay_alu instid0(SALU_CYCLE_1) | instskip(SKIP_1) | instid1(SALU_CYCLE_1)
	s_or_b32 exec_lo, exec_lo, s11
	s_sub_i32 s0, s10, s1
	v_cmp_gt_u32_e32 vcc_lo, s0, v0
	s_and_saveexec_b32 s0, vcc_lo
	s_cbranch_execz .LBB98_6
; %bb.5:
	v_xad_u32 v5, v0, -1, s10
	v_mov_b32_e32 v6, 0
	s_lshl_b64 s[8:9], s[8:9], 4
	s_delay_alu instid0(SALU_CYCLE_1) | instskip(SKIP_1) | instid1(VALU_DEP_1)
	s_add_u32 s1, s4, s8
	s_addc_u32 s4, s5, s9
	v_lshlrev_b64 v[5:6], 4, v[5:6]
	s_delay_alu instid0(VALU_DEP_1) | instskip(NEXT) | instid1(VALU_DEP_2)
	v_add_co_u32 v5, vcc_lo, s1, v5
	v_add_co_ci_u32_e32 v6, vcc_lo, s4, v6, vcc_lo
	global_load_b128 v[5:8], v[5:6], off
	s_waitcnt vmcnt(0)
	v_add_f64 v[3:4], v[3:4], v[5:6]
	v_add_f64 v[1:2], v[1:2], v[7:8]
.LBB98_6:
	s_or_b32 exec_lo, exec_lo, s0
	v_and_b32_e32 v15, 31, v0
	v_cmp_gt_u32_e32 vcc_lo, 32, v0
	s_delay_alu instid0(VALU_DEP_2)
	v_lshlrev_b32_e32 v11, 4, v15
	s_and_saveexec_b32 s0, vcc_lo
	s_cbranch_execz .LBB98_8
; %bb.7:
	v_mov_b32_e32 v5, 0
	s_delay_alu instid0(VALU_DEP_1)
	v_mov_b32_e32 v6, v5
	v_mov_b32_e32 v7, v5
	;; [unrolled: 1-line block ×3, first 2 shown]
	ds_store_b128 v11, v[5:8]
.LBB98_8:
	s_or_b32 exec_lo, exec_lo, s0
	v_mbcnt_lo_u32_b32 v14, -1, 0
	s_mov_b32 s1, exec_lo
	s_waitcnt lgkmcnt(0)
	s_barrier
	buffer_gl0_inv
	v_cmp_gt_u32_e64 s0, 16, v14
	s_delay_alu instid0(VALU_DEP_1) | instskip(SKIP_1) | instid1(VALU_DEP_2)
	v_cndmask_b32_e64 v5, 0, 1, s0
	v_cmp_gt_u32_e64 s0, 24, v14
	v_lshlrev_b32_e32 v5, 4, v5
	s_delay_alu instid0(VALU_DEP_1)
	v_add_lshl_u32 v9, v5, v14, 2
	ds_bpermute_b32 v5, v9, v3
	ds_bpermute_b32 v6, v9, v4
	ds_bpermute_b32 v7, v9, v1
	ds_bpermute_b32 v8, v9, v2
	s_waitcnt lgkmcnt(2)
	v_add_f64 v[3:4], v[3:4], v[5:6]
	v_cndmask_b32_e64 v5, 0, 1, s0
	s_waitcnt lgkmcnt(0)
	v_add_f64 v[1:2], v[1:2], v[7:8]
	v_cmp_gt_u32_e64 s0, 28, v14
	s_delay_alu instid0(VALU_DEP_3) | instskip(NEXT) | instid1(VALU_DEP_1)
	v_lshlrev_b32_e32 v5, 3, v5
	v_add_lshl_u32 v10, v5, v14, 2
	ds_bpermute_b32 v5, v10, v3
	ds_bpermute_b32 v6, v10, v4
	;; [unrolled: 1-line block ×4, first 2 shown]
	s_waitcnt lgkmcnt(2)
	v_add_f64 v[3:4], v[3:4], v[5:6]
	v_cndmask_b32_e64 v5, 0, 1, s0
	s_waitcnt lgkmcnt(0)
	v_add_f64 v[1:2], v[1:2], v[7:8]
	v_cmp_gt_u32_e64 s0, 30, v14
	s_delay_alu instid0(VALU_DEP_3) | instskip(NEXT) | instid1(VALU_DEP_1)
	v_lshlrev_b32_e32 v5, 2, v5
	v_add_lshl_u32 v12, v5, v14, 2
	ds_bpermute_b32 v5, v12, v3
	ds_bpermute_b32 v6, v12, v4
	;; [unrolled: 1-line block ×4, first 2 shown]
	s_waitcnt lgkmcnt(2)
	v_add_f64 v[3:4], v[3:4], v[5:6]
	s_waitcnt lgkmcnt(0)
	v_add_f64 v[5:6], v[1:2], v[7:8]
	v_cndmask_b32_e64 v1, 0, 1, s0
	v_cmp_ne_u32_e64 s0, 31, v14
	s_delay_alu instid0(VALU_DEP_2) | instskip(NEXT) | instid1(VALU_DEP_1)
	v_lshlrev_b32_e32 v1, 1, v1
	v_add_lshl_u32 v13, v1, v14, 2
	ds_bpermute_b32 v1, v13, v3
	ds_bpermute_b32 v2, v13, v4
	;; [unrolled: 1-line block ×4, first 2 shown]
	s_waitcnt lgkmcnt(2)
	v_add_f64 v[1:2], v[3:4], v[1:2]
	v_add_co_ci_u32_e64 v3, s0, 0, v14, s0
	s_waitcnt lgkmcnt(0)
	v_add_f64 v[5:6], v[5:6], v[7:8]
	s_delay_alu instid0(VALU_DEP_2)
	v_lshlrev_b32_e32 v14, 2, v3
	ds_bpermute_b32 v3, v14, v1
	ds_bpermute_b32 v4, v14, v2
	;; [unrolled: 1-line block ×4, first 2 shown]
	v_cmpx_eq_u32_e32 0, v15
	s_cbranch_execz .LBB98_10
; %bb.9:
	s_waitcnt lgkmcnt(0)
	v_add_f64 v[5:6], v[5:6], v[7:8]
	v_add_f64 v[3:4], v[1:2], v[3:4]
	v_lshrrev_b32_e32 v1, 1, v0
	s_delay_alu instid0(VALU_DEP_1)
	v_and_b32_e32 v1, 0x1f0, v1
	ds_store_b128 v1, v[3:6]
.LBB98_10:
	s_or_b32 exec_lo, exec_lo, s1
	s_waitcnt lgkmcnt(2)
	v_mov_b32_e32 v3, 0
	v_mov_b32_e32 v4, 0
	s_delay_alu instid0(VALU_DEP_2)
	v_mov_b32_e32 v1, v3
	s_waitcnt lgkmcnt(0)
	s_barrier
	buffer_gl0_inv
	v_mov_b32_e32 v2, v4
	s_and_saveexec_b32 s0, vcc_lo
	s_cbranch_execz .LBB98_12
; %bb.11:
	ds_load_b128 v[1:4], v11
.LBB98_12:
	s_or_b32 exec_lo, exec_lo, s0
	s_and_saveexec_b32 s0, vcc_lo
	s_cbranch_execz .LBB98_14
; %bb.13:
	s_waitcnt lgkmcnt(0)
	ds_bpermute_b32 v5, v9, v1
	ds_bpermute_b32 v6, v9, v2
	ds_bpermute_b32 v7, v9, v3
	ds_bpermute_b32 v8, v9, v4
	s_waitcnt lgkmcnt(2)
	v_add_f64 v[1:2], v[1:2], v[5:6]
	s_waitcnt lgkmcnt(0)
	v_add_f64 v[3:4], v[3:4], v[7:8]
	ds_bpermute_b32 v5, v10, v1
	ds_bpermute_b32 v6, v10, v2
	ds_bpermute_b32 v7, v10, v3
	ds_bpermute_b32 v8, v10, v4
	s_waitcnt lgkmcnt(2)
	v_add_f64 v[1:2], v[1:2], v[5:6]
	s_waitcnt lgkmcnt(0)
	v_add_f64 v[3:4], v[3:4], v[7:8]
	;; [unrolled: 8-line block ×5, first 2 shown]
.LBB98_14:
	s_or_b32 exec_lo, exec_lo, s0
	s_delay_alu instid0(SALU_CYCLE_1)
	s_mov_b32 s0, exec_lo
	v_cmpx_eq_u32_e32 0, v0
	s_cbranch_execz .LBB98_16
; %bb.15:
	s_lshl_b64 s[0:1], s[2:3], 4
	v_mov_b32_e32 v0, 0
	s_add_u32 s0, s6, s0
	s_addc_u32 s1, s7, s1
	s_waitcnt lgkmcnt(0)
	global_store_b128 v0, v[1:4], s[0:1]
.LBB98_16:
	s_nop 0
	s_sendmsg sendmsg(MSG_DEALLOC_VGPRS)
	s_endpgm
	.section	.rodata,"a",@progbits
	.p2align	6, 0x0
	.amdhsa_kernel _ZL30rocblas_reduction_kernel_part2ILi1024ELi4E25rocblas_finalize_identity19rocblas_complex_numIdES2_EviPT2_PT3_
		.amdhsa_group_segment_fixed_size 512
		.amdhsa_private_segment_fixed_size 0
		.amdhsa_kernarg_size 24
		.amdhsa_user_sgpr_count 15
		.amdhsa_user_sgpr_dispatch_ptr 0
		.amdhsa_user_sgpr_queue_ptr 0
		.amdhsa_user_sgpr_kernarg_segment_ptr 1
		.amdhsa_user_sgpr_dispatch_id 0
		.amdhsa_user_sgpr_private_segment_size 0
		.amdhsa_wavefront_size32 1
		.amdhsa_uses_dynamic_stack 0
		.amdhsa_enable_private_segment 0
		.amdhsa_system_sgpr_workgroup_id_x 1
		.amdhsa_system_sgpr_workgroup_id_y 0
		.amdhsa_system_sgpr_workgroup_id_z 0
		.amdhsa_system_sgpr_workgroup_info 0
		.amdhsa_system_vgpr_workitem_id 0
		.amdhsa_next_free_vgpr 24
		.amdhsa_next_free_sgpr 16
		.amdhsa_reserve_vcc 1
		.amdhsa_float_round_mode_32 0
		.amdhsa_float_round_mode_16_64 0
		.amdhsa_float_denorm_mode_32 3
		.amdhsa_float_denorm_mode_16_64 3
		.amdhsa_dx10_clamp 1
		.amdhsa_ieee_mode 1
		.amdhsa_fp16_overflow 0
		.amdhsa_workgroup_processor_mode 1
		.amdhsa_memory_ordered 1
		.amdhsa_forward_progress 0
		.amdhsa_shared_vgpr_count 0
		.amdhsa_exception_fp_ieee_invalid_op 0
		.amdhsa_exception_fp_denorm_src 0
		.amdhsa_exception_fp_ieee_div_zero 0
		.amdhsa_exception_fp_ieee_overflow 0
		.amdhsa_exception_fp_ieee_underflow 0
		.amdhsa_exception_fp_ieee_inexact 0
		.amdhsa_exception_int_div_zero 0
	.end_amdhsa_kernel
	.section	.text._ZL30rocblas_reduction_kernel_part2ILi1024ELi4E25rocblas_finalize_identity19rocblas_complex_numIdES2_EviPT2_PT3_,"axG",@progbits,_ZL30rocblas_reduction_kernel_part2ILi1024ELi4E25rocblas_finalize_identity19rocblas_complex_numIdES2_EviPT2_PT3_,comdat
.Lfunc_end98:
	.size	_ZL30rocblas_reduction_kernel_part2ILi1024ELi4E25rocblas_finalize_identity19rocblas_complex_numIdES2_EviPT2_PT3_, .Lfunc_end98-_ZL30rocblas_reduction_kernel_part2ILi1024ELi4E25rocblas_finalize_identity19rocblas_complex_numIdES2_EviPT2_PT3_
                                        ; -- End function
	.section	.AMDGPU.csdata,"",@progbits
; Kernel info:
; codeLenInByte = 1436
; NumSgprs: 18
; NumVgprs: 24
; ScratchSize: 0
; MemoryBound: 1
; FloatMode: 240
; IeeeMode: 1
; LDSByteSize: 512 bytes/workgroup (compile time only)
; SGPRBlocks: 2
; VGPRBlocks: 2
; NumSGPRsForWavesPerEU: 18
; NumVGPRsForWavesPerEU: 24
; Occupancy: 16
; WaveLimiterHint : 0
; COMPUTE_PGM_RSRC2:SCRATCH_EN: 0
; COMPUTE_PGM_RSRC2:USER_SGPR: 15
; COMPUTE_PGM_RSRC2:TRAP_HANDLER: 0
; COMPUTE_PGM_RSRC2:TGID_X_EN: 1
; COMPUTE_PGM_RSRC2:TGID_Y_EN: 0
; COMPUTE_PGM_RSRC2:TGID_Z_EN: 0
; COMPUTE_PGM_RSRC2:TIDIG_COMP_CNT: 0
	.section	.text._ZL23rocblas_dot_kernel_inc1ILb0ELi512ELi2ELb0E19rocblas_complex_numIdEPKS1_S1_EviT4_llS4_lliPT5_PT3_,"axG",@progbits,_ZL23rocblas_dot_kernel_inc1ILb0ELi512ELi2ELb0E19rocblas_complex_numIdEPKS1_S1_EviT4_llS4_lliPT5_PT3_,comdat
	.globl	_ZL23rocblas_dot_kernel_inc1ILb0ELi512ELi2ELb0E19rocblas_complex_numIdEPKS1_S1_EviT4_llS4_lliPT5_PT3_ ; -- Begin function _ZL23rocblas_dot_kernel_inc1ILb0ELi512ELi2ELb0E19rocblas_complex_numIdEPKS1_S1_EviT4_llS4_lliPT5_PT3_
	.p2align	8
	.type	_ZL23rocblas_dot_kernel_inc1ILb0ELi512ELi2ELb0E19rocblas_complex_numIdEPKS1_S1_EviT4_llS4_lliPT5_PT3_,@function
_ZL23rocblas_dot_kernel_inc1ILb0ELi512ELi2ELb0E19rocblas_complex_numIdEPKS1_S1_EviT4_llS4_lliPT5_PT3_: ; @_ZL23rocblas_dot_kernel_inc1ILb0ELi512ELi2ELb0E19rocblas_complex_numIdEPKS1_S1_EviT4_llS4_lliPT5_PT3_
; %bb.0:
	s_clause 0x1
	s_load_b32 s10, s[0:1], 0x0
	s_load_b32 s3, s[0:1], 0x50
	v_mov_b32_e32 v1, 0
	v_mov_b32_e32 v2, 0
	v_lshl_or_b32 v5, s14, 9, v0
	s_mov_b32 s8, s15
	s_mov_b32 s9, 0
	s_mov_b32 s2, exec_lo
	v_dual_mov_b32 v4, v2 :: v_dual_mov_b32 v3, v1
	s_waitcnt lgkmcnt(0)
	v_cmpx_gt_i32_e64 s10, v5
	s_cbranch_execz .LBB99_4
; %bb.1:
	s_clause 0x3
	s_load_b128 s[16:19], s[0:1], 0x10
	s_load_b128 s[4:7], s[0:1], 0x28
	s_load_b64 s[12:13], s[0:1], 0x8
	s_load_b64 s[20:21], s[0:1], 0x20
	v_ashrrev_i32_e32 v6, 31, v5
	s_delay_alu instid0(VALU_DEP_1)
	v_lshlrev_b64 v[1:2], 4, v[5:6]
	s_waitcnt lgkmcnt(0)
	s_mul_i32 s11, s8, s19
	s_mul_hi_u32 s15, s8, s18
	s_mul_i32 s18, s8, s18
	s_add_i32 s19, s15, s11
	s_mul_i32 s11, s8, s7
	s_lshl_b64 s[18:19], s[18:19], 4
	s_mul_hi_u32 s15, s8, s6
	s_add_u32 s7, s12, s18
	s_addc_u32 s18, s13, s19
	s_lshl_b64 s[12:13], s[16:17], 4
	s_mul_i32 s16, s8, s6
	s_add_u32 s6, s7, s12
	s_addc_u32 s7, s18, s13
	s_add_i32 s17, s15, s11
	v_add_co_u32 v3, vcc_lo, s6, v1
	s_lshl_b64 s[12:13], s[16:17], 4
	v_add_co_ci_u32_e32 v4, vcc_lo, s7, v2, vcc_lo
	s_add_u32 s11, s20, s12
	s_addc_u32 s15, s21, s13
	s_lshl_b64 s[12:13], s[4:5], 4
	s_delay_alu instid0(SALU_CYCLE_1)
	s_add_u32 s5, s11, s12
	s_addc_u32 s11, s15, s13
	v_add_co_u32 v5, vcc_lo, s5, v1
	v_add_co_ci_u32_e32 v6, vcc_lo, s11, v2, vcc_lo
	global_load_b128 v[1:4], v[3:4], off
	global_load_b128 v[5:8], v[5:6], off
	s_add_i32 s4, s14, s3
	s_waitcnt vmcnt(0)
	v_mul_f64 v[9:10], v[7:8], v[3:4]
	v_mul_f64 v[3:4], v[5:6], v[3:4]
	s_delay_alu instid0(VALU_DEP_2) | instskip(NEXT) | instid1(VALU_DEP_2)
	v_fma_f64 v[5:6], v[5:6], v[1:2], -v[9:10]
	v_fma_f64 v[3:4], v[7:8], v[1:2], v[3:4]
	s_delay_alu instid0(VALU_DEP_2) | instskip(NEXT) | instid1(VALU_DEP_2)
	v_add_f64 v[1:2], v[5:6], 0
	v_add_f64 v[3:4], v[3:4], 0
	v_lshl_or_b32 v5, s4, 9, v0
	s_mov_b32 s4, exec_lo
	s_delay_alu instid0(VALU_DEP_1)
	v_cmpx_gt_i32_e64 s10, v5
	s_cbranch_execz .LBB99_3
; %bb.2:
	v_ashrrev_i32_e32 v6, 31, v5
	s_delay_alu instid0(VALU_DEP_1) | instskip(NEXT) | instid1(VALU_DEP_1)
	v_lshlrev_b64 v[5:6], 4, v[5:6]
	v_add_co_u32 v7, vcc_lo, s5, v5
	s_delay_alu instid0(VALU_DEP_2)
	v_add_co_ci_u32_e32 v8, vcc_lo, s11, v6, vcc_lo
	v_add_co_u32 v9, vcc_lo, s6, v5
	v_add_co_ci_u32_e32 v10, vcc_lo, s7, v6, vcc_lo
	global_load_b128 v[5:8], v[7:8], off
	global_load_b128 v[9:12], v[9:10], off
	s_waitcnt vmcnt(0)
	v_mul_f64 v[13:14], v[5:6], v[11:12]
	v_mul_f64 v[11:12], v[7:8], v[11:12]
	s_delay_alu instid0(VALU_DEP_2) | instskip(NEXT) | instid1(VALU_DEP_2)
	v_fma_f64 v[7:8], v[7:8], v[9:10], v[13:14]
	v_fma_f64 v[5:6], v[5:6], v[9:10], -v[11:12]
	s_delay_alu instid0(VALU_DEP_2) | instskip(NEXT) | instid1(VALU_DEP_2)
	v_add_f64 v[3:4], v[3:4], v[7:8]
	v_add_f64 v[1:2], v[1:2], v[5:6]
.LBB99_3:
	s_or_b32 exec_lo, exec_lo, s4
.LBB99_4:
	s_delay_alu instid0(SALU_CYCLE_1) | instskip(SKIP_2) | instid1(VALU_DEP_2)
	s_or_b32 exec_lo, exec_lo, s2
	v_and_b32_e32 v14, 31, v0
	v_cmp_gt_u32_e32 vcc_lo, 32, v0
	v_lshlrev_b32_e32 v9, 4, v14
	s_and_saveexec_b32 s2, vcc_lo
	s_cbranch_execz .LBB99_6
; %bb.5:
	v_mov_b32_e32 v5, 0
	s_delay_alu instid0(VALU_DEP_1)
	v_mov_b32_e32 v6, v5
	v_mov_b32_e32 v7, v5
	;; [unrolled: 1-line block ×3, first 2 shown]
	ds_store_b128 v9, v[5:8]
.LBB99_6:
	s_or_b32 exec_lo, exec_lo, s2
	v_mbcnt_lo_u32_b32 v13, -1, 0
	s_mov_b32 s4, exec_lo
	s_waitcnt lgkmcnt(0)
	s_barrier
	buffer_gl0_inv
	v_cmp_gt_u32_e64 s2, 16, v13
	s_delay_alu instid0(VALU_DEP_1) | instskip(SKIP_1) | instid1(VALU_DEP_2)
	v_cndmask_b32_e64 v5, 0, 1, s2
	v_cmp_gt_u32_e64 s2, 24, v13
	v_lshlrev_b32_e32 v5, 4, v5
	s_delay_alu instid0(VALU_DEP_1)
	v_add_lshl_u32 v8, v5, v13, 2
	ds_bpermute_b32 v5, v8, v1
	ds_bpermute_b32 v6, v8, v2
	;; [unrolled: 1-line block ×4, first 2 shown]
	s_waitcnt lgkmcnt(2)
	v_add_f64 v[1:2], v[1:2], v[5:6]
	v_cndmask_b32_e64 v5, 0, 1, s2
	s_waitcnt lgkmcnt(0)
	v_add_f64 v[3:4], v[3:4], v[7:8]
	v_cmp_gt_u32_e64 s2, 28, v13
	s_delay_alu instid0(VALU_DEP_3) | instskip(NEXT) | instid1(VALU_DEP_1)
	v_lshlrev_b32_e32 v5, 3, v5
	v_add_lshl_u32 v10, v5, v13, 2
	ds_bpermute_b32 v5, v10, v1
	ds_bpermute_b32 v6, v10, v2
	;; [unrolled: 1-line block ×4, first 2 shown]
	s_waitcnt lgkmcnt(2)
	v_add_f64 v[1:2], v[1:2], v[5:6]
	v_cndmask_b32_e64 v5, 0, 1, s2
	s_waitcnt lgkmcnt(0)
	v_add_f64 v[3:4], v[3:4], v[7:8]
	v_cmp_gt_u32_e64 s2, 30, v13
	s_delay_alu instid0(VALU_DEP_3) | instskip(NEXT) | instid1(VALU_DEP_1)
	v_lshlrev_b32_e32 v5, 2, v5
	v_add_lshl_u32 v11, v5, v13, 2
	ds_bpermute_b32 v5, v11, v1
	ds_bpermute_b32 v6, v11, v2
	;; [unrolled: 1-line block ×4, first 2 shown]
	s_waitcnt lgkmcnt(2)
	v_add_f64 v[1:2], v[1:2], v[5:6]
	v_cndmask_b32_e64 v5, 0, 1, s2
	s_waitcnt lgkmcnt(0)
	v_add_f64 v[3:4], v[3:4], v[7:8]
	v_cmp_ne_u32_e64 s2, 31, v13
	s_delay_alu instid0(VALU_DEP_3) | instskip(NEXT) | instid1(VALU_DEP_1)
	v_lshlrev_b32_e32 v5, 1, v5
	v_add_lshl_u32 v12, v5, v13, 2
	ds_bpermute_b32 v5, v12, v1
	ds_bpermute_b32 v6, v12, v2
	;; [unrolled: 1-line block ×4, first 2 shown]
	s_waitcnt lgkmcnt(2)
	v_add_f64 v[1:2], v[1:2], v[5:6]
	s_waitcnt lgkmcnt(0)
	v_add_f64 v[5:6], v[3:4], v[7:8]
	v_add_co_ci_u32_e64 v3, s2, 0, v13, s2
	s_delay_alu instid0(VALU_DEP_1)
	v_lshlrev_b32_e32 v13, 2, v3
	ds_bpermute_b32 v3, v13, v1
	ds_bpermute_b32 v4, v13, v2
	;; [unrolled: 1-line block ×4, first 2 shown]
	v_cmpx_eq_u32_e32 0, v14
	s_cbranch_execz .LBB99_8
; %bb.7:
	s_waitcnt lgkmcnt(0)
	v_add_f64 v[5:6], v[5:6], v[7:8]
	v_add_f64 v[3:4], v[1:2], v[3:4]
	v_lshrrev_b32_e32 v1, 1, v0
	s_delay_alu instid0(VALU_DEP_1)
	v_and_b32_e32 v1, 0xf0, v1
	ds_store_b128 v1, v[3:6]
.LBB99_8:
	s_or_b32 exec_lo, exec_lo, s4
	s_waitcnt lgkmcnt(2)
	v_mov_b32_e32 v3, 0
	v_mov_b32_e32 v4, 0
	s_delay_alu instid0(VALU_DEP_2)
	v_mov_b32_e32 v1, v3
	s_mov_b32 s4, exec_lo
	s_waitcnt lgkmcnt(0)
	s_barrier
	v_mov_b32_e32 v2, v4
	buffer_gl0_inv
	v_cmpx_gt_u32_e32 16, v0
	s_cbranch_execz .LBB99_10
; %bb.9:
	ds_load_b128 v[1:4], v9
.LBB99_10:
	s_or_b32 exec_lo, exec_lo, s4
	s_and_saveexec_b32 s2, vcc_lo
	s_cbranch_execz .LBB99_12
; %bb.11:
	s_waitcnt lgkmcnt(0)
	ds_bpermute_b32 v5, v10, v1
	ds_bpermute_b32 v6, v10, v2
	ds_bpermute_b32 v7, v10, v3
	ds_bpermute_b32 v8, v10, v4
	s_waitcnt lgkmcnt(2)
	v_add_f64 v[1:2], v[1:2], v[5:6]
	s_waitcnt lgkmcnt(0)
	v_add_f64 v[3:4], v[3:4], v[7:8]
	ds_bpermute_b32 v5, v11, v1
	ds_bpermute_b32 v6, v11, v2
	ds_bpermute_b32 v7, v11, v3
	ds_bpermute_b32 v8, v11, v4
	s_waitcnt lgkmcnt(2)
	v_add_f64 v[1:2], v[1:2], v[5:6]
	s_waitcnt lgkmcnt(0)
	v_add_f64 v[3:4], v[3:4], v[7:8]
	;; [unrolled: 8-line block ×4, first 2 shown]
.LBB99_12:
	s_or_b32 exec_lo, exec_lo, s2
	s_delay_alu instid0(SALU_CYCLE_1)
	s_mov_b32 s2, exec_lo
	v_cmpx_eq_u32_e32 0, v0
	s_cbranch_execz .LBB99_18
; %bb.13:
	s_cmp_lg_u32 s3, 1
	s_cbranch_scc0 .LBB99_15
; %bb.14:
	s_load_b64 s[4:5], s[0:1], 0x40
	s_mul_hi_u32 s7, s3, s8
	s_mul_i32 s6, s3, s8
	s_mov_b32 s15, 0
	s_lshl_b64 s[2:3], s[6:7], 4
	s_waitcnt lgkmcnt(0)
	s_add_u32 s4, s4, s2
	s_addc_u32 s5, s5, s3
	s_lshl_b64 s[2:3], s[14:15], 4
	s_delay_alu instid0(SALU_CYCLE_1)
	s_add_u32 s2, s4, s2
	s_addc_u32 s3, s5, s3
	s_cbranch_execz .LBB99_16
	s_branch .LBB99_17
.LBB99_15:
                                        ; implicit-def: $sgpr2_sgpr3
.LBB99_16:
	s_load_b64 s[0:1], s[0:1], 0x48
	s_lshl_b64 s[2:3], s[8:9], 4
	s_waitcnt lgkmcnt(0)
	s_add_u32 s2, s0, s2
	s_addc_u32 s3, s1, s3
.LBB99_17:
	v_mov_b32_e32 v0, 0
	s_waitcnt lgkmcnt(0)
	global_store_b128 v0, v[1:4], s[2:3]
.LBB99_18:
	s_nop 0
	s_sendmsg sendmsg(MSG_DEALLOC_VGPRS)
	s_endpgm
	.section	.rodata,"a",@progbits
	.p2align	6, 0x0
	.amdhsa_kernel _ZL23rocblas_dot_kernel_inc1ILb0ELi512ELi2ELb0E19rocblas_complex_numIdEPKS1_S1_EviT4_llS4_lliPT5_PT3_
		.amdhsa_group_segment_fixed_size 512
		.amdhsa_private_segment_fixed_size 0
		.amdhsa_kernarg_size 336
		.amdhsa_user_sgpr_count 14
		.amdhsa_user_sgpr_dispatch_ptr 0
		.amdhsa_user_sgpr_queue_ptr 0
		.amdhsa_user_sgpr_kernarg_segment_ptr 1
		.amdhsa_user_sgpr_dispatch_id 0
		.amdhsa_user_sgpr_private_segment_size 0
		.amdhsa_wavefront_size32 1
		.amdhsa_uses_dynamic_stack 0
		.amdhsa_enable_private_segment 0
		.amdhsa_system_sgpr_workgroup_id_x 1
		.amdhsa_system_sgpr_workgroup_id_y 0
		.amdhsa_system_sgpr_workgroup_id_z 1
		.amdhsa_system_sgpr_workgroup_info 0
		.amdhsa_system_vgpr_workitem_id 0
		.amdhsa_next_free_vgpr 15
		.amdhsa_next_free_sgpr 22
		.amdhsa_reserve_vcc 1
		.amdhsa_float_round_mode_32 0
		.amdhsa_float_round_mode_16_64 0
		.amdhsa_float_denorm_mode_32 3
		.amdhsa_float_denorm_mode_16_64 3
		.amdhsa_dx10_clamp 1
		.amdhsa_ieee_mode 1
		.amdhsa_fp16_overflow 0
		.amdhsa_workgroup_processor_mode 1
		.amdhsa_memory_ordered 1
		.amdhsa_forward_progress 0
		.amdhsa_shared_vgpr_count 0
		.amdhsa_exception_fp_ieee_invalid_op 0
		.amdhsa_exception_fp_denorm_src 0
		.amdhsa_exception_fp_ieee_div_zero 0
		.amdhsa_exception_fp_ieee_overflow 0
		.amdhsa_exception_fp_ieee_underflow 0
		.amdhsa_exception_fp_ieee_inexact 0
		.amdhsa_exception_int_div_zero 0
	.end_amdhsa_kernel
	.section	.text._ZL23rocblas_dot_kernel_inc1ILb0ELi512ELi2ELb0E19rocblas_complex_numIdEPKS1_S1_EviT4_llS4_lliPT5_PT3_,"axG",@progbits,_ZL23rocblas_dot_kernel_inc1ILb0ELi512ELi2ELb0E19rocblas_complex_numIdEPKS1_S1_EviT4_llS4_lliPT5_PT3_,comdat
.Lfunc_end99:
	.size	_ZL23rocblas_dot_kernel_inc1ILb0ELi512ELi2ELb0E19rocblas_complex_numIdEPKS1_S1_EviT4_llS4_lliPT5_PT3_, .Lfunc_end99-_ZL23rocblas_dot_kernel_inc1ILb0ELi512ELi2ELb0E19rocblas_complex_numIdEPKS1_S1_EviT4_llS4_lliPT5_PT3_
                                        ; -- End function
	.section	.AMDGPU.csdata,"",@progbits
; Kernel info:
; codeLenInByte = 1464
; NumSgprs: 24
; NumVgprs: 15
; ScratchSize: 0
; MemoryBound: 0
; FloatMode: 240
; IeeeMode: 1
; LDSByteSize: 512 bytes/workgroup (compile time only)
; SGPRBlocks: 2
; VGPRBlocks: 1
; NumSGPRsForWavesPerEU: 24
; NumVGPRsForWavesPerEU: 15
; Occupancy: 16
; WaveLimiterHint : 0
; COMPUTE_PGM_RSRC2:SCRATCH_EN: 0
; COMPUTE_PGM_RSRC2:USER_SGPR: 14
; COMPUTE_PGM_RSRC2:TRAP_HANDLER: 0
; COMPUTE_PGM_RSRC2:TGID_X_EN: 1
; COMPUTE_PGM_RSRC2:TGID_Y_EN: 0
; COMPUTE_PGM_RSRC2:TGID_Z_EN: 1
; COMPUTE_PGM_RSRC2:TIDIG_COMP_CNT: 0
	.section	.text._ZL18rocblas_dot_kernelIiLb0ELi512ELi2ELb0E19rocblas_complex_numIdEPKS1_S1_EviT5_lT_lS4_lS5_liPT6_PT4_,"axG",@progbits,_ZL18rocblas_dot_kernelIiLb0ELi512ELi2ELb0E19rocblas_complex_numIdEPKS1_S1_EviT5_lT_lS4_lS5_liPT6_PT4_,comdat
	.globl	_ZL18rocblas_dot_kernelIiLb0ELi512ELi2ELb0E19rocblas_complex_numIdEPKS1_S1_EviT5_lT_lS4_lS5_liPT6_PT4_ ; -- Begin function _ZL18rocblas_dot_kernelIiLb0ELi512ELi2ELb0E19rocblas_complex_numIdEPKS1_S1_EviT5_lT_lS4_lS5_liPT6_PT4_
	.p2align	8
	.type	_ZL18rocblas_dot_kernelIiLb0ELi512ELi2ELb0E19rocblas_complex_numIdEPKS1_S1_EviT5_lT_lS4_lS5_liPT6_PT4_,@function
_ZL18rocblas_dot_kernelIiLb0ELi512ELi2ELb0E19rocblas_complex_numIdEPKS1_S1_EviT5_lT_lS4_lS5_liPT6_PT4_: ; @_ZL18rocblas_dot_kernelIiLb0ELi512ELi2ELb0E19rocblas_complex_numIdEPKS1_S1_EviT5_lT_lS4_lS5_liPT6_PT4_
; %bb.0:
	s_clause 0x1
	s_load_b32 s10, s[0:1], 0x0
	s_load_b32 s3, s[0:1], 0x60
	v_mov_b32_e32 v1, 0
	v_mov_b32_e32 v2, 0
	v_lshl_or_b32 v5, s14, 9, v0
	s_mov_b32 s8, s15
	s_mov_b32 s9, 0
	s_mov_b32 s2, exec_lo
	v_dual_mov_b32 v4, v2 :: v_dual_mov_b32 v3, v1
	s_waitcnt lgkmcnt(0)
	v_cmpx_gt_i32_e64 s10, v5
	s_cbranch_execz .LBB100_4
; %bb.1:
	s_clause 0x5
	s_load_b128 s[4:7], s[0:1], 0x20
	s_load_b64 s[20:21], s[0:1], 0x40
	s_load_b32 s12, s[0:1], 0x38
	s_load_b32 s11, s[0:1], 0x18
	s_load_b128 s[16:19], s[0:1], 0x8
	s_load_b64 s[22:23], s[0:1], 0x30
	s_waitcnt lgkmcnt(0)
	s_mul_i32 s5, s8, s5
	s_mul_hi_u32 s13, s8, s4
	s_mul_i32 s4, s8, s4
	s_add_i32 s5, s13, s5
	v_mad_i64_i32 v[3:4], null, v5, s11, 0
	s_lshl_b64 s[4:5], s[4:5], 4
	v_mad_i64_i32 v[1:2], null, v5, s12, 0
	s_add_u32 s13, s16, s4
	s_addc_u32 s17, s17, s5
	s_lshl_b64 s[4:5], s[18:19], 4
	s_mul_i32 s15, s8, s21
	s_mul_hi_u32 s21, s8, s20
	s_add_u32 s4, s13, s4
	s_mul_i32 s16, s8, s20
	s_addc_u32 s5, s17, s5
	s_add_i32 s17, s21, s15
	v_lshlrev_b64 v[3:4], 4, v[3:4]
	s_lshl_b64 s[16:17], s[16:17], 4
	v_lshlrev_b64 v[1:2], 4, v[1:2]
	s_add_u32 s6, s6, s16
	s_addc_u32 s13, s7, s17
	s_lshl_b64 s[16:17], s[22:23], 4
	v_add_co_u32 v3, vcc_lo, s4, v3
	s_add_u32 s7, s6, s16
	v_add_co_ci_u32_e32 v4, vcc_lo, s5, v4, vcc_lo
	s_addc_u32 s13, s13, s17
	v_add_co_u32 v5, vcc_lo, s7, v1
	v_add_co_ci_u32_e32 v6, vcc_lo, s13, v2, vcc_lo
	global_load_b128 v[1:4], v[3:4], off
	global_load_b128 v[5:8], v[5:6], off
	s_add_i32 s6, s14, s3
	s_waitcnt vmcnt(0)
	v_mul_f64 v[9:10], v[7:8], v[3:4]
	v_mul_f64 v[3:4], v[5:6], v[3:4]
	s_delay_alu instid0(VALU_DEP_2) | instskip(NEXT) | instid1(VALU_DEP_2)
	v_fma_f64 v[5:6], v[5:6], v[1:2], -v[9:10]
	v_fma_f64 v[3:4], v[7:8], v[1:2], v[3:4]
	s_delay_alu instid0(VALU_DEP_2) | instskip(NEXT) | instid1(VALU_DEP_2)
	v_add_f64 v[1:2], v[5:6], 0
	v_add_f64 v[3:4], v[3:4], 0
	v_lshl_or_b32 v5, s6, 9, v0
	s_mov_b32 s6, exec_lo
	s_delay_alu instid0(VALU_DEP_1)
	v_cmpx_gt_i32_e64 s10, v5
	s_cbranch_execz .LBB100_3
; %bb.2:
	v_mad_i64_i32 v[6:7], null, v5, s12, 0
	v_mad_i64_i32 v[8:9], null, v5, s11, 0
	s_delay_alu instid0(VALU_DEP_2) | instskip(NEXT) | instid1(VALU_DEP_2)
	v_lshlrev_b64 v[5:6], 4, v[6:7]
	v_lshlrev_b64 v[7:8], 4, v[8:9]
	s_delay_alu instid0(VALU_DEP_2) | instskip(NEXT) | instid1(VALU_DEP_3)
	v_add_co_u32 v5, vcc_lo, s7, v5
	v_add_co_ci_u32_e32 v6, vcc_lo, s13, v6, vcc_lo
	s_delay_alu instid0(VALU_DEP_3) | instskip(NEXT) | instid1(VALU_DEP_4)
	v_add_co_u32 v9, vcc_lo, s4, v7
	v_add_co_ci_u32_e32 v10, vcc_lo, s5, v8, vcc_lo
	global_load_b128 v[5:8], v[5:6], off
	global_load_b128 v[9:12], v[9:10], off
	s_waitcnt vmcnt(0)
	v_mul_f64 v[13:14], v[5:6], v[11:12]
	v_mul_f64 v[11:12], v[7:8], v[11:12]
	s_delay_alu instid0(VALU_DEP_2) | instskip(NEXT) | instid1(VALU_DEP_2)
	v_fma_f64 v[7:8], v[7:8], v[9:10], v[13:14]
	v_fma_f64 v[5:6], v[5:6], v[9:10], -v[11:12]
	s_delay_alu instid0(VALU_DEP_2) | instskip(NEXT) | instid1(VALU_DEP_2)
	v_add_f64 v[3:4], v[3:4], v[7:8]
	v_add_f64 v[1:2], v[1:2], v[5:6]
.LBB100_3:
	s_or_b32 exec_lo, exec_lo, s6
.LBB100_4:
	s_delay_alu instid0(SALU_CYCLE_1) | instskip(SKIP_2) | instid1(VALU_DEP_2)
	s_or_b32 exec_lo, exec_lo, s2
	v_and_b32_e32 v14, 31, v0
	v_cmp_gt_u32_e32 vcc_lo, 32, v0
	v_lshlrev_b32_e32 v9, 4, v14
	s_and_saveexec_b32 s2, vcc_lo
	s_cbranch_execz .LBB100_6
; %bb.5:
	v_mov_b32_e32 v5, 0
	s_delay_alu instid0(VALU_DEP_1)
	v_mov_b32_e32 v6, v5
	v_mov_b32_e32 v7, v5
	;; [unrolled: 1-line block ×3, first 2 shown]
	ds_store_b128 v9, v[5:8]
.LBB100_6:
	s_or_b32 exec_lo, exec_lo, s2
	v_mbcnt_lo_u32_b32 v13, -1, 0
	s_mov_b32 s4, exec_lo
	s_waitcnt lgkmcnt(0)
	s_barrier
	buffer_gl0_inv
	v_cmp_gt_u32_e64 s2, 16, v13
	s_delay_alu instid0(VALU_DEP_1) | instskip(SKIP_1) | instid1(VALU_DEP_2)
	v_cndmask_b32_e64 v5, 0, 1, s2
	v_cmp_gt_u32_e64 s2, 24, v13
	v_lshlrev_b32_e32 v5, 4, v5
	s_delay_alu instid0(VALU_DEP_1)
	v_add_lshl_u32 v8, v5, v13, 2
	ds_bpermute_b32 v5, v8, v1
	ds_bpermute_b32 v6, v8, v2
	;; [unrolled: 1-line block ×4, first 2 shown]
	s_waitcnt lgkmcnt(2)
	v_add_f64 v[1:2], v[1:2], v[5:6]
	v_cndmask_b32_e64 v5, 0, 1, s2
	s_waitcnt lgkmcnt(0)
	v_add_f64 v[3:4], v[3:4], v[7:8]
	v_cmp_gt_u32_e64 s2, 28, v13
	s_delay_alu instid0(VALU_DEP_3) | instskip(NEXT) | instid1(VALU_DEP_1)
	v_lshlrev_b32_e32 v5, 3, v5
	v_add_lshl_u32 v10, v5, v13, 2
	ds_bpermute_b32 v5, v10, v1
	ds_bpermute_b32 v6, v10, v2
	;; [unrolled: 1-line block ×4, first 2 shown]
	s_waitcnt lgkmcnt(2)
	v_add_f64 v[1:2], v[1:2], v[5:6]
	v_cndmask_b32_e64 v5, 0, 1, s2
	s_waitcnt lgkmcnt(0)
	v_add_f64 v[3:4], v[3:4], v[7:8]
	v_cmp_gt_u32_e64 s2, 30, v13
	s_delay_alu instid0(VALU_DEP_3) | instskip(NEXT) | instid1(VALU_DEP_1)
	v_lshlrev_b32_e32 v5, 2, v5
	v_add_lshl_u32 v11, v5, v13, 2
	ds_bpermute_b32 v5, v11, v1
	ds_bpermute_b32 v6, v11, v2
	ds_bpermute_b32 v7, v11, v3
	ds_bpermute_b32 v8, v11, v4
	s_waitcnt lgkmcnt(2)
	v_add_f64 v[1:2], v[1:2], v[5:6]
	v_cndmask_b32_e64 v5, 0, 1, s2
	s_waitcnt lgkmcnt(0)
	v_add_f64 v[3:4], v[3:4], v[7:8]
	v_cmp_ne_u32_e64 s2, 31, v13
	s_delay_alu instid0(VALU_DEP_3) | instskip(NEXT) | instid1(VALU_DEP_1)
	v_lshlrev_b32_e32 v5, 1, v5
	v_add_lshl_u32 v12, v5, v13, 2
	ds_bpermute_b32 v5, v12, v1
	ds_bpermute_b32 v6, v12, v2
	;; [unrolled: 1-line block ×4, first 2 shown]
	s_waitcnt lgkmcnt(2)
	v_add_f64 v[1:2], v[1:2], v[5:6]
	s_waitcnt lgkmcnt(0)
	v_add_f64 v[5:6], v[3:4], v[7:8]
	v_add_co_ci_u32_e64 v3, s2, 0, v13, s2
	s_delay_alu instid0(VALU_DEP_1)
	v_lshlrev_b32_e32 v13, 2, v3
	ds_bpermute_b32 v3, v13, v1
	ds_bpermute_b32 v4, v13, v2
	;; [unrolled: 1-line block ×4, first 2 shown]
	v_cmpx_eq_u32_e32 0, v14
	s_cbranch_execz .LBB100_8
; %bb.7:
	s_waitcnt lgkmcnt(0)
	v_add_f64 v[5:6], v[5:6], v[7:8]
	v_add_f64 v[3:4], v[1:2], v[3:4]
	v_lshrrev_b32_e32 v1, 1, v0
	s_delay_alu instid0(VALU_DEP_1)
	v_and_b32_e32 v1, 0xf0, v1
	ds_store_b128 v1, v[3:6]
.LBB100_8:
	s_or_b32 exec_lo, exec_lo, s4
	s_waitcnt lgkmcnt(2)
	v_mov_b32_e32 v3, 0
	v_mov_b32_e32 v4, 0
	s_delay_alu instid0(VALU_DEP_2)
	v_mov_b32_e32 v1, v3
	s_mov_b32 s4, exec_lo
	s_waitcnt lgkmcnt(0)
	s_barrier
	v_mov_b32_e32 v2, v4
	buffer_gl0_inv
	v_cmpx_gt_u32_e32 16, v0
	s_cbranch_execz .LBB100_10
; %bb.9:
	ds_load_b128 v[1:4], v9
.LBB100_10:
	s_or_b32 exec_lo, exec_lo, s4
	s_and_saveexec_b32 s2, vcc_lo
	s_cbranch_execz .LBB100_12
; %bb.11:
	s_waitcnt lgkmcnt(0)
	ds_bpermute_b32 v5, v10, v1
	ds_bpermute_b32 v6, v10, v2
	ds_bpermute_b32 v7, v10, v3
	ds_bpermute_b32 v8, v10, v4
	s_waitcnt lgkmcnt(2)
	v_add_f64 v[1:2], v[1:2], v[5:6]
	s_waitcnt lgkmcnt(0)
	v_add_f64 v[3:4], v[3:4], v[7:8]
	ds_bpermute_b32 v5, v11, v1
	ds_bpermute_b32 v6, v11, v2
	ds_bpermute_b32 v7, v11, v3
	ds_bpermute_b32 v8, v11, v4
	s_waitcnt lgkmcnt(2)
	v_add_f64 v[1:2], v[1:2], v[5:6]
	s_waitcnt lgkmcnt(0)
	v_add_f64 v[3:4], v[3:4], v[7:8]
	;; [unrolled: 8-line block ×4, first 2 shown]
.LBB100_12:
	s_or_b32 exec_lo, exec_lo, s2
	s_delay_alu instid0(SALU_CYCLE_1)
	s_mov_b32 s2, exec_lo
	v_cmpx_eq_u32_e32 0, v0
	s_cbranch_execz .LBB100_18
; %bb.13:
	s_cmp_lg_u32 s3, 1
	s_cbranch_scc0 .LBB100_15
; %bb.14:
	s_load_b64 s[4:5], s[0:1], 0x50
	s_mul_hi_u32 s7, s3, s8
	s_mul_i32 s6, s3, s8
	s_mov_b32 s15, 0
	s_lshl_b64 s[2:3], s[6:7], 4
	s_waitcnt lgkmcnt(0)
	s_add_u32 s4, s4, s2
	s_addc_u32 s5, s5, s3
	s_lshl_b64 s[2:3], s[14:15], 4
	s_delay_alu instid0(SALU_CYCLE_1)
	s_add_u32 s2, s4, s2
	s_addc_u32 s3, s5, s3
	s_cbranch_execz .LBB100_16
	s_branch .LBB100_17
.LBB100_15:
                                        ; implicit-def: $sgpr2_sgpr3
.LBB100_16:
	s_load_b64 s[0:1], s[0:1], 0x58
	s_lshl_b64 s[2:3], s[8:9], 4
	s_waitcnt lgkmcnt(0)
	s_add_u32 s2, s0, s2
	s_addc_u32 s3, s1, s3
.LBB100_17:
	v_mov_b32_e32 v0, 0
	s_waitcnt lgkmcnt(0)
	global_store_b128 v0, v[1:4], s[2:3]
.LBB100_18:
	s_nop 0
	s_sendmsg sendmsg(MSG_DEALLOC_VGPRS)
	s_endpgm
	.section	.rodata,"a",@progbits
	.p2align	6, 0x0
	.amdhsa_kernel _ZL18rocblas_dot_kernelIiLb0ELi512ELi2ELb0E19rocblas_complex_numIdEPKS1_S1_EviT5_lT_lS4_lS5_liPT6_PT4_
		.amdhsa_group_segment_fixed_size 512
		.amdhsa_private_segment_fixed_size 0
		.amdhsa_kernarg_size 352
		.amdhsa_user_sgpr_count 14
		.amdhsa_user_sgpr_dispatch_ptr 0
		.amdhsa_user_sgpr_queue_ptr 0
		.amdhsa_user_sgpr_kernarg_segment_ptr 1
		.amdhsa_user_sgpr_dispatch_id 0
		.amdhsa_user_sgpr_private_segment_size 0
		.amdhsa_wavefront_size32 1
		.amdhsa_uses_dynamic_stack 0
		.amdhsa_enable_private_segment 0
		.amdhsa_system_sgpr_workgroup_id_x 1
		.amdhsa_system_sgpr_workgroup_id_y 0
		.amdhsa_system_sgpr_workgroup_id_z 1
		.amdhsa_system_sgpr_workgroup_info 0
		.amdhsa_system_vgpr_workitem_id 0
		.amdhsa_next_free_vgpr 15
		.amdhsa_next_free_sgpr 24
		.amdhsa_reserve_vcc 1
		.amdhsa_float_round_mode_32 0
		.amdhsa_float_round_mode_16_64 0
		.amdhsa_float_denorm_mode_32 3
		.amdhsa_float_denorm_mode_16_64 3
		.amdhsa_dx10_clamp 1
		.amdhsa_ieee_mode 1
		.amdhsa_fp16_overflow 0
		.amdhsa_workgroup_processor_mode 1
		.amdhsa_memory_ordered 1
		.amdhsa_forward_progress 0
		.amdhsa_shared_vgpr_count 0
		.amdhsa_exception_fp_ieee_invalid_op 0
		.amdhsa_exception_fp_denorm_src 0
		.amdhsa_exception_fp_ieee_div_zero 0
		.amdhsa_exception_fp_ieee_overflow 0
		.amdhsa_exception_fp_ieee_underflow 0
		.amdhsa_exception_fp_ieee_inexact 0
		.amdhsa_exception_int_div_zero 0
	.end_amdhsa_kernel
	.section	.text._ZL18rocblas_dot_kernelIiLb0ELi512ELi2ELb0E19rocblas_complex_numIdEPKS1_S1_EviT5_lT_lS4_lS5_liPT6_PT4_,"axG",@progbits,_ZL18rocblas_dot_kernelIiLb0ELi512ELi2ELb0E19rocblas_complex_numIdEPKS1_S1_EviT5_lT_lS4_lS5_liPT6_PT4_,comdat
.Lfunc_end100:
	.size	_ZL18rocblas_dot_kernelIiLb0ELi512ELi2ELb0E19rocblas_complex_numIdEPKS1_S1_EviT5_lT_lS4_lS5_liPT6_PT4_, .Lfunc_end100-_ZL18rocblas_dot_kernelIiLb0ELi512ELi2ELb0E19rocblas_complex_numIdEPKS1_S1_EviT5_lT_lS4_lS5_liPT6_PT4_
                                        ; -- End function
	.section	.AMDGPU.csdata,"",@progbits
; Kernel info:
; codeLenInByte = 1516
; NumSgprs: 26
; NumVgprs: 15
; ScratchSize: 0
; MemoryBound: 0
; FloatMode: 240
; IeeeMode: 1
; LDSByteSize: 512 bytes/workgroup (compile time only)
; SGPRBlocks: 3
; VGPRBlocks: 1
; NumSGPRsForWavesPerEU: 26
; NumVGPRsForWavesPerEU: 15
; Occupancy: 16
; WaveLimiterHint : 0
; COMPUTE_PGM_RSRC2:SCRATCH_EN: 0
; COMPUTE_PGM_RSRC2:USER_SGPR: 14
; COMPUTE_PGM_RSRC2:TRAP_HANDLER: 0
; COMPUTE_PGM_RSRC2:TGID_X_EN: 1
; COMPUTE_PGM_RSRC2:TGID_Y_EN: 0
; COMPUTE_PGM_RSRC2:TGID_Z_EN: 1
; COMPUTE_PGM_RSRC2:TIDIG_COMP_CNT: 0
	.section	.text._ZL24rocblas_dot_kernel_magsqIiLb0ELi512ELi2ELb0E19rocblas_complex_numIdEPKS1_S1_EviT5_lT_liPT6_PT4_,"axG",@progbits,_ZL24rocblas_dot_kernel_magsqIiLb0ELi512ELi2ELb0E19rocblas_complex_numIdEPKS1_S1_EviT5_lT_liPT6_PT4_,comdat
	.globl	_ZL24rocblas_dot_kernel_magsqIiLb0ELi512ELi2ELb0E19rocblas_complex_numIdEPKS1_S1_EviT5_lT_liPT6_PT4_ ; -- Begin function _ZL24rocblas_dot_kernel_magsqIiLb0ELi512ELi2ELb0E19rocblas_complex_numIdEPKS1_S1_EviT5_lT_liPT6_PT4_
	.p2align	8
	.type	_ZL24rocblas_dot_kernel_magsqIiLb0ELi512ELi2ELb0E19rocblas_complex_numIdEPKS1_S1_EviT5_lT_liPT6_PT4_,@function
_ZL24rocblas_dot_kernel_magsqIiLb0ELi512ELi2ELb0E19rocblas_complex_numIdEPKS1_S1_EviT5_lT_liPT6_PT4_: ; @_ZL24rocblas_dot_kernel_magsqIiLb0ELi512ELi2ELb0E19rocblas_complex_numIdEPKS1_S1_EviT5_lT_liPT6_PT4_
; %bb.0:
	s_clause 0x1
	s_load_b32 s6, s[0:1], 0x0
	s_load_b32 s3, s[0:1], 0x40
	v_mov_b32_e32 v1, 0
	v_mov_b32_e32 v2, 0
	v_lshl_or_b32 v5, s14, 9, v0
	s_mov_b32 s4, s15
	s_mov_b32 s5, 0
	s_mov_b32 s2, exec_lo
	v_dual_mov_b32 v4, v2 :: v_dual_mov_b32 v3, v1
	s_waitcnt lgkmcnt(0)
	v_cmpx_gt_i32_e64 s6, v5
	s_cbranch_execz .LBB101_4
; %bb.1:
	s_clause 0x2
	s_load_b64 s[12:13], s[0:1], 0x20
	s_load_b32 s7, s[0:1], 0x18
	s_load_b128 s[8:11], s[0:1], 0x8
	s_waitcnt lgkmcnt(0)
	s_mul_i32 s13, s4, s13
	v_mad_i64_i32 v[1:2], null, v5, s7, 0
	s_mul_hi_u32 s15, s4, s12
	s_mul_i32 s12, s4, s12
	s_add_i32 s13, s15, s13
	s_delay_alu instid0(SALU_CYCLE_1) | instskip(NEXT) | instid1(SALU_CYCLE_1)
	s_lshl_b64 s[12:13], s[12:13], 4
	s_add_u32 s12, s8, s12
	s_delay_alu instid0(VALU_DEP_1) | instskip(SKIP_2) | instid1(SALU_CYCLE_1)
	v_lshlrev_b64 v[1:2], 4, v[1:2]
	s_addc_u32 s13, s9, s13
	s_lshl_b64 s[8:9], s[10:11], 4
	s_add_u32 s8, s12, s8
	s_addc_u32 s9, s13, s9
	s_delay_alu instid0(VALU_DEP_1)
	v_add_co_u32 v1, vcc_lo, s8, v1
	v_add_co_ci_u32_e32 v2, vcc_lo, s9, v2, vcc_lo
	s_add_i32 s10, s14, s3
	global_load_b128 v[1:4], v[1:2], off
	s_waitcnt vmcnt(0)
	v_mul_f64 v[5:6], v[3:4], v[3:4]
	v_mul_f64 v[3:4], v[1:2], v[3:4]
	s_delay_alu instid0(VALU_DEP_2) | instskip(NEXT) | instid1(VALU_DEP_2)
	v_fma_f64 v[1:2], v[1:2], v[1:2], -v[5:6]
	v_fma_f64 v[3:4], v[3:4], 2.0, 0
	v_lshl_or_b32 v5, s10, 9, v0
	s_delay_alu instid0(VALU_DEP_1)
	v_cmp_gt_i32_e32 vcc_lo, s6, v5
	s_and_saveexec_b32 s6, vcc_lo
	s_cbranch_execz .LBB101_3
; %bb.2:
	v_mad_i64_i32 v[6:7], null, v5, s7, 0
	s_delay_alu instid0(VALU_DEP_1) | instskip(NEXT) | instid1(VALU_DEP_1)
	v_lshlrev_b64 v[5:6], 4, v[6:7]
	v_add_co_u32 v5, vcc_lo, s8, v5
	s_delay_alu instid0(VALU_DEP_2) | instskip(SKIP_4) | instid1(VALU_DEP_2)
	v_add_co_ci_u32_e32 v6, vcc_lo, s9, v6, vcc_lo
	global_load_b128 v[5:8], v[5:6], off
	s_waitcnt vmcnt(0)
	v_mul_f64 v[9:10], v[7:8], v[7:8]
	v_mul_f64 v[7:8], v[5:6], v[7:8]
	v_fma_f64 v[5:6], v[5:6], v[5:6], -v[9:10]
	s_delay_alu instid0(VALU_DEP_2) | instskip(NEXT) | instid1(VALU_DEP_2)
	v_fma_f64 v[3:4], v[7:8], 2.0, v[3:4]
	v_add_f64 v[1:2], v[1:2], v[5:6]
.LBB101_3:
	s_or_b32 exec_lo, exec_lo, s6
.LBB101_4:
	s_delay_alu instid0(SALU_CYCLE_1) | instskip(SKIP_2) | instid1(VALU_DEP_2)
	s_or_b32 exec_lo, exec_lo, s2
	v_and_b32_e32 v14, 31, v0
	v_cmp_gt_u32_e32 vcc_lo, 32, v0
	v_lshlrev_b32_e32 v9, 4, v14
	s_and_saveexec_b32 s2, vcc_lo
	s_cbranch_execz .LBB101_6
; %bb.5:
	v_mov_b32_e32 v5, 0
	s_delay_alu instid0(VALU_DEP_1)
	v_mov_b32_e32 v6, v5
	v_mov_b32_e32 v7, v5
	;; [unrolled: 1-line block ×3, first 2 shown]
	ds_store_b128 v9, v[5:8]
.LBB101_6:
	s_or_b32 exec_lo, exec_lo, s2
	v_mbcnt_lo_u32_b32 v13, -1, 0
	s_mov_b32 s6, exec_lo
	s_waitcnt lgkmcnt(0)
	s_barrier
	buffer_gl0_inv
	v_cmp_gt_u32_e64 s2, 16, v13
	s_delay_alu instid0(VALU_DEP_1) | instskip(SKIP_1) | instid1(VALU_DEP_2)
	v_cndmask_b32_e64 v5, 0, 1, s2
	v_cmp_gt_u32_e64 s2, 24, v13
	v_lshlrev_b32_e32 v5, 4, v5
	s_delay_alu instid0(VALU_DEP_1)
	v_add_lshl_u32 v8, v5, v13, 2
	ds_bpermute_b32 v5, v8, v1
	ds_bpermute_b32 v6, v8, v2
	;; [unrolled: 1-line block ×4, first 2 shown]
	s_waitcnt lgkmcnt(2)
	v_add_f64 v[1:2], v[1:2], v[5:6]
	v_cndmask_b32_e64 v5, 0, 1, s2
	s_waitcnt lgkmcnt(0)
	v_add_f64 v[3:4], v[3:4], v[7:8]
	v_cmp_gt_u32_e64 s2, 28, v13
	s_delay_alu instid0(VALU_DEP_3) | instskip(NEXT) | instid1(VALU_DEP_1)
	v_lshlrev_b32_e32 v5, 3, v5
	v_add_lshl_u32 v10, v5, v13, 2
	ds_bpermute_b32 v5, v10, v1
	ds_bpermute_b32 v6, v10, v2
	;; [unrolled: 1-line block ×4, first 2 shown]
	s_waitcnt lgkmcnt(2)
	v_add_f64 v[1:2], v[1:2], v[5:6]
	v_cndmask_b32_e64 v5, 0, 1, s2
	s_waitcnt lgkmcnt(0)
	v_add_f64 v[3:4], v[3:4], v[7:8]
	v_cmp_gt_u32_e64 s2, 30, v13
	s_delay_alu instid0(VALU_DEP_3) | instskip(NEXT) | instid1(VALU_DEP_1)
	v_lshlrev_b32_e32 v5, 2, v5
	v_add_lshl_u32 v11, v5, v13, 2
	ds_bpermute_b32 v5, v11, v1
	ds_bpermute_b32 v6, v11, v2
	;; [unrolled: 1-line block ×4, first 2 shown]
	s_waitcnt lgkmcnt(2)
	v_add_f64 v[1:2], v[1:2], v[5:6]
	v_cndmask_b32_e64 v5, 0, 1, s2
	s_waitcnt lgkmcnt(0)
	v_add_f64 v[3:4], v[3:4], v[7:8]
	v_cmp_ne_u32_e64 s2, 31, v13
	s_delay_alu instid0(VALU_DEP_3) | instskip(NEXT) | instid1(VALU_DEP_1)
	v_lshlrev_b32_e32 v5, 1, v5
	v_add_lshl_u32 v12, v5, v13, 2
	ds_bpermute_b32 v5, v12, v1
	ds_bpermute_b32 v6, v12, v2
	ds_bpermute_b32 v7, v12, v3
	ds_bpermute_b32 v8, v12, v4
	s_waitcnt lgkmcnt(2)
	v_add_f64 v[1:2], v[1:2], v[5:6]
	s_waitcnt lgkmcnt(0)
	v_add_f64 v[5:6], v[3:4], v[7:8]
	v_add_co_ci_u32_e64 v3, s2, 0, v13, s2
	s_delay_alu instid0(VALU_DEP_1)
	v_lshlrev_b32_e32 v13, 2, v3
	ds_bpermute_b32 v3, v13, v1
	ds_bpermute_b32 v4, v13, v2
	ds_bpermute_b32 v7, v13, v5
	ds_bpermute_b32 v8, v13, v6
	v_cmpx_eq_u32_e32 0, v14
	s_cbranch_execz .LBB101_8
; %bb.7:
	s_waitcnt lgkmcnt(0)
	v_add_f64 v[5:6], v[5:6], v[7:8]
	v_add_f64 v[3:4], v[1:2], v[3:4]
	v_lshrrev_b32_e32 v1, 1, v0
	s_delay_alu instid0(VALU_DEP_1)
	v_and_b32_e32 v1, 0xf0, v1
	ds_store_b128 v1, v[3:6]
.LBB101_8:
	s_or_b32 exec_lo, exec_lo, s6
	s_waitcnt lgkmcnt(2)
	v_mov_b32_e32 v3, 0
	v_mov_b32_e32 v4, 0
	s_delay_alu instid0(VALU_DEP_2)
	v_mov_b32_e32 v1, v3
	s_mov_b32 s6, exec_lo
	s_waitcnt lgkmcnt(0)
	s_barrier
	v_mov_b32_e32 v2, v4
	buffer_gl0_inv
	v_cmpx_gt_u32_e32 16, v0
	s_cbranch_execz .LBB101_10
; %bb.9:
	ds_load_b128 v[1:4], v9
.LBB101_10:
	s_or_b32 exec_lo, exec_lo, s6
	s_and_saveexec_b32 s2, vcc_lo
	s_cbranch_execz .LBB101_12
; %bb.11:
	s_waitcnt lgkmcnt(0)
	ds_bpermute_b32 v5, v10, v1
	ds_bpermute_b32 v6, v10, v2
	ds_bpermute_b32 v7, v10, v3
	ds_bpermute_b32 v8, v10, v4
	s_waitcnt lgkmcnt(2)
	v_add_f64 v[1:2], v[1:2], v[5:6]
	s_waitcnt lgkmcnt(0)
	v_add_f64 v[3:4], v[3:4], v[7:8]
	ds_bpermute_b32 v5, v11, v1
	ds_bpermute_b32 v6, v11, v2
	ds_bpermute_b32 v7, v11, v3
	ds_bpermute_b32 v8, v11, v4
	s_waitcnt lgkmcnt(2)
	v_add_f64 v[1:2], v[1:2], v[5:6]
	s_waitcnt lgkmcnt(0)
	v_add_f64 v[3:4], v[3:4], v[7:8]
	;; [unrolled: 8-line block ×4, first 2 shown]
.LBB101_12:
	s_or_b32 exec_lo, exec_lo, s2
	s_delay_alu instid0(SALU_CYCLE_1)
	s_mov_b32 s2, exec_lo
	v_cmpx_eq_u32_e32 0, v0
	s_cbranch_execz .LBB101_18
; %bb.13:
	s_cmp_lg_u32 s3, 1
	s_cbranch_scc0 .LBB101_15
; %bb.14:
	s_load_b64 s[6:7], s[0:1], 0x30
	s_mul_hi_u32 s9, s3, s4
	s_mul_i32 s8, s3, s4
	s_mov_b32 s15, 0
	s_lshl_b64 s[2:3], s[8:9], 4
	s_waitcnt lgkmcnt(0)
	s_add_u32 s6, s6, s2
	s_addc_u32 s7, s7, s3
	s_lshl_b64 s[2:3], s[14:15], 4
	s_delay_alu instid0(SALU_CYCLE_1)
	s_add_u32 s2, s6, s2
	s_addc_u32 s3, s7, s3
	s_cbranch_execz .LBB101_16
	s_branch .LBB101_17
.LBB101_15:
                                        ; implicit-def: $sgpr2_sgpr3
.LBB101_16:
	s_load_b64 s[0:1], s[0:1], 0x38
	s_lshl_b64 s[2:3], s[4:5], 4
	s_waitcnt lgkmcnt(0)
	s_add_u32 s2, s0, s2
	s_addc_u32 s3, s1, s3
.LBB101_17:
	v_mov_b32_e32 v0, 0
	s_waitcnt lgkmcnt(0)
	global_store_b128 v0, v[1:4], s[2:3]
.LBB101_18:
	s_nop 0
	s_sendmsg sendmsg(MSG_DEALLOC_VGPRS)
	s_endpgm
	.section	.rodata,"a",@progbits
	.p2align	6, 0x0
	.amdhsa_kernel _ZL24rocblas_dot_kernel_magsqIiLb0ELi512ELi2ELb0E19rocblas_complex_numIdEPKS1_S1_EviT5_lT_liPT6_PT4_
		.amdhsa_group_segment_fixed_size 512
		.amdhsa_private_segment_fixed_size 0
		.amdhsa_kernarg_size 320
		.amdhsa_user_sgpr_count 14
		.amdhsa_user_sgpr_dispatch_ptr 0
		.amdhsa_user_sgpr_queue_ptr 0
		.amdhsa_user_sgpr_kernarg_segment_ptr 1
		.amdhsa_user_sgpr_dispatch_id 0
		.amdhsa_user_sgpr_private_segment_size 0
		.amdhsa_wavefront_size32 1
		.amdhsa_uses_dynamic_stack 0
		.amdhsa_enable_private_segment 0
		.amdhsa_system_sgpr_workgroup_id_x 1
		.amdhsa_system_sgpr_workgroup_id_y 0
		.amdhsa_system_sgpr_workgroup_id_z 1
		.amdhsa_system_sgpr_workgroup_info 0
		.amdhsa_system_vgpr_workitem_id 0
		.amdhsa_next_free_vgpr 15
		.amdhsa_next_free_sgpr 16
		.amdhsa_reserve_vcc 1
		.amdhsa_float_round_mode_32 0
		.amdhsa_float_round_mode_16_64 0
		.amdhsa_float_denorm_mode_32 3
		.amdhsa_float_denorm_mode_16_64 3
		.amdhsa_dx10_clamp 1
		.amdhsa_ieee_mode 1
		.amdhsa_fp16_overflow 0
		.amdhsa_workgroup_processor_mode 1
		.amdhsa_memory_ordered 1
		.amdhsa_forward_progress 0
		.amdhsa_shared_vgpr_count 0
		.amdhsa_exception_fp_ieee_invalid_op 0
		.amdhsa_exception_fp_denorm_src 0
		.amdhsa_exception_fp_ieee_div_zero 0
		.amdhsa_exception_fp_ieee_overflow 0
		.amdhsa_exception_fp_ieee_underflow 0
		.amdhsa_exception_fp_ieee_inexact 0
		.amdhsa_exception_int_div_zero 0
	.end_amdhsa_kernel
	.section	.text._ZL24rocblas_dot_kernel_magsqIiLb0ELi512ELi2ELb0E19rocblas_complex_numIdEPKS1_S1_EviT5_lT_liPT6_PT4_,"axG",@progbits,_ZL24rocblas_dot_kernel_magsqIiLb0ELi512ELi2ELb0E19rocblas_complex_numIdEPKS1_S1_EviT5_lT_liPT6_PT4_,comdat
.Lfunc_end101:
	.size	_ZL24rocblas_dot_kernel_magsqIiLb0ELi512ELi2ELb0E19rocblas_complex_numIdEPKS1_S1_EviT5_lT_liPT6_PT4_, .Lfunc_end101-_ZL24rocblas_dot_kernel_magsqIiLb0ELi512ELi2ELb0E19rocblas_complex_numIdEPKS1_S1_EviT5_lT_liPT6_PT4_
                                        ; -- End function
	.section	.AMDGPU.csdata,"",@progbits
; Kernel info:
; codeLenInByte = 1352
; NumSgprs: 18
; NumVgprs: 15
; ScratchSize: 0
; MemoryBound: 0
; FloatMode: 240
; IeeeMode: 1
; LDSByteSize: 512 bytes/workgroup (compile time only)
; SGPRBlocks: 2
; VGPRBlocks: 1
; NumSGPRsForWavesPerEU: 18
; NumVGPRsForWavesPerEU: 15
; Occupancy: 16
; WaveLimiterHint : 0
; COMPUTE_PGM_RSRC2:SCRATCH_EN: 0
; COMPUTE_PGM_RSRC2:USER_SGPR: 14
; COMPUTE_PGM_RSRC2:TRAP_HANDLER: 0
; COMPUTE_PGM_RSRC2:TGID_X_EN: 1
; COMPUTE_PGM_RSRC2:TGID_Y_EN: 0
; COMPUTE_PGM_RSRC2:TGID_Z_EN: 1
; COMPUTE_PGM_RSRC2:TIDIG_COMP_CNT: 0
	.section	.text._ZL30rocblas_reduction_kernel_part2ILi512ELi2E25rocblas_finalize_identity19rocblas_complex_numIdES2_EviPT2_PT3_,"axG",@progbits,_ZL30rocblas_reduction_kernel_part2ILi512ELi2E25rocblas_finalize_identity19rocblas_complex_numIdES2_EviPT2_PT3_,comdat
	.globl	_ZL30rocblas_reduction_kernel_part2ILi512ELi2E25rocblas_finalize_identity19rocblas_complex_numIdES2_EviPT2_PT3_ ; -- Begin function _ZL30rocblas_reduction_kernel_part2ILi512ELi2E25rocblas_finalize_identity19rocblas_complex_numIdES2_EviPT2_PT3_
	.p2align	8
	.type	_ZL30rocblas_reduction_kernel_part2ILi512ELi2E25rocblas_finalize_identity19rocblas_complex_numIdES2_EviPT2_PT3_,@function
_ZL30rocblas_reduction_kernel_part2ILi512ELi2E25rocblas_finalize_identity19rocblas_complex_numIdES2_EviPT2_PT3_: ; @_ZL30rocblas_reduction_kernel_part2ILi512ELi2E25rocblas_finalize_identity19rocblas_complex_numIdES2_EviPT2_PT3_
; %bb.0:
	s_clause 0x1
	s_load_b32 s10, s[0:1], 0x0
	s_load_b128 s[4:7], s[0:1], 0x8
	v_mov_b32_e32 v1, 0
	v_dual_mov_b32 v2, 0 :: v_dual_lshlrev_b32 v7, 1, v0
	s_mov_b32 s2, s15
	s_mov_b32 s11, exec_lo
	s_delay_alu instid0(VALU_DEP_1)
	v_dual_mov_b32 v4, v2 :: v_dual_mov_b32 v3, v1
	s_waitcnt lgkmcnt(0)
	s_lshr_b32 s0, s10, 31
	s_ashr_i32 s3, s10, 31
	s_add_i32 s0, s10, s0
	s_mul_hi_u32 s8, s10, s15
	s_and_b32 s1, s0, -2
	s_mul_i32 s0, s3, s15
	s_mov_b32 s3, 0
	s_add_i32 s9, s8, s0
	s_mul_i32 s8, s10, s15
	v_cmpx_gt_i32_e64 s1, v7
	s_cbranch_execz .LBB102_4
; %bb.1:
	v_lshlrev_b32_e32 v3, 5, v0
	s_lshl_b64 s[12:13], s[8:9], 4
	v_mov_b32_e32 v1, 0
	v_mov_b32_e32 v2, 0
	s_add_u32 s0, s4, s12
	s_addc_u32 s12, s5, s13
	v_add_co_u32 v3, s0, s0, v3
	s_delay_alu instid0(VALU_DEP_1) | instskip(SKIP_1) | instid1(VALU_DEP_2)
	v_add_co_ci_u32_e64 v4, null, s12, 0, s0
	s_mov_b32 s12, s3
	v_add_co_u32 v5, vcc_lo, v3, 16
	s_delay_alu instid0(VALU_DEP_2)
	v_add_co_ci_u32_e32 v6, vcc_lo, 0, v4, vcc_lo
	v_dual_mov_b32 v4, v2 :: v_dual_mov_b32 v3, v1
	.p2align	6
.LBB102_2:                              ; =>This Inner Loop Header: Depth=1
	s_clause 0x1
	global_load_b128 v[8:11], v[5:6], off offset:-16
	global_load_b128 v[12:15], v[5:6], off
	v_add_nc_u32_e32 v7, 0x400, v7
	v_add_co_u32 v5, s0, 0x4000, v5
	s_delay_alu instid0(VALU_DEP_1) | instskip(NEXT) | instid1(VALU_DEP_3)
	v_add_co_ci_u32_e64 v6, s0, 0, v6, s0
	v_cmp_le_i32_e32 vcc_lo, s1, v7
	s_or_b32 s12, vcc_lo, s12
	s_waitcnt vmcnt(1)
	v_add_f64 v[3:4], v[3:4], v[8:9]
	v_add_f64 v[1:2], v[1:2], v[10:11]
	s_waitcnt vmcnt(0)
	s_delay_alu instid0(VALU_DEP_2) | instskip(NEXT) | instid1(VALU_DEP_2)
	v_add_f64 v[3:4], v[3:4], v[12:13]
	v_add_f64 v[1:2], v[1:2], v[14:15]
	s_and_not1_b32 exec_lo, exec_lo, s12
	s_cbranch_execnz .LBB102_2
; %bb.3:
	s_or_b32 exec_lo, exec_lo, s12
.LBB102_4:
	s_delay_alu instid0(SALU_CYCLE_1) | instskip(SKIP_1) | instid1(SALU_CYCLE_1)
	s_or_b32 exec_lo, exec_lo, s11
	s_sub_i32 s0, s10, s1
	v_cmp_gt_u32_e32 vcc_lo, s0, v0
	s_and_saveexec_b32 s0, vcc_lo
	s_cbranch_execz .LBB102_6
; %bb.5:
	v_xad_u32 v5, v0, -1, s10
	v_mov_b32_e32 v6, 0
	s_lshl_b64 s[8:9], s[8:9], 4
	s_delay_alu instid0(SALU_CYCLE_1) | instskip(SKIP_1) | instid1(VALU_DEP_1)
	s_add_u32 s1, s4, s8
	s_addc_u32 s4, s5, s9
	v_lshlrev_b64 v[5:6], 4, v[5:6]
	s_delay_alu instid0(VALU_DEP_1) | instskip(NEXT) | instid1(VALU_DEP_2)
	v_add_co_u32 v5, vcc_lo, s1, v5
	v_add_co_ci_u32_e32 v6, vcc_lo, s4, v6, vcc_lo
	global_load_b128 v[5:8], v[5:6], off
	s_waitcnt vmcnt(0)
	v_add_f64 v[3:4], v[3:4], v[5:6]
	v_add_f64 v[1:2], v[1:2], v[7:8]
.LBB102_6:
	s_or_b32 exec_lo, exec_lo, s0
	v_and_b32_e32 v14, 31, v0
	v_cmp_gt_u32_e32 vcc_lo, 32, v0
	s_delay_alu instid0(VALU_DEP_2)
	v_lshlrev_b32_e32 v9, 4, v14
	s_and_saveexec_b32 s0, vcc_lo
	s_cbranch_execz .LBB102_8
; %bb.7:
	v_mov_b32_e32 v5, 0
	s_delay_alu instid0(VALU_DEP_1)
	v_mov_b32_e32 v6, v5
	v_mov_b32_e32 v7, v5
	;; [unrolled: 1-line block ×3, first 2 shown]
	ds_store_b128 v9, v[5:8]
.LBB102_8:
	s_or_b32 exec_lo, exec_lo, s0
	v_mbcnt_lo_u32_b32 v13, -1, 0
	s_mov_b32 s1, exec_lo
	s_waitcnt lgkmcnt(0)
	s_barrier
	buffer_gl0_inv
	v_cmp_gt_u32_e64 s0, 16, v13
	s_delay_alu instid0(VALU_DEP_1) | instskip(SKIP_1) | instid1(VALU_DEP_2)
	v_cndmask_b32_e64 v5, 0, 1, s0
	v_cmp_gt_u32_e64 s0, 24, v13
	v_lshlrev_b32_e32 v5, 4, v5
	s_delay_alu instid0(VALU_DEP_1)
	v_add_lshl_u32 v8, v5, v13, 2
	ds_bpermute_b32 v5, v8, v3
	ds_bpermute_b32 v6, v8, v4
	;; [unrolled: 1-line block ×4, first 2 shown]
	s_waitcnt lgkmcnt(2)
	v_add_f64 v[3:4], v[3:4], v[5:6]
	v_cndmask_b32_e64 v5, 0, 1, s0
	s_waitcnt lgkmcnt(0)
	v_add_f64 v[1:2], v[1:2], v[7:8]
	v_cmp_gt_u32_e64 s0, 28, v13
	s_delay_alu instid0(VALU_DEP_3) | instskip(NEXT) | instid1(VALU_DEP_1)
	v_lshlrev_b32_e32 v5, 3, v5
	v_add_lshl_u32 v10, v5, v13, 2
	ds_bpermute_b32 v5, v10, v3
	ds_bpermute_b32 v6, v10, v4
	;; [unrolled: 1-line block ×4, first 2 shown]
	s_waitcnt lgkmcnt(2)
	v_add_f64 v[3:4], v[3:4], v[5:6]
	v_cndmask_b32_e64 v5, 0, 1, s0
	s_waitcnt lgkmcnt(0)
	v_add_f64 v[1:2], v[1:2], v[7:8]
	v_cmp_gt_u32_e64 s0, 30, v13
	s_delay_alu instid0(VALU_DEP_3) | instskip(NEXT) | instid1(VALU_DEP_1)
	v_lshlrev_b32_e32 v5, 2, v5
	v_add_lshl_u32 v11, v5, v13, 2
	ds_bpermute_b32 v5, v11, v3
	ds_bpermute_b32 v6, v11, v4
	;; [unrolled: 1-line block ×4, first 2 shown]
	s_waitcnt lgkmcnt(2)
	v_add_f64 v[3:4], v[3:4], v[5:6]
	s_waitcnt lgkmcnt(0)
	v_add_f64 v[5:6], v[1:2], v[7:8]
	v_cndmask_b32_e64 v1, 0, 1, s0
	v_cmp_ne_u32_e64 s0, 31, v13
	s_delay_alu instid0(VALU_DEP_2) | instskip(NEXT) | instid1(VALU_DEP_1)
	v_lshlrev_b32_e32 v1, 1, v1
	v_add_lshl_u32 v12, v1, v13, 2
	ds_bpermute_b32 v1, v12, v3
	ds_bpermute_b32 v2, v12, v4
	;; [unrolled: 1-line block ×4, first 2 shown]
	s_waitcnt lgkmcnt(2)
	v_add_f64 v[1:2], v[3:4], v[1:2]
	v_add_co_ci_u32_e64 v3, s0, 0, v13, s0
	s_waitcnt lgkmcnt(0)
	v_add_f64 v[5:6], v[5:6], v[7:8]
	s_delay_alu instid0(VALU_DEP_2)
	v_lshlrev_b32_e32 v13, 2, v3
	ds_bpermute_b32 v3, v13, v1
	ds_bpermute_b32 v4, v13, v2
	;; [unrolled: 1-line block ×4, first 2 shown]
	v_cmpx_eq_u32_e32 0, v14
	s_cbranch_execz .LBB102_10
; %bb.9:
	s_waitcnt lgkmcnt(0)
	v_add_f64 v[5:6], v[5:6], v[7:8]
	v_add_f64 v[3:4], v[1:2], v[3:4]
	v_lshrrev_b32_e32 v1, 1, v0
	s_delay_alu instid0(VALU_DEP_1)
	v_and_b32_e32 v1, 0xf0, v1
	ds_store_b128 v1, v[3:6]
.LBB102_10:
	s_or_b32 exec_lo, exec_lo, s1
	s_waitcnt lgkmcnt(2)
	v_mov_b32_e32 v3, 0
	v_mov_b32_e32 v4, 0
	s_delay_alu instid0(VALU_DEP_2)
	v_mov_b32_e32 v1, v3
	s_mov_b32 s1, exec_lo
	s_waitcnt lgkmcnt(0)
	s_barrier
	v_mov_b32_e32 v2, v4
	buffer_gl0_inv
	v_cmpx_gt_u32_e32 16, v0
	s_cbranch_execz .LBB102_12
; %bb.11:
	ds_load_b128 v[1:4], v9
.LBB102_12:
	s_or_b32 exec_lo, exec_lo, s1
	s_and_saveexec_b32 s0, vcc_lo
	s_cbranch_execz .LBB102_14
; %bb.13:
	s_waitcnt lgkmcnt(0)
	ds_bpermute_b32 v5, v10, v1
	ds_bpermute_b32 v6, v10, v2
	ds_bpermute_b32 v7, v10, v3
	ds_bpermute_b32 v8, v10, v4
	s_waitcnt lgkmcnt(2)
	v_add_f64 v[1:2], v[1:2], v[5:6]
	s_waitcnt lgkmcnt(0)
	v_add_f64 v[3:4], v[3:4], v[7:8]
	ds_bpermute_b32 v5, v11, v1
	ds_bpermute_b32 v6, v11, v2
	ds_bpermute_b32 v7, v11, v3
	ds_bpermute_b32 v8, v11, v4
	s_waitcnt lgkmcnt(2)
	v_add_f64 v[1:2], v[1:2], v[5:6]
	s_waitcnt lgkmcnt(0)
	v_add_f64 v[3:4], v[3:4], v[7:8]
	;; [unrolled: 8-line block ×4, first 2 shown]
.LBB102_14:
	s_or_b32 exec_lo, exec_lo, s0
	s_delay_alu instid0(SALU_CYCLE_1)
	s_mov_b32 s0, exec_lo
	v_cmpx_eq_u32_e32 0, v0
	s_cbranch_execz .LBB102_16
; %bb.15:
	s_lshl_b64 s[0:1], s[2:3], 4
	v_mov_b32_e32 v0, 0
	s_add_u32 s0, s6, s0
	s_addc_u32 s1, s7, s1
	s_waitcnt lgkmcnt(0)
	global_store_b128 v0, v[1:4], s[0:1]
.LBB102_16:
	s_nop 0
	s_sendmsg sendmsg(MSG_DEALLOC_VGPRS)
	s_endpgm
	.section	.rodata,"a",@progbits
	.p2align	6, 0x0
	.amdhsa_kernel _ZL30rocblas_reduction_kernel_part2ILi512ELi2E25rocblas_finalize_identity19rocblas_complex_numIdES2_EviPT2_PT3_
		.amdhsa_group_segment_fixed_size 512
		.amdhsa_private_segment_fixed_size 0
		.amdhsa_kernarg_size 24
		.amdhsa_user_sgpr_count 15
		.amdhsa_user_sgpr_dispatch_ptr 0
		.amdhsa_user_sgpr_queue_ptr 0
		.amdhsa_user_sgpr_kernarg_segment_ptr 1
		.amdhsa_user_sgpr_dispatch_id 0
		.amdhsa_user_sgpr_private_segment_size 0
		.amdhsa_wavefront_size32 1
		.amdhsa_uses_dynamic_stack 0
		.amdhsa_enable_private_segment 0
		.amdhsa_system_sgpr_workgroup_id_x 1
		.amdhsa_system_sgpr_workgroup_id_y 0
		.amdhsa_system_sgpr_workgroup_id_z 0
		.amdhsa_system_sgpr_workgroup_info 0
		.amdhsa_system_vgpr_workitem_id 0
		.amdhsa_next_free_vgpr 16
		.amdhsa_next_free_sgpr 16
		.amdhsa_reserve_vcc 1
		.amdhsa_float_round_mode_32 0
		.amdhsa_float_round_mode_16_64 0
		.amdhsa_float_denorm_mode_32 3
		.amdhsa_float_denorm_mode_16_64 3
		.amdhsa_dx10_clamp 1
		.amdhsa_ieee_mode 1
		.amdhsa_fp16_overflow 0
		.amdhsa_workgroup_processor_mode 1
		.amdhsa_memory_ordered 1
		.amdhsa_forward_progress 0
		.amdhsa_shared_vgpr_count 0
		.amdhsa_exception_fp_ieee_invalid_op 0
		.amdhsa_exception_fp_denorm_src 0
		.amdhsa_exception_fp_ieee_div_zero 0
		.amdhsa_exception_fp_ieee_overflow 0
		.amdhsa_exception_fp_ieee_underflow 0
		.amdhsa_exception_fp_ieee_inexact 0
		.amdhsa_exception_int_div_zero 0
	.end_amdhsa_kernel
	.section	.text._ZL30rocblas_reduction_kernel_part2ILi512ELi2E25rocblas_finalize_identity19rocblas_complex_numIdES2_EviPT2_PT3_,"axG",@progbits,_ZL30rocblas_reduction_kernel_part2ILi512ELi2E25rocblas_finalize_identity19rocblas_complex_numIdES2_EviPT2_PT3_,comdat
.Lfunc_end102:
	.size	_ZL30rocblas_reduction_kernel_part2ILi512ELi2E25rocblas_finalize_identity19rocblas_complex_numIdES2_EviPT2_PT3_, .Lfunc_end102-_ZL30rocblas_reduction_kernel_part2ILi512ELi2E25rocblas_finalize_identity19rocblas_complex_numIdES2_EviPT2_PT3_
                                        ; -- End function
	.section	.AMDGPU.csdata,"",@progbits
; Kernel info:
; codeLenInByte = 1312
; NumSgprs: 18
; NumVgprs: 16
; ScratchSize: 0
; MemoryBound: 0
; FloatMode: 240
; IeeeMode: 1
; LDSByteSize: 512 bytes/workgroup (compile time only)
; SGPRBlocks: 2
; VGPRBlocks: 1
; NumSGPRsForWavesPerEU: 18
; NumVGPRsForWavesPerEU: 16
; Occupancy: 16
; WaveLimiterHint : 0
; COMPUTE_PGM_RSRC2:SCRATCH_EN: 0
; COMPUTE_PGM_RSRC2:USER_SGPR: 15
; COMPUTE_PGM_RSRC2:TRAP_HANDLER: 0
; COMPUTE_PGM_RSRC2:TGID_X_EN: 1
; COMPUTE_PGM_RSRC2:TGID_Y_EN: 0
; COMPUTE_PGM_RSRC2:TGID_Z_EN: 0
; COMPUTE_PGM_RSRC2:TIDIG_COMP_CNT: 0
	.section	.text._ZL28rocblas_dot_batched_4_kernelIlLi32ELi4ELb0E19rocblas_complex_numIdES1_PKS1_EviT5_lT_lS4_lS5_liPT4_,"axG",@progbits,_ZL28rocblas_dot_batched_4_kernelIlLi32ELi4ELb0E19rocblas_complex_numIdES1_PKS1_EviT5_lT_lS4_lS5_liPT4_,comdat
	.globl	_ZL28rocblas_dot_batched_4_kernelIlLi32ELi4ELb0E19rocblas_complex_numIdES1_PKS1_EviT5_lT_lS4_lS5_liPT4_ ; -- Begin function _ZL28rocblas_dot_batched_4_kernelIlLi32ELi4ELb0E19rocblas_complex_numIdES1_PKS1_EviT5_lT_lS4_lS5_liPT4_
	.p2align	8
	.type	_ZL28rocblas_dot_batched_4_kernelIlLi32ELi4ELb0E19rocblas_complex_numIdES1_PKS1_EviT5_lT_lS4_lS5_liPT4_,@function
_ZL28rocblas_dot_batched_4_kernelIlLi32ELi4ELb0E19rocblas_complex_numIdES1_PKS1_EviT5_lT_lS4_lS5_liPT4_: ; @_ZL28rocblas_dot_batched_4_kernelIlLi32ELi4ELb0E19rocblas_complex_numIdES1_PKS1_EviT5_lT_lS4_lS5_liPT4_
; %bb.0:
	s_load_b32 s2, s[0:1], 0x48
	v_bfe_u32 v1, v0, 10, 10
	s_delay_alu instid0(VALU_DEP_1) | instskip(SKIP_1) | instid1(VALU_DEP_1)
	v_lshl_add_u32 v1, s15, 2, v1
	s_waitcnt lgkmcnt(0)
	v_cmp_gt_u32_e32 vcc_lo, s2, v1
	s_and_saveexec_b32 s2, vcc_lo
	s_cbranch_execz .LBB103_7
; %bb.1:
	s_clause 0x1
	s_load_b32 s16, s[0:1], 0x0
	s_load_b64 s[2:3], s[0:1], 0x50
	v_dual_mov_b32 v3, 0 :: v_dual_and_b32 v0, 0x3ff, v0
	v_mov_b32_e32 v4, 0
	v_mov_b32_e32 v2, 0
	s_mov_b32 s17, exec_lo
	s_delay_alu instid0(VALU_DEP_2)
	v_dual_mov_b32 v6, v4 :: v_dual_mov_b32 v5, v3
	s_waitcnt lgkmcnt(0)
	v_cmpx_gt_i32_e64 s16, v0
	s_cbranch_execz .LBB103_5
; %bb.2:
	s_clause 0x3
	s_load_b256 s[4:11], s[0:1], 0x20
	s_load_b64 s[18:19], s[0:1], 0x40
	s_load_b128 s[12:15], s[0:1], 0x10
	s_load_b64 s[0:1], s[0:1], 0x8
	s_waitcnt lgkmcnt(0)
	v_mad_u64_u32 v[5:6], null, s10, v0, 0
	v_mad_u64_u32 v[7:8], null, s18, v1, 0
	;; [unrolled: 1-line block ×4, first 2 shown]
	s_lshl_b64 s[8:9], s[8:9], 4
	s_delay_alu instid0(VALU_DEP_3) | instskip(NEXT) | instid1(VALU_DEP_3)
	v_mad_u64_u32 v[13:14], null, s11, v0, v[6:7]
	v_mad_u64_u32 v[14:15], null, s19, v1, v[8:9]
	s_delay_alu instid0(VALU_DEP_3)
	v_mad_u64_u32 v[15:16], null, s15, v0, v[10:11]
	v_mov_b32_e32 v3, 0
	v_mov_b32_e32 v4, 0
	v_mad_u64_u32 v[16:17], null, s5, v1, v[12:13]
	v_mov_b32_e32 v6, v13
	v_mov_b32_e32 v8, v14
	;; [unrolled: 1-line block ×3, first 2 shown]
	s_add_u32 s8, s6, s8
	s_addc_u32 s9, s7, s9
	v_lshlrev_b64 v[5:6], 4, v[5:6]
	v_mov_b32_e32 v12, v16
	v_lshlrev_b64 v[7:8], 4, v[7:8]
	v_lshlrev_b64 v[9:10], 4, v[9:10]
	s_lshl_b64 s[6:7], s[12:13], 4
	s_lshl_b64 s[4:5], s[10:11], 9
	v_lshlrev_b64 v[11:12], 4, v[11:12]
	s_add_u32 s0, s0, s6
	v_add_co_u32 v5, vcc_lo, v5, v7
	v_add_co_ci_u32_e32 v6, vcc_lo, v6, v8, vcc_lo
	s_delay_alu instid0(VALU_DEP_3) | instskip(NEXT) | instid1(VALU_DEP_4)
	v_add_co_u32 v7, vcc_lo, v9, v11
	v_add_co_ci_u32_e32 v8, vcc_lo, v10, v12, vcc_lo
	s_delay_alu instid0(VALU_DEP_4) | instskip(NEXT) | instid1(VALU_DEP_4)
	v_add_co_u32 v5, vcc_lo, s8, v5
	v_add_co_ci_u32_e32 v6, vcc_lo, s9, v6, vcc_lo
	s_addc_u32 s1, s1, s7
	v_add_co_u32 v9, vcc_lo, s0, v7
	v_add_co_ci_u32_e32 v10, vcc_lo, s1, v8, vcc_lo
	v_add_co_u32 v7, vcc_lo, v5, 8
	v_add_co_ci_u32_e32 v8, vcc_lo, 0, v6, vcc_lo
	s_delay_alu instid0(VALU_DEP_4)
	v_add_co_u32 v9, vcc_lo, v9, 8
	v_mov_b32_e32 v11, v0
	v_dual_mov_b32 v6, v4 :: v_dual_mov_b32 v5, v3
	v_add_co_ci_u32_e32 v10, vcc_lo, 0, v10, vcc_lo
	s_lshl_b64 s[6:7], s[14:15], 9
	s_mov_b32 s1, 0
	.p2align	6
.LBB103_3:                              ; =>This Inner Loop Header: Depth=1
	global_load_b128 v[12:15], v[9:10], off offset:-8
	global_load_b128 v[16:19], v[7:8], off offset:-8
	v_add_nc_u32_e32 v11, 32, v11
	v_add_co_u32 v7, vcc_lo, v7, s4
	v_add_co_ci_u32_e32 v8, vcc_lo, s5, v8, vcc_lo
	s_delay_alu instid0(VALU_DEP_3) | instskip(SKIP_1) | instid1(VALU_DEP_1)
	v_cmp_le_i32_e32 vcc_lo, s16, v11
	v_add_co_u32 v9, s0, v9, s6
	v_add_co_ci_u32_e64 v10, s0, s7, v10, s0
	s_or_b32 s1, vcc_lo, s1
	s_waitcnt vmcnt(0)
	v_mul_f64 v[20:21], v[14:15], v[18:19]
	v_mul_f64 v[18:19], v[12:13], v[18:19]
	s_delay_alu instid0(VALU_DEP_2) | instskip(NEXT) | instid1(VALU_DEP_2)
	v_fma_f64 v[12:13], v[12:13], v[16:17], -v[20:21]
	v_fma_f64 v[14:15], v[14:15], v[16:17], v[18:19]
	s_delay_alu instid0(VALU_DEP_2) | instskip(NEXT) | instid1(VALU_DEP_2)
	v_add_f64 v[3:4], v[3:4], v[12:13]
	v_add_f64 v[5:6], v[5:6], v[14:15]
	s_and_not1_b32 exec_lo, exec_lo, s1
	s_cbranch_execnz .LBB103_3
; %bb.4:
	s_or_b32 exec_lo, exec_lo, s1
.LBB103_5:
	s_delay_alu instid0(SALU_CYCLE_1)
	s_or_b32 exec_lo, exec_lo, s17
	v_mbcnt_lo_u32_b32 v11, -1, 0
	s_barrier
	buffer_gl0_inv
	v_cmp_gt_u32_e32 vcc_lo, 16, v11
	v_cndmask_b32_e64 v7, 0, 1, vcc_lo
	v_cmp_gt_u32_e32 vcc_lo, 24, v11
	s_delay_alu instid0(VALU_DEP_2) | instskip(NEXT) | instid1(VALU_DEP_1)
	v_lshlrev_b32_e32 v7, 4, v7
	v_add_lshl_u32 v10, v7, v11, 2
	ds_bpermute_b32 v7, v10, v3
	ds_bpermute_b32 v8, v10, v4
	;; [unrolled: 1-line block ×4, first 2 shown]
	s_waitcnt lgkmcnt(2)
	v_add_f64 v[3:4], v[3:4], v[7:8]
	v_cndmask_b32_e64 v7, 0, 1, vcc_lo
	s_waitcnt lgkmcnt(0)
	v_add_f64 v[5:6], v[5:6], v[9:10]
	v_cmp_gt_u32_e32 vcc_lo, 28, v11
	s_delay_alu instid0(VALU_DEP_3) | instskip(NEXT) | instid1(VALU_DEP_1)
	v_lshlrev_b32_e32 v7, 3, v7
	v_add_lshl_u32 v10, v7, v11, 2
	ds_bpermute_b32 v7, v10, v3
	ds_bpermute_b32 v8, v10, v4
	;; [unrolled: 1-line block ×4, first 2 shown]
	s_waitcnt lgkmcnt(2)
	v_add_f64 v[3:4], v[3:4], v[7:8]
	v_cndmask_b32_e64 v7, 0, 1, vcc_lo
	s_waitcnt lgkmcnt(0)
	v_add_f64 v[5:6], v[5:6], v[9:10]
	v_cmp_gt_u32_e32 vcc_lo, 30, v11
	s_delay_alu instid0(VALU_DEP_3) | instskip(NEXT) | instid1(VALU_DEP_1)
	v_lshlrev_b32_e32 v7, 2, v7
	v_add_lshl_u32 v10, v7, v11, 2
	ds_bpermute_b32 v7, v10, v3
	ds_bpermute_b32 v8, v10, v4
	;; [unrolled: 1-line block ×4, first 2 shown]
	s_waitcnt lgkmcnt(2)
	v_add_f64 v[3:4], v[3:4], v[7:8]
	v_cndmask_b32_e64 v7, 0, 1, vcc_lo
	s_waitcnt lgkmcnt(0)
	v_add_f64 v[5:6], v[5:6], v[9:10]
	v_cmp_ne_u32_e32 vcc_lo, 31, v11
	s_delay_alu instid0(VALU_DEP_3) | instskip(NEXT) | instid1(VALU_DEP_1)
	v_lshlrev_b32_e32 v7, 1, v7
	v_add_lshl_u32 v10, v7, v11, 2
	ds_bpermute_b32 v7, v10, v3
	ds_bpermute_b32 v8, v10, v4
	;; [unrolled: 1-line block ×4, first 2 shown]
	s_waitcnt lgkmcnt(2)
	v_add_f64 v[3:4], v[3:4], v[7:8]
	s_waitcnt lgkmcnt(0)
	v_add_f64 v[7:8], v[5:6], v[9:10]
	v_add_co_ci_u32_e32 v5, vcc_lo, 0, v11, vcc_lo
	v_cmp_eq_u32_e32 vcc_lo, 0, v0
	s_delay_alu instid0(VALU_DEP_2)
	v_lshlrev_b32_e32 v10, 2, v5
	ds_bpermute_b32 v5, v10, v3
	ds_bpermute_b32 v6, v10, v4
	;; [unrolled: 1-line block ×4, first 2 shown]
	s_and_b32 exec_lo, exec_lo, vcc_lo
	s_cbranch_execz .LBB103_7
; %bb.6:
	s_waitcnt lgkmcnt(0)
	v_add_f64 v[7:8], v[7:8], v[9:10]
	v_add_f64 v[5:6], v[3:4], v[5:6]
	v_lshlrev_b64 v[0:1], 4, v[1:2]
	s_delay_alu instid0(VALU_DEP_1) | instskip(NEXT) | instid1(VALU_DEP_2)
	v_add_co_u32 v0, vcc_lo, s2, v0
	v_add_co_ci_u32_e32 v1, vcc_lo, s3, v1, vcc_lo
	global_store_b128 v[0:1], v[5:8], off
.LBB103_7:
	s_nop 0
	s_sendmsg sendmsg(MSG_DEALLOC_VGPRS)
	s_endpgm
	.section	.rodata,"a",@progbits
	.p2align	6, 0x0
	.amdhsa_kernel _ZL28rocblas_dot_batched_4_kernelIlLi32ELi4ELb0E19rocblas_complex_numIdES1_PKS1_EviT5_lT_lS4_lS5_liPT4_
		.amdhsa_group_segment_fixed_size 0
		.amdhsa_private_segment_fixed_size 0
		.amdhsa_kernarg_size 88
		.amdhsa_user_sgpr_count 15
		.amdhsa_user_sgpr_dispatch_ptr 0
		.amdhsa_user_sgpr_queue_ptr 0
		.amdhsa_user_sgpr_kernarg_segment_ptr 1
		.amdhsa_user_sgpr_dispatch_id 0
		.amdhsa_user_sgpr_private_segment_size 0
		.amdhsa_wavefront_size32 1
		.amdhsa_uses_dynamic_stack 0
		.amdhsa_enable_private_segment 0
		.amdhsa_system_sgpr_workgroup_id_x 1
		.amdhsa_system_sgpr_workgroup_id_y 0
		.amdhsa_system_sgpr_workgroup_id_z 0
		.amdhsa_system_sgpr_workgroup_info 0
		.amdhsa_system_vgpr_workitem_id 1
		.amdhsa_next_free_vgpr 22
		.amdhsa_next_free_sgpr 20
		.amdhsa_reserve_vcc 1
		.amdhsa_float_round_mode_32 0
		.amdhsa_float_round_mode_16_64 0
		.amdhsa_float_denorm_mode_32 3
		.amdhsa_float_denorm_mode_16_64 3
		.amdhsa_dx10_clamp 1
		.amdhsa_ieee_mode 1
		.amdhsa_fp16_overflow 0
		.amdhsa_workgroup_processor_mode 1
		.amdhsa_memory_ordered 1
		.amdhsa_forward_progress 0
		.amdhsa_shared_vgpr_count 0
		.amdhsa_exception_fp_ieee_invalid_op 0
		.amdhsa_exception_fp_denorm_src 0
		.amdhsa_exception_fp_ieee_div_zero 0
		.amdhsa_exception_fp_ieee_overflow 0
		.amdhsa_exception_fp_ieee_underflow 0
		.amdhsa_exception_fp_ieee_inexact 0
		.amdhsa_exception_int_div_zero 0
	.end_amdhsa_kernel
	.section	.text._ZL28rocblas_dot_batched_4_kernelIlLi32ELi4ELb0E19rocblas_complex_numIdES1_PKS1_EviT5_lT_lS4_lS5_liPT4_,"axG",@progbits,_ZL28rocblas_dot_batched_4_kernelIlLi32ELi4ELb0E19rocblas_complex_numIdES1_PKS1_EviT5_lT_lS4_lS5_liPT4_,comdat
.Lfunc_end103:
	.size	_ZL28rocblas_dot_batched_4_kernelIlLi32ELi4ELb0E19rocblas_complex_numIdES1_PKS1_EviT5_lT_lS4_lS5_liPT4_, .Lfunc_end103-_ZL28rocblas_dot_batched_4_kernelIlLi32ELi4ELb0E19rocblas_complex_numIdES1_PKS1_EviT5_lT_lS4_lS5_liPT4_
                                        ; -- End function
	.section	.AMDGPU.csdata,"",@progbits
; Kernel info:
; codeLenInByte = 1036
; NumSgprs: 22
; NumVgprs: 22
; ScratchSize: 0
; MemoryBound: 0
; FloatMode: 240
; IeeeMode: 1
; LDSByteSize: 0 bytes/workgroup (compile time only)
; SGPRBlocks: 2
; VGPRBlocks: 2
; NumSGPRsForWavesPerEU: 22
; NumVGPRsForWavesPerEU: 22
; Occupancy: 16
; WaveLimiterHint : 0
; COMPUTE_PGM_RSRC2:SCRATCH_EN: 0
; COMPUTE_PGM_RSRC2:USER_SGPR: 15
; COMPUTE_PGM_RSRC2:TRAP_HANDLER: 0
; COMPUTE_PGM_RSRC2:TGID_X_EN: 1
; COMPUTE_PGM_RSRC2:TGID_Y_EN: 0
; COMPUTE_PGM_RSRC2:TGID_Z_EN: 0
; COMPUTE_PGM_RSRC2:TIDIG_COMP_CNT: 1
	.section	.text._ZL28rocblas_dot_batched_4_kernelIlLi64ELi4ELb0E19rocblas_complex_numIdES1_PKS1_EviT5_lT_lS4_lS5_liPT4_,"axG",@progbits,_ZL28rocblas_dot_batched_4_kernelIlLi64ELi4ELb0E19rocblas_complex_numIdES1_PKS1_EviT5_lT_lS4_lS5_liPT4_,comdat
	.globl	_ZL28rocblas_dot_batched_4_kernelIlLi64ELi4ELb0E19rocblas_complex_numIdES1_PKS1_EviT5_lT_lS4_lS5_liPT4_ ; -- Begin function _ZL28rocblas_dot_batched_4_kernelIlLi64ELi4ELb0E19rocblas_complex_numIdES1_PKS1_EviT5_lT_lS4_lS5_liPT4_
	.p2align	8
	.type	_ZL28rocblas_dot_batched_4_kernelIlLi64ELi4ELb0E19rocblas_complex_numIdES1_PKS1_EviT5_lT_lS4_lS5_liPT4_,@function
_ZL28rocblas_dot_batched_4_kernelIlLi64ELi4ELb0E19rocblas_complex_numIdES1_PKS1_EviT5_lT_lS4_lS5_liPT4_: ; @_ZL28rocblas_dot_batched_4_kernelIlLi64ELi4ELb0E19rocblas_complex_numIdES1_PKS1_EviT5_lT_lS4_lS5_liPT4_
; %bb.0:
	s_load_b32 s2, s[0:1], 0x48
	v_bfe_u32 v1, v0, 10, 10
	s_delay_alu instid0(VALU_DEP_1) | instskip(SKIP_1) | instid1(VALU_DEP_1)
	v_lshl_add_u32 v1, s15, 2, v1
	s_waitcnt lgkmcnt(0)
	v_cmp_gt_u32_e32 vcc_lo, s2, v1
	s_and_saveexec_b32 s2, vcc_lo
	s_cbranch_execz .LBB104_7
; %bb.1:
	s_clause 0x1
	s_load_b32 s16, s[0:1], 0x0
	s_load_b64 s[2:3], s[0:1], 0x50
	v_dual_mov_b32 v3, 0 :: v_dual_and_b32 v0, 0x3ff, v0
	v_mov_b32_e32 v4, 0
	v_mov_b32_e32 v2, 0
	s_mov_b32 s17, exec_lo
	s_delay_alu instid0(VALU_DEP_2)
	v_dual_mov_b32 v6, v4 :: v_dual_mov_b32 v5, v3
	s_waitcnt lgkmcnt(0)
	v_cmpx_gt_i32_e64 s16, v0
	s_cbranch_execz .LBB104_5
; %bb.2:
	s_clause 0x3
	s_load_b256 s[4:11], s[0:1], 0x20
	s_load_b64 s[18:19], s[0:1], 0x40
	s_load_b128 s[12:15], s[0:1], 0x10
	s_load_b64 s[0:1], s[0:1], 0x8
	s_waitcnt lgkmcnt(0)
	v_mad_u64_u32 v[5:6], null, s10, v0, 0
	v_mad_u64_u32 v[7:8], null, s18, v1, 0
	;; [unrolled: 1-line block ×4, first 2 shown]
	s_lshl_b64 s[8:9], s[8:9], 4
	s_delay_alu instid0(VALU_DEP_3) | instskip(NEXT) | instid1(VALU_DEP_3)
	v_mad_u64_u32 v[13:14], null, s11, v0, v[6:7]
	v_mad_u64_u32 v[14:15], null, s19, v1, v[8:9]
	s_delay_alu instid0(VALU_DEP_3)
	v_mad_u64_u32 v[15:16], null, s15, v0, v[10:11]
	v_mov_b32_e32 v3, 0
	v_mov_b32_e32 v4, 0
	v_mad_u64_u32 v[16:17], null, s5, v1, v[12:13]
	v_mov_b32_e32 v6, v13
	v_mov_b32_e32 v8, v14
	;; [unrolled: 1-line block ×3, first 2 shown]
	s_add_u32 s8, s6, s8
	s_addc_u32 s9, s7, s9
	v_lshlrev_b64 v[5:6], 4, v[5:6]
	v_mov_b32_e32 v12, v16
	v_lshlrev_b64 v[7:8], 4, v[7:8]
	v_lshlrev_b64 v[9:10], 4, v[9:10]
	s_lshl_b64 s[6:7], s[12:13], 4
	s_lshl_b64 s[4:5], s[10:11], 10
	v_lshlrev_b64 v[11:12], 4, v[11:12]
	s_add_u32 s0, s0, s6
	v_add_co_u32 v5, vcc_lo, v5, v7
	v_add_co_ci_u32_e32 v6, vcc_lo, v6, v8, vcc_lo
	s_delay_alu instid0(VALU_DEP_3) | instskip(NEXT) | instid1(VALU_DEP_4)
	v_add_co_u32 v7, vcc_lo, v9, v11
	v_add_co_ci_u32_e32 v8, vcc_lo, v10, v12, vcc_lo
	s_delay_alu instid0(VALU_DEP_4) | instskip(NEXT) | instid1(VALU_DEP_4)
	v_add_co_u32 v5, vcc_lo, s8, v5
	v_add_co_ci_u32_e32 v6, vcc_lo, s9, v6, vcc_lo
	s_addc_u32 s1, s1, s7
	v_add_co_u32 v9, vcc_lo, s0, v7
	v_add_co_ci_u32_e32 v10, vcc_lo, s1, v8, vcc_lo
	v_add_co_u32 v7, vcc_lo, v5, 8
	v_add_co_ci_u32_e32 v8, vcc_lo, 0, v6, vcc_lo
	s_delay_alu instid0(VALU_DEP_4)
	v_add_co_u32 v9, vcc_lo, v9, 8
	v_mov_b32_e32 v11, v0
	v_dual_mov_b32 v6, v4 :: v_dual_mov_b32 v5, v3
	v_add_co_ci_u32_e32 v10, vcc_lo, 0, v10, vcc_lo
	s_lshl_b64 s[6:7], s[14:15], 10
	s_mov_b32 s1, 0
	.p2align	6
.LBB104_3:                              ; =>This Inner Loop Header: Depth=1
	global_load_b128 v[12:15], v[9:10], off offset:-8
	global_load_b128 v[16:19], v[7:8], off offset:-8
	v_add_nc_u32_e32 v11, 64, v11
	v_add_co_u32 v7, vcc_lo, v7, s4
	v_add_co_ci_u32_e32 v8, vcc_lo, s5, v8, vcc_lo
	s_delay_alu instid0(VALU_DEP_3) | instskip(SKIP_1) | instid1(VALU_DEP_1)
	v_cmp_le_i32_e32 vcc_lo, s16, v11
	v_add_co_u32 v9, s0, v9, s6
	v_add_co_ci_u32_e64 v10, s0, s7, v10, s0
	s_or_b32 s1, vcc_lo, s1
	s_waitcnt vmcnt(0)
	v_mul_f64 v[20:21], v[14:15], v[18:19]
	v_mul_f64 v[18:19], v[12:13], v[18:19]
	s_delay_alu instid0(VALU_DEP_2) | instskip(NEXT) | instid1(VALU_DEP_2)
	v_fma_f64 v[12:13], v[12:13], v[16:17], -v[20:21]
	v_fma_f64 v[14:15], v[14:15], v[16:17], v[18:19]
	s_delay_alu instid0(VALU_DEP_2) | instskip(NEXT) | instid1(VALU_DEP_2)
	v_add_f64 v[3:4], v[3:4], v[12:13]
	v_add_f64 v[5:6], v[5:6], v[14:15]
	s_and_not1_b32 exec_lo, exec_lo, s1
	s_cbranch_execnz .LBB104_3
; %bb.4:
	s_or_b32 exec_lo, exec_lo, s1
.LBB104_5:
	s_delay_alu instid0(SALU_CYCLE_1)
	s_or_b32 exec_lo, exec_lo, s17
	v_mbcnt_lo_u32_b32 v11, -1, 0
	s_barrier
	buffer_gl0_inv
	v_lshlrev_b32_e32 v10, 2, v11
	v_cmp_gt_u32_e32 vcc_lo, 16, v11
	ds_bpermute_b32 v7, v10, v3
	ds_bpermute_b32 v8, v10, v4
	ds_bpermute_b32 v9, v10, v5
	ds_bpermute_b32 v10, v10, v6
	s_waitcnt lgkmcnt(2)
	v_add_f64 v[3:4], v[3:4], v[7:8]
	v_cndmask_b32_e64 v7, 0, 1, vcc_lo
	s_waitcnt lgkmcnt(0)
	v_add_f64 v[5:6], v[5:6], v[9:10]
	v_cmp_gt_u32_e32 vcc_lo, 24, v11
	s_delay_alu instid0(VALU_DEP_3) | instskip(NEXT) | instid1(VALU_DEP_1)
	v_lshlrev_b32_e32 v7, 4, v7
	v_add_lshl_u32 v10, v7, v11, 2
	ds_bpermute_b32 v7, v10, v3
	ds_bpermute_b32 v8, v10, v4
	ds_bpermute_b32 v9, v10, v5
	ds_bpermute_b32 v10, v10, v6
	s_waitcnt lgkmcnt(2)
	v_add_f64 v[3:4], v[3:4], v[7:8]
	v_cndmask_b32_e64 v7, 0, 1, vcc_lo
	s_waitcnt lgkmcnt(0)
	v_add_f64 v[5:6], v[5:6], v[9:10]
	v_cmp_gt_u32_e32 vcc_lo, 28, v11
	s_delay_alu instid0(VALU_DEP_3) | instskip(NEXT) | instid1(VALU_DEP_1)
	v_lshlrev_b32_e32 v7, 3, v7
	v_add_lshl_u32 v10, v7, v11, 2
	;; [unrolled: 13-line block ×3, first 2 shown]
	ds_bpermute_b32 v7, v10, v3
	ds_bpermute_b32 v8, v10, v4
	;; [unrolled: 1-line block ×4, first 2 shown]
	s_waitcnt lgkmcnt(2)
	v_add_f64 v[3:4], v[3:4], v[7:8]
	v_cndmask_b32_e64 v7, 0, 1, vcc_lo
	s_waitcnt lgkmcnt(0)
	v_add_f64 v[5:6], v[5:6], v[9:10]
	v_cmp_ne_u32_e32 vcc_lo, 31, v11
	s_delay_alu instid0(VALU_DEP_3) | instskip(NEXT) | instid1(VALU_DEP_1)
	v_lshlrev_b32_e32 v7, 1, v7
	v_add_lshl_u32 v10, v7, v11, 2
	ds_bpermute_b32 v7, v10, v3
	ds_bpermute_b32 v8, v10, v4
	;; [unrolled: 1-line block ×4, first 2 shown]
	s_waitcnt lgkmcnt(2)
	v_add_f64 v[3:4], v[3:4], v[7:8]
	s_waitcnt lgkmcnt(0)
	v_add_f64 v[7:8], v[5:6], v[9:10]
	v_add_co_ci_u32_e32 v5, vcc_lo, 0, v11, vcc_lo
	v_cmp_eq_u32_e32 vcc_lo, 0, v0
	s_delay_alu instid0(VALU_DEP_2)
	v_lshlrev_b32_e32 v10, 2, v5
	ds_bpermute_b32 v5, v10, v3
	ds_bpermute_b32 v6, v10, v4
	;; [unrolled: 1-line block ×4, first 2 shown]
	s_and_b32 exec_lo, exec_lo, vcc_lo
	s_cbranch_execz .LBB104_7
; %bb.6:
	s_waitcnt lgkmcnt(0)
	v_add_f64 v[7:8], v[7:8], v[9:10]
	v_add_f64 v[5:6], v[3:4], v[5:6]
	v_lshlrev_b64 v[0:1], 4, v[1:2]
	s_delay_alu instid0(VALU_DEP_1) | instskip(NEXT) | instid1(VALU_DEP_2)
	v_add_co_u32 v0, vcc_lo, s2, v0
	v_add_co_ci_u32_e32 v1, vcc_lo, s3, v1, vcc_lo
	global_store_b128 v[0:1], v[5:8], off
.LBB104_7:
	s_nop 0
	s_sendmsg sendmsg(MSG_DEALLOC_VGPRS)
	s_endpgm
	.section	.rodata,"a",@progbits
	.p2align	6, 0x0
	.amdhsa_kernel _ZL28rocblas_dot_batched_4_kernelIlLi64ELi4ELb0E19rocblas_complex_numIdES1_PKS1_EviT5_lT_lS4_lS5_liPT4_
		.amdhsa_group_segment_fixed_size 0
		.amdhsa_private_segment_fixed_size 0
		.amdhsa_kernarg_size 88
		.amdhsa_user_sgpr_count 15
		.amdhsa_user_sgpr_dispatch_ptr 0
		.amdhsa_user_sgpr_queue_ptr 0
		.amdhsa_user_sgpr_kernarg_segment_ptr 1
		.amdhsa_user_sgpr_dispatch_id 0
		.amdhsa_user_sgpr_private_segment_size 0
		.amdhsa_wavefront_size32 1
		.amdhsa_uses_dynamic_stack 0
		.amdhsa_enable_private_segment 0
		.amdhsa_system_sgpr_workgroup_id_x 1
		.amdhsa_system_sgpr_workgroup_id_y 0
		.amdhsa_system_sgpr_workgroup_id_z 0
		.amdhsa_system_sgpr_workgroup_info 0
		.amdhsa_system_vgpr_workitem_id 1
		.amdhsa_next_free_vgpr 22
		.amdhsa_next_free_sgpr 20
		.amdhsa_reserve_vcc 1
		.amdhsa_float_round_mode_32 0
		.amdhsa_float_round_mode_16_64 0
		.amdhsa_float_denorm_mode_32 3
		.amdhsa_float_denorm_mode_16_64 3
		.amdhsa_dx10_clamp 1
		.amdhsa_ieee_mode 1
		.amdhsa_fp16_overflow 0
		.amdhsa_workgroup_processor_mode 1
		.amdhsa_memory_ordered 1
		.amdhsa_forward_progress 0
		.amdhsa_shared_vgpr_count 0
		.amdhsa_exception_fp_ieee_invalid_op 0
		.amdhsa_exception_fp_denorm_src 0
		.amdhsa_exception_fp_ieee_div_zero 0
		.amdhsa_exception_fp_ieee_overflow 0
		.amdhsa_exception_fp_ieee_underflow 0
		.amdhsa_exception_fp_ieee_inexact 0
		.amdhsa_exception_int_div_zero 0
	.end_amdhsa_kernel
	.section	.text._ZL28rocblas_dot_batched_4_kernelIlLi64ELi4ELb0E19rocblas_complex_numIdES1_PKS1_EviT5_lT_lS4_lS5_liPT4_,"axG",@progbits,_ZL28rocblas_dot_batched_4_kernelIlLi64ELi4ELb0E19rocblas_complex_numIdES1_PKS1_EviT5_lT_lS4_lS5_liPT4_,comdat
.Lfunc_end104:
	.size	_ZL28rocblas_dot_batched_4_kernelIlLi64ELi4ELb0E19rocblas_complex_numIdES1_PKS1_EviT5_lT_lS4_lS5_liPT4_, .Lfunc_end104-_ZL28rocblas_dot_batched_4_kernelIlLi64ELi4ELb0E19rocblas_complex_numIdES1_PKS1_EviT5_lT_lS4_lS5_liPT4_
                                        ; -- End function
	.section	.AMDGPU.csdata,"",@progbits
; Kernel info:
; codeLenInByte = 1096
; NumSgprs: 22
; NumVgprs: 22
; ScratchSize: 0
; MemoryBound: 0
; FloatMode: 240
; IeeeMode: 1
; LDSByteSize: 0 bytes/workgroup (compile time only)
; SGPRBlocks: 2
; VGPRBlocks: 2
; NumSGPRsForWavesPerEU: 22
; NumVGPRsForWavesPerEU: 22
; Occupancy: 16
; WaveLimiterHint : 0
; COMPUTE_PGM_RSRC2:SCRATCH_EN: 0
; COMPUTE_PGM_RSRC2:USER_SGPR: 15
; COMPUTE_PGM_RSRC2:TRAP_HANDLER: 0
; COMPUTE_PGM_RSRC2:TGID_X_EN: 1
; COMPUTE_PGM_RSRC2:TGID_Y_EN: 0
; COMPUTE_PGM_RSRC2:TGID_Z_EN: 0
; COMPUTE_PGM_RSRC2:TIDIG_COMP_CNT: 1
	.section	.text._ZL18rocblas_dot_kernelIlLb1ELi1024ELi32ELb0E19rocblas_complex_numIdEPKS1_S1_EviT5_lT_lS4_lS5_liPT6_PT4_,"axG",@progbits,_ZL18rocblas_dot_kernelIlLb1ELi1024ELi32ELb0E19rocblas_complex_numIdEPKS1_S1_EviT5_lT_lS4_lS5_liPT6_PT4_,comdat
	.globl	_ZL18rocblas_dot_kernelIlLb1ELi1024ELi32ELb0E19rocblas_complex_numIdEPKS1_S1_EviT5_lT_lS4_lS5_liPT6_PT4_ ; -- Begin function _ZL18rocblas_dot_kernelIlLb1ELi1024ELi32ELb0E19rocblas_complex_numIdEPKS1_S1_EviT5_lT_lS4_lS5_liPT6_PT4_
	.p2align	8
	.type	_ZL18rocblas_dot_kernelIlLb1ELi1024ELi32ELb0E19rocblas_complex_numIdEPKS1_S1_EviT5_lT_lS4_lS5_liPT6_PT4_,@function
_ZL18rocblas_dot_kernelIlLb1ELi1024ELi32ELb0E19rocblas_complex_numIdEPKS1_S1_EviT5_lT_lS4_lS5_liPT6_PT4_: ; @_ZL18rocblas_dot_kernelIlLb1ELi1024ELi32ELb0E19rocblas_complex_numIdEPKS1_S1_EviT5_lT_lS4_lS5_liPT6_PT4_
; %bb.0:
	s_clause 0x1
	s_load_b32 s18, s[0:1], 0x0
	s_load_b64 s[2:3], s[0:1], 0x58
	v_mov_b32_e32 v1, 0
	v_mov_b32_e32 v2, 0
	s_mov_b32 s16, s15
	s_mov_b32 s17, 0
	s_mov_b32 s19, exec_lo
	s_delay_alu instid0(VALU_DEP_1)
	v_dual_mov_b32 v4, v2 :: v_dual_mov_b32 v3, v1
	s_waitcnt lgkmcnt(0)
	v_cmpx_gt_i32_e64 s18, v0
	s_cbranch_execz .LBB105_4
; %bb.1:
	s_clause 0x4
	s_load_b32 s24, s[0:1], 0x60
	s_load_b256 s[4:11], s[0:1], 0x20
	s_load_b128 s[12:15], s[0:1], 0x10
	s_load_b64 s[20:21], s[0:1], 0x40
	s_load_b64 s[22:23], s[0:1], 0x8
	s_waitcnt lgkmcnt(0)
	s_lshl_b32 s1, s24, 10
	v_mad_u64_u32 v[3:4], null, s10, v0, 0
	v_mad_u64_u32 v[1:2], null, s14, v0, 0
	s_mul_i32 s0, s5, s16
	s_mul_hi_u32 s5, s4, s16
	s_mul_i32 s4, s4, s16
	s_add_i32 s5, s5, s0
	s_lshl_b64 s[12:13], s[12:13], 4
	s_lshl_b64 s[4:5], s[4:5], 4
	s_delay_alu instid0(VALU_DEP_1)
	v_mad_u64_u32 v[5:6], null, s15, v0, v[2:3]
	v_mov_b32_e32 v2, v4
	s_add_u32 s12, s22, s12
	s_addc_u32 s13, s23, s13
	s_add_u32 s22, s12, s4
	s_addc_u32 s23, s13, s5
	v_mad_u64_u32 v[6:7], null, s11, v0, v[2:3]
	s_delay_alu instid0(VALU_DEP_3)
	v_mov_b32_e32 v2, v5
	s_ashr_i32 s4, s1, 31
	s_mul_hi_u32 s0, s14, s1
	s_mul_i32 s5, s14, s4
	s_mul_i32 s21, s21, s16
	v_lshlrev_b64 v[1:2], 4, v[1:2]
	s_delay_alu instid0(VALU_DEP_3)
	v_mov_b32_e32 v4, v6
	s_mul_hi_u32 s25, s20, s16
	s_mul_i32 s26, s15, s1
	s_add_i32 s0, s0, s5
	s_mul_i32 s20, s20, s16
	v_add_co_u32 v5, vcc_lo, s22, v1
	s_mul_i32 s24, s14, s1
	s_add_i32 s21, s25, s21
	s_add_i32 s25, s0, s26
	s_lshl_b64 s[8:9], s[8:9], 4
	v_add_co_ci_u32_e32 v6, vcc_lo, s23, v2, vcc_lo
	v_lshlrev_b64 v[1:2], 4, v[3:4]
	s_lshl_b64 s[12:13], s[20:21], 4
	s_mul_i32 s0, s10, s4
	s_lshl_b64 s[4:5], s[24:25], 4
	s_add_u32 s6, s6, s8
	s_addc_u32 s7, s7, s9
	v_add_co_u32 v5, vcc_lo, v5, 8
	s_add_u32 s6, s6, s12
	v_add_co_ci_u32_e32 v6, vcc_lo, 0, v6, vcc_lo
	s_addc_u32 s7, s7, s13
	v_add_co_u32 v3, vcc_lo, s6, v1
	v_add_co_ci_u32_e32 v4, vcc_lo, s7, v2, vcc_lo
	v_mov_b32_e32 v1, 0
	v_mov_b32_e32 v2, 0
	s_mul_hi_u32 s8, s10, s1
	v_add_co_u32 v7, vcc_lo, v3, 8
	s_add_i32 s0, s8, s0
	s_mul_i32 s6, s11, s1
	v_or_b32_e32 v9, s1, v0
	v_add_co_ci_u32_e32 v8, vcc_lo, 0, v4, vcc_lo
	v_dual_mov_b32 v4, v2 :: v_dual_mov_b32 v3, v1
	s_add_i32 s7, s0, s6
	s_mul_i32 s6, s10, s1
	s_mov_b32 s8, s17
	s_lshl_b64 s[6:7], s[6:7], 4
	s_mov_b32 s9, s17
	s_set_inst_prefetch_distance 0x1
	.p2align	6
.LBB105_2:                              ; =>This Inner Loop Header: Depth=1
	global_load_b128 v[10:13], v[7:8], off offset:-8
	global_load_b128 v[14:17], v[5:6], off offset:-8
	s_add_i32 s10, s9, 1
	v_cmp_le_i32_e32 vcc_lo, s18, v9
	v_add_co_u32 v5, s0, v5, s4
	s_cmp_gt_u32 s9, 30
	v_add_co_ci_u32_e64 v6, s0, s5, v6, s0
	s_cselect_b32 s9, -1, 0
	v_add_co_u32 v7, s0, v7, s6
	s_or_b32 s9, s9, vcc_lo
	v_add_nc_u32_e32 v9, s1, v9
	v_add_co_ci_u32_e64 v8, vcc_lo, s7, v8, s0
	s_and_b32 s0, exec_lo, s9
	s_mov_b32 s9, s10
	s_or_b32 s8, s0, s8
	s_waitcnt vmcnt(0)
	v_mul_f64 v[18:19], v[12:13], v[16:17]
	v_mul_f64 v[16:17], v[10:11], v[16:17]
	s_delay_alu instid0(VALU_DEP_2) | instskip(NEXT) | instid1(VALU_DEP_2)
	v_fma_f64 v[10:11], v[10:11], v[14:15], -v[18:19]
	v_fma_f64 v[12:13], v[12:13], v[14:15], v[16:17]
	s_delay_alu instid0(VALU_DEP_2) | instskip(NEXT) | instid1(VALU_DEP_2)
	v_add_f64 v[3:4], v[3:4], v[10:11]
	v_add_f64 v[1:2], v[1:2], v[12:13]
	s_and_not1_b32 exec_lo, exec_lo, s8
	s_cbranch_execnz .LBB105_2
; %bb.3:
	s_set_inst_prefetch_distance 0x2
	s_or_b32 exec_lo, exec_lo, s8
.LBB105_4:
	s_delay_alu instid0(SALU_CYCLE_1) | instskip(SKIP_2) | instid1(VALU_DEP_2)
	s_or_b32 exec_lo, exec_lo, s19
	v_and_b32_e32 v15, 31, v0
	v_cmp_gt_u32_e32 vcc_lo, 32, v0
	v_lshlrev_b32_e32 v11, 4, v15
	s_and_saveexec_b32 s0, vcc_lo
	s_cbranch_execz .LBB105_6
; %bb.5:
	v_mov_b32_e32 v5, 0
	s_delay_alu instid0(VALU_DEP_1)
	v_mov_b32_e32 v6, v5
	v_mov_b32_e32 v7, v5
	;; [unrolled: 1-line block ×3, first 2 shown]
	ds_store_b128 v11, v[5:8]
.LBB105_6:
	s_or_b32 exec_lo, exec_lo, s0
	v_mbcnt_lo_u32_b32 v14, -1, 0
	s_mov_b32 s1, exec_lo
	s_waitcnt lgkmcnt(0)
	s_barrier
	buffer_gl0_inv
	v_cmp_gt_u32_e64 s0, 16, v14
	s_delay_alu instid0(VALU_DEP_1) | instskip(SKIP_1) | instid1(VALU_DEP_2)
	v_cndmask_b32_e64 v5, 0, 1, s0
	v_cmp_gt_u32_e64 s0, 24, v14
	v_lshlrev_b32_e32 v5, 4, v5
	s_delay_alu instid0(VALU_DEP_1)
	v_add_lshl_u32 v9, v5, v14, 2
	ds_bpermute_b32 v5, v9, v3
	ds_bpermute_b32 v6, v9, v4
	ds_bpermute_b32 v7, v9, v1
	ds_bpermute_b32 v8, v9, v2
	s_waitcnt lgkmcnt(2)
	v_add_f64 v[3:4], v[3:4], v[5:6]
	v_cndmask_b32_e64 v5, 0, 1, s0
	s_waitcnt lgkmcnt(0)
	v_add_f64 v[1:2], v[1:2], v[7:8]
	v_cmp_gt_u32_e64 s0, 28, v14
	s_delay_alu instid0(VALU_DEP_3) | instskip(NEXT) | instid1(VALU_DEP_1)
	v_lshlrev_b32_e32 v5, 3, v5
	v_add_lshl_u32 v10, v5, v14, 2
	ds_bpermute_b32 v5, v10, v3
	ds_bpermute_b32 v6, v10, v4
	;; [unrolled: 1-line block ×4, first 2 shown]
	s_waitcnt lgkmcnt(2)
	v_add_f64 v[3:4], v[3:4], v[5:6]
	v_cndmask_b32_e64 v5, 0, 1, s0
	s_waitcnt lgkmcnt(0)
	v_add_f64 v[1:2], v[1:2], v[7:8]
	v_cmp_gt_u32_e64 s0, 30, v14
	s_delay_alu instid0(VALU_DEP_3) | instskip(NEXT) | instid1(VALU_DEP_1)
	v_lshlrev_b32_e32 v5, 2, v5
	v_add_lshl_u32 v12, v5, v14, 2
	ds_bpermute_b32 v5, v12, v3
	ds_bpermute_b32 v6, v12, v4
	;; [unrolled: 1-line block ×4, first 2 shown]
	s_waitcnt lgkmcnt(2)
	v_add_f64 v[3:4], v[3:4], v[5:6]
	s_waitcnt lgkmcnt(0)
	v_add_f64 v[5:6], v[1:2], v[7:8]
	v_cndmask_b32_e64 v1, 0, 1, s0
	v_cmp_ne_u32_e64 s0, 31, v14
	s_delay_alu instid0(VALU_DEP_2) | instskip(NEXT) | instid1(VALU_DEP_1)
	v_lshlrev_b32_e32 v1, 1, v1
	v_add_lshl_u32 v13, v1, v14, 2
	ds_bpermute_b32 v1, v13, v3
	ds_bpermute_b32 v2, v13, v4
	;; [unrolled: 1-line block ×4, first 2 shown]
	s_waitcnt lgkmcnt(2)
	v_add_f64 v[1:2], v[3:4], v[1:2]
	v_add_co_ci_u32_e64 v3, s0, 0, v14, s0
	s_waitcnt lgkmcnt(0)
	v_add_f64 v[5:6], v[5:6], v[7:8]
	s_delay_alu instid0(VALU_DEP_2)
	v_lshlrev_b32_e32 v14, 2, v3
	ds_bpermute_b32 v3, v14, v1
	ds_bpermute_b32 v4, v14, v2
	;; [unrolled: 1-line block ×4, first 2 shown]
	v_cmpx_eq_u32_e32 0, v15
	s_cbranch_execz .LBB105_8
; %bb.7:
	s_waitcnt lgkmcnt(0)
	v_add_f64 v[5:6], v[5:6], v[7:8]
	v_add_f64 v[3:4], v[1:2], v[3:4]
	v_lshrrev_b32_e32 v1, 1, v0
	s_delay_alu instid0(VALU_DEP_1)
	v_and_b32_e32 v1, 0x1f0, v1
	ds_store_b128 v1, v[3:6]
.LBB105_8:
	s_or_b32 exec_lo, exec_lo, s1
	s_waitcnt lgkmcnt(2)
	v_mov_b32_e32 v3, 0
	v_mov_b32_e32 v4, 0
	s_delay_alu instid0(VALU_DEP_2)
	v_mov_b32_e32 v1, v3
	s_waitcnt lgkmcnt(0)
	s_barrier
	buffer_gl0_inv
	v_mov_b32_e32 v2, v4
	s_and_saveexec_b32 s0, vcc_lo
	s_cbranch_execz .LBB105_10
; %bb.9:
	ds_load_b128 v[1:4], v11
.LBB105_10:
	s_or_b32 exec_lo, exec_lo, s0
	s_and_saveexec_b32 s0, vcc_lo
	s_cbranch_execz .LBB105_12
; %bb.11:
	s_waitcnt lgkmcnt(0)
	ds_bpermute_b32 v5, v9, v1
	ds_bpermute_b32 v6, v9, v2
	ds_bpermute_b32 v7, v9, v3
	ds_bpermute_b32 v8, v9, v4
	s_waitcnt lgkmcnt(2)
	v_add_f64 v[1:2], v[1:2], v[5:6]
	s_waitcnt lgkmcnt(0)
	v_add_f64 v[3:4], v[3:4], v[7:8]
	ds_bpermute_b32 v5, v10, v1
	ds_bpermute_b32 v6, v10, v2
	ds_bpermute_b32 v7, v10, v3
	ds_bpermute_b32 v8, v10, v4
	s_waitcnt lgkmcnt(2)
	v_add_f64 v[1:2], v[1:2], v[5:6]
	s_waitcnt lgkmcnt(0)
	v_add_f64 v[3:4], v[3:4], v[7:8]
	;; [unrolled: 8-line block ×5, first 2 shown]
.LBB105_12:
	s_or_b32 exec_lo, exec_lo, s0
	s_delay_alu instid0(SALU_CYCLE_1)
	s_mov_b32 s0, exec_lo
	v_cmpx_eq_u32_e32 0, v0
	s_cbranch_execz .LBB105_14
; %bb.13:
	s_lshl_b64 s[0:1], s[16:17], 4
	v_mov_b32_e32 v0, 0
	s_add_u32 s0, s2, s0
	s_addc_u32 s1, s3, s1
	s_waitcnt lgkmcnt(0)
	global_store_b128 v0, v[1:4], s[0:1]
.LBB105_14:
	s_nop 0
	s_sendmsg sendmsg(MSG_DEALLOC_VGPRS)
	s_endpgm
	.section	.rodata,"a",@progbits
	.p2align	6, 0x0
	.amdhsa_kernel _ZL18rocblas_dot_kernelIlLb1ELi1024ELi32ELb0E19rocblas_complex_numIdEPKS1_S1_EviT5_lT_lS4_lS5_liPT6_PT4_
		.amdhsa_group_segment_fixed_size 512
		.amdhsa_private_segment_fixed_size 0
		.amdhsa_kernarg_size 352
		.amdhsa_user_sgpr_count 14
		.amdhsa_user_sgpr_dispatch_ptr 0
		.amdhsa_user_sgpr_queue_ptr 0
		.amdhsa_user_sgpr_kernarg_segment_ptr 1
		.amdhsa_user_sgpr_dispatch_id 0
		.amdhsa_user_sgpr_private_segment_size 0
		.amdhsa_wavefront_size32 1
		.amdhsa_uses_dynamic_stack 0
		.amdhsa_enable_private_segment 0
		.amdhsa_system_sgpr_workgroup_id_x 1
		.amdhsa_system_sgpr_workgroup_id_y 0
		.amdhsa_system_sgpr_workgroup_id_z 1
		.amdhsa_system_sgpr_workgroup_info 0
		.amdhsa_system_vgpr_workitem_id 0
		.amdhsa_next_free_vgpr 20
		.amdhsa_next_free_sgpr 27
		.amdhsa_reserve_vcc 1
		.amdhsa_float_round_mode_32 0
		.amdhsa_float_round_mode_16_64 0
		.amdhsa_float_denorm_mode_32 3
		.amdhsa_float_denorm_mode_16_64 3
		.amdhsa_dx10_clamp 1
		.amdhsa_ieee_mode 1
		.amdhsa_fp16_overflow 0
		.amdhsa_workgroup_processor_mode 1
		.amdhsa_memory_ordered 1
		.amdhsa_forward_progress 0
		.amdhsa_shared_vgpr_count 0
		.amdhsa_exception_fp_ieee_invalid_op 0
		.amdhsa_exception_fp_denorm_src 0
		.amdhsa_exception_fp_ieee_div_zero 0
		.amdhsa_exception_fp_ieee_overflow 0
		.amdhsa_exception_fp_ieee_underflow 0
		.amdhsa_exception_fp_ieee_inexact 0
		.amdhsa_exception_int_div_zero 0
	.end_amdhsa_kernel
	.section	.text._ZL18rocblas_dot_kernelIlLb1ELi1024ELi32ELb0E19rocblas_complex_numIdEPKS1_S1_EviT5_lT_lS4_lS5_liPT6_PT4_,"axG",@progbits,_ZL18rocblas_dot_kernelIlLb1ELi1024ELi32ELb0E19rocblas_complex_numIdEPKS1_S1_EviT5_lT_lS4_lS5_liPT6_PT4_,comdat
.Lfunc_end105:
	.size	_ZL18rocblas_dot_kernelIlLb1ELi1024ELi32ELb0E19rocblas_complex_numIdEPKS1_S1_EviT5_lT_lS4_lS5_liPT6_PT4_, .Lfunc_end105-_ZL18rocblas_dot_kernelIlLb1ELi1024ELi32ELb0E19rocblas_complex_numIdEPKS1_S1_EviT5_lT_lS4_lS5_liPT6_PT4_
                                        ; -- End function
	.section	.AMDGPU.csdata,"",@progbits
; Kernel info:
; codeLenInByte = 1540
; NumSgprs: 29
; NumVgprs: 20
; ScratchSize: 0
; MemoryBound: 0
; FloatMode: 240
; IeeeMode: 1
; LDSByteSize: 512 bytes/workgroup (compile time only)
; SGPRBlocks: 3
; VGPRBlocks: 2
; NumSGPRsForWavesPerEU: 29
; NumVGPRsForWavesPerEU: 20
; Occupancy: 16
; WaveLimiterHint : 0
; COMPUTE_PGM_RSRC2:SCRATCH_EN: 0
; COMPUTE_PGM_RSRC2:USER_SGPR: 14
; COMPUTE_PGM_RSRC2:TRAP_HANDLER: 0
; COMPUTE_PGM_RSRC2:TGID_X_EN: 1
; COMPUTE_PGM_RSRC2:TGID_Y_EN: 0
; COMPUTE_PGM_RSRC2:TGID_Z_EN: 1
; COMPUTE_PGM_RSRC2:TIDIG_COMP_CNT: 0
	.section	.text._ZL24rocblas_dot_kernel_magsqIlLb1ELi1024ELi32ELb0E19rocblas_complex_numIdEPKS1_S1_EviT5_lT_liPT6_PT4_,"axG",@progbits,_ZL24rocblas_dot_kernel_magsqIlLb1ELi1024ELi32ELb0E19rocblas_complex_numIdEPKS1_S1_EviT5_lT_liPT6_PT4_,comdat
	.globl	_ZL24rocblas_dot_kernel_magsqIlLb1ELi1024ELi32ELb0E19rocblas_complex_numIdEPKS1_S1_EviT5_lT_liPT6_PT4_ ; -- Begin function _ZL24rocblas_dot_kernel_magsqIlLb1ELi1024ELi32ELb0E19rocblas_complex_numIdEPKS1_S1_EviT5_lT_liPT6_PT4_
	.p2align	8
	.type	_ZL24rocblas_dot_kernel_magsqIlLb1ELi1024ELi32ELb0E19rocblas_complex_numIdEPKS1_S1_EviT5_lT_liPT6_PT4_,@function
_ZL24rocblas_dot_kernel_magsqIlLb1ELi1024ELi32ELb0E19rocblas_complex_numIdEPKS1_S1_EviT5_lT_liPT6_PT4_: ; @_ZL24rocblas_dot_kernel_magsqIlLb1ELi1024ELi32ELb0E19rocblas_complex_numIdEPKS1_S1_EviT5_lT_liPT6_PT4_
; %bb.0:
	s_clause 0x1
	s_load_b32 s10, s[0:1], 0x0
	s_load_b64 s[2:3], s[0:1], 0x38
	v_mov_b32_e32 v1, 0
	v_mov_b32_e32 v2, 0
	s_mov_b32 s8, s15
	s_mov_b32 s9, 0
	s_mov_b32 s11, exec_lo
	s_delay_alu instid0(VALU_DEP_1)
	v_dual_mov_b32 v4, v2 :: v_dual_mov_b32 v3, v1
	s_waitcnt lgkmcnt(0)
	v_cmpx_gt_i32_e64 s10, v0
	s_cbranch_execz .LBB106_4
; %bb.1:
	s_clause 0x3
	s_load_b128 s[4:7], s[0:1], 0x10
	s_load_b32 s16, s[0:1], 0x40
	s_load_b64 s[12:13], s[0:1], 0x20
	s_load_b64 s[14:15], s[0:1], 0x8
	s_waitcnt lgkmcnt(0)
	v_mad_u64_u32 v[3:4], null, s6, v0, 0
	s_mul_i32 s0, s13, s8
	s_mul_hi_u32 s13, s12, s8
	s_mul_i32 s12, s12, s8
	s_add_i32 s13, s13, s0
	s_lshl_b64 s[4:5], s[4:5], 4
	s_lshl_b32 s1, s16, 10
	s_delay_alu instid0(VALU_DEP_1)
	v_mad_u64_u32 v[5:6], null, s7, v0, v[4:5]
	v_mov_b32_e32 v1, 0
	s_lshl_b64 s[12:13], s[12:13], 4
	s_add_u32 s0, s14, s4
	s_addc_u32 s4, s15, s5
	s_add_u32 s0, s0, s12
	v_mov_b32_e32 v2, 0
	s_delay_alu instid0(VALU_DEP_3)
	v_mov_b32_e32 v4, v5
	s_addc_u32 s12, s4, s13
	s_ashr_i32 s4, s1, 31
	s_mul_hi_u32 s5, s6, s1
	s_mul_i32 s4, s6, s4
	v_lshlrev_b64 v[3:4], 4, v[3:4]
	s_mul_i32 s7, s7, s1
	s_add_i32 s5, s5, s4
	v_or_b32_e32 v7, s1, v0
	s_mul_i32 s4, s6, s1
	s_add_i32 s5, s5, s7
	v_add_co_u32 v5, vcc_lo, s0, v3
	v_add_co_ci_u32_e32 v6, vcc_lo, s12, v4, vcc_lo
	v_dual_mov_b32 v4, v2 :: v_dual_mov_b32 v3, v1
	s_lshl_b64 s[4:5], s[4:5], 4
	s_mov_b32 s6, s9
	s_mov_b32 s7, s9
	.p2align	6
.LBB106_2:                              ; =>This Inner Loop Header: Depth=1
	global_load_b128 v[8:11], v[5:6], off
	s_add_i32 s12, s7, 1
	v_cmp_le_i32_e32 vcc_lo, s10, v7
	s_cmp_gt_u32 s7, 30
	v_add_co_u32 v5, s0, v5, s4
	s_cselect_b32 s7, -1, 0
	v_add_nc_u32_e32 v7, s1, v7
	s_or_b32 s7, s7, vcc_lo
	v_add_co_ci_u32_e64 v6, vcc_lo, s5, v6, s0
	s_and_b32 s0, exec_lo, s7
	s_mov_b32 s7, s12
	s_or_b32 s6, s0, s6
	s_waitcnt vmcnt(0)
	v_mul_f64 v[12:13], v[10:11], v[10:11]
	v_mul_f64 v[10:11], v[8:9], v[10:11]
	s_delay_alu instid0(VALU_DEP_2) | instskip(NEXT) | instid1(VALU_DEP_2)
	v_fma_f64 v[8:9], v[8:9], v[8:9], -v[12:13]
	v_fma_f64 v[1:2], v[10:11], 2.0, v[1:2]
	s_delay_alu instid0(VALU_DEP_2)
	v_add_f64 v[3:4], v[3:4], v[8:9]
	s_and_not1_b32 exec_lo, exec_lo, s6
	s_cbranch_execnz .LBB106_2
; %bb.3:
	s_or_b32 exec_lo, exec_lo, s6
.LBB106_4:
	s_delay_alu instid0(SALU_CYCLE_1) | instskip(SKIP_2) | instid1(VALU_DEP_2)
	s_or_b32 exec_lo, exec_lo, s11
	v_and_b32_e32 v15, 31, v0
	v_cmp_gt_u32_e32 vcc_lo, 32, v0
	v_lshlrev_b32_e32 v11, 4, v15
	s_and_saveexec_b32 s0, vcc_lo
	s_cbranch_execz .LBB106_6
; %bb.5:
	v_mov_b32_e32 v5, 0
	s_delay_alu instid0(VALU_DEP_1)
	v_mov_b32_e32 v6, v5
	v_mov_b32_e32 v7, v5
	;; [unrolled: 1-line block ×3, first 2 shown]
	ds_store_b128 v11, v[5:8]
.LBB106_6:
	s_or_b32 exec_lo, exec_lo, s0
	v_mbcnt_lo_u32_b32 v14, -1, 0
	s_mov_b32 s1, exec_lo
	s_waitcnt lgkmcnt(0)
	s_barrier
	buffer_gl0_inv
	v_cmp_gt_u32_e64 s0, 16, v14
	s_delay_alu instid0(VALU_DEP_1) | instskip(SKIP_1) | instid1(VALU_DEP_2)
	v_cndmask_b32_e64 v5, 0, 1, s0
	v_cmp_gt_u32_e64 s0, 24, v14
	v_lshlrev_b32_e32 v5, 4, v5
	s_delay_alu instid0(VALU_DEP_1)
	v_add_lshl_u32 v9, v5, v14, 2
	ds_bpermute_b32 v5, v9, v3
	ds_bpermute_b32 v6, v9, v4
	;; [unrolled: 1-line block ×4, first 2 shown]
	s_waitcnt lgkmcnt(2)
	v_add_f64 v[3:4], v[3:4], v[5:6]
	v_cndmask_b32_e64 v5, 0, 1, s0
	s_waitcnt lgkmcnt(0)
	v_add_f64 v[1:2], v[1:2], v[7:8]
	v_cmp_gt_u32_e64 s0, 28, v14
	s_delay_alu instid0(VALU_DEP_3) | instskip(NEXT) | instid1(VALU_DEP_1)
	v_lshlrev_b32_e32 v5, 3, v5
	v_add_lshl_u32 v10, v5, v14, 2
	ds_bpermute_b32 v5, v10, v3
	ds_bpermute_b32 v6, v10, v4
	;; [unrolled: 1-line block ×4, first 2 shown]
	s_waitcnt lgkmcnt(2)
	v_add_f64 v[3:4], v[3:4], v[5:6]
	v_cndmask_b32_e64 v5, 0, 1, s0
	s_waitcnt lgkmcnt(0)
	v_add_f64 v[1:2], v[1:2], v[7:8]
	v_cmp_gt_u32_e64 s0, 30, v14
	s_delay_alu instid0(VALU_DEP_3) | instskip(NEXT) | instid1(VALU_DEP_1)
	v_lshlrev_b32_e32 v5, 2, v5
	v_add_lshl_u32 v12, v5, v14, 2
	ds_bpermute_b32 v5, v12, v3
	ds_bpermute_b32 v6, v12, v4
	;; [unrolled: 1-line block ×4, first 2 shown]
	s_waitcnt lgkmcnt(2)
	v_add_f64 v[3:4], v[3:4], v[5:6]
	s_waitcnt lgkmcnt(0)
	v_add_f64 v[5:6], v[1:2], v[7:8]
	v_cndmask_b32_e64 v1, 0, 1, s0
	v_cmp_ne_u32_e64 s0, 31, v14
	s_delay_alu instid0(VALU_DEP_2) | instskip(NEXT) | instid1(VALU_DEP_1)
	v_lshlrev_b32_e32 v1, 1, v1
	v_add_lshl_u32 v13, v1, v14, 2
	ds_bpermute_b32 v1, v13, v3
	ds_bpermute_b32 v2, v13, v4
	;; [unrolled: 1-line block ×4, first 2 shown]
	s_waitcnt lgkmcnt(2)
	v_add_f64 v[1:2], v[3:4], v[1:2]
	v_add_co_ci_u32_e64 v3, s0, 0, v14, s0
	s_waitcnt lgkmcnt(0)
	v_add_f64 v[5:6], v[5:6], v[7:8]
	s_delay_alu instid0(VALU_DEP_2)
	v_lshlrev_b32_e32 v14, 2, v3
	ds_bpermute_b32 v3, v14, v1
	ds_bpermute_b32 v4, v14, v2
	;; [unrolled: 1-line block ×4, first 2 shown]
	v_cmpx_eq_u32_e32 0, v15
	s_cbranch_execz .LBB106_8
; %bb.7:
	s_waitcnt lgkmcnt(0)
	v_add_f64 v[5:6], v[5:6], v[7:8]
	v_add_f64 v[3:4], v[1:2], v[3:4]
	v_lshrrev_b32_e32 v1, 1, v0
	s_delay_alu instid0(VALU_DEP_1)
	v_and_b32_e32 v1, 0x1f0, v1
	ds_store_b128 v1, v[3:6]
.LBB106_8:
	s_or_b32 exec_lo, exec_lo, s1
	s_waitcnt lgkmcnt(2)
	v_mov_b32_e32 v3, 0
	v_mov_b32_e32 v4, 0
	s_delay_alu instid0(VALU_DEP_2)
	v_mov_b32_e32 v1, v3
	s_waitcnt lgkmcnt(0)
	s_barrier
	buffer_gl0_inv
	v_mov_b32_e32 v2, v4
	s_and_saveexec_b32 s0, vcc_lo
	s_cbranch_execz .LBB106_10
; %bb.9:
	ds_load_b128 v[1:4], v11
.LBB106_10:
	s_or_b32 exec_lo, exec_lo, s0
	s_and_saveexec_b32 s0, vcc_lo
	s_cbranch_execz .LBB106_12
; %bb.11:
	s_waitcnt lgkmcnt(0)
	ds_bpermute_b32 v5, v9, v1
	ds_bpermute_b32 v6, v9, v2
	ds_bpermute_b32 v7, v9, v3
	ds_bpermute_b32 v8, v9, v4
	s_waitcnt lgkmcnt(2)
	v_add_f64 v[1:2], v[1:2], v[5:6]
	s_waitcnt lgkmcnt(0)
	v_add_f64 v[3:4], v[3:4], v[7:8]
	ds_bpermute_b32 v5, v10, v1
	ds_bpermute_b32 v6, v10, v2
	ds_bpermute_b32 v7, v10, v3
	ds_bpermute_b32 v8, v10, v4
	s_waitcnt lgkmcnt(2)
	v_add_f64 v[1:2], v[1:2], v[5:6]
	s_waitcnt lgkmcnt(0)
	v_add_f64 v[3:4], v[3:4], v[7:8]
	;; [unrolled: 8-line block ×5, first 2 shown]
.LBB106_12:
	s_or_b32 exec_lo, exec_lo, s0
	s_delay_alu instid0(SALU_CYCLE_1)
	s_mov_b32 s0, exec_lo
	v_cmpx_eq_u32_e32 0, v0
	s_cbranch_execz .LBB106_14
; %bb.13:
	s_lshl_b64 s[0:1], s[8:9], 4
	v_mov_b32_e32 v0, 0
	s_add_u32 s0, s2, s0
	s_addc_u32 s1, s3, s1
	s_waitcnt lgkmcnt(0)
	global_store_b128 v0, v[1:4], s[0:1]
.LBB106_14:
	s_nop 0
	s_sendmsg sendmsg(MSG_DEALLOC_VGPRS)
	s_endpgm
	.section	.rodata,"a",@progbits
	.p2align	6, 0x0
	.amdhsa_kernel _ZL24rocblas_dot_kernel_magsqIlLb1ELi1024ELi32ELb0E19rocblas_complex_numIdEPKS1_S1_EviT5_lT_liPT6_PT4_
		.amdhsa_group_segment_fixed_size 512
		.amdhsa_private_segment_fixed_size 0
		.amdhsa_kernarg_size 320
		.amdhsa_user_sgpr_count 14
		.amdhsa_user_sgpr_dispatch_ptr 0
		.amdhsa_user_sgpr_queue_ptr 0
		.amdhsa_user_sgpr_kernarg_segment_ptr 1
		.amdhsa_user_sgpr_dispatch_id 0
		.amdhsa_user_sgpr_private_segment_size 0
		.amdhsa_wavefront_size32 1
		.amdhsa_uses_dynamic_stack 0
		.amdhsa_enable_private_segment 0
		.amdhsa_system_sgpr_workgroup_id_x 1
		.amdhsa_system_sgpr_workgroup_id_y 0
		.amdhsa_system_sgpr_workgroup_id_z 1
		.amdhsa_system_sgpr_workgroup_info 0
		.amdhsa_system_vgpr_workitem_id 0
		.amdhsa_next_free_vgpr 16
		.amdhsa_next_free_sgpr 17
		.amdhsa_reserve_vcc 1
		.amdhsa_float_round_mode_32 0
		.amdhsa_float_round_mode_16_64 0
		.amdhsa_float_denorm_mode_32 3
		.amdhsa_float_denorm_mode_16_64 3
		.amdhsa_dx10_clamp 1
		.amdhsa_ieee_mode 1
		.amdhsa_fp16_overflow 0
		.amdhsa_workgroup_processor_mode 1
		.amdhsa_memory_ordered 1
		.amdhsa_forward_progress 0
		.amdhsa_shared_vgpr_count 0
		.amdhsa_exception_fp_ieee_invalid_op 0
		.amdhsa_exception_fp_denorm_src 0
		.amdhsa_exception_fp_ieee_div_zero 0
		.amdhsa_exception_fp_ieee_overflow 0
		.amdhsa_exception_fp_ieee_underflow 0
		.amdhsa_exception_fp_ieee_inexact 0
		.amdhsa_exception_int_div_zero 0
	.end_amdhsa_kernel
	.section	.text._ZL24rocblas_dot_kernel_magsqIlLb1ELi1024ELi32ELb0E19rocblas_complex_numIdEPKS1_S1_EviT5_lT_liPT6_PT4_,"axG",@progbits,_ZL24rocblas_dot_kernel_magsqIlLb1ELi1024ELi32ELb0E19rocblas_complex_numIdEPKS1_S1_EviT5_lT_liPT6_PT4_,comdat
.Lfunc_end106:
	.size	_ZL24rocblas_dot_kernel_magsqIlLb1ELi1024ELi32ELb0E19rocblas_complex_numIdEPKS1_S1_EviT5_lT_liPT6_PT4_, .Lfunc_end106-_ZL24rocblas_dot_kernel_magsqIlLb1ELi1024ELi32ELb0E19rocblas_complex_numIdEPKS1_S1_EviT5_lT_liPT6_PT4_
                                        ; -- End function
	.section	.AMDGPU.csdata,"",@progbits
; Kernel info:
; codeLenInByte = 1352
; NumSgprs: 19
; NumVgprs: 16
; ScratchSize: 0
; MemoryBound: 0
; FloatMode: 240
; IeeeMode: 1
; LDSByteSize: 512 bytes/workgroup (compile time only)
; SGPRBlocks: 2
; VGPRBlocks: 1
; NumSGPRsForWavesPerEU: 19
; NumVGPRsForWavesPerEU: 16
; Occupancy: 16
; WaveLimiterHint : 0
; COMPUTE_PGM_RSRC2:SCRATCH_EN: 0
; COMPUTE_PGM_RSRC2:USER_SGPR: 14
; COMPUTE_PGM_RSRC2:TRAP_HANDLER: 0
; COMPUTE_PGM_RSRC2:TGID_X_EN: 1
; COMPUTE_PGM_RSRC2:TGID_Y_EN: 0
; COMPUTE_PGM_RSRC2:TGID_Z_EN: 1
; COMPUTE_PGM_RSRC2:TIDIG_COMP_CNT: 0
	.section	.text._ZL38rocblas_dot_kernel_gfx942_float_doubleIlLi1024E19rocblas_complex_numIdEPKS1_S1_EviT2_lT_lS4_lS5_lPT3_PT1_,"axG",@progbits,_ZL38rocblas_dot_kernel_gfx942_float_doubleIlLi1024E19rocblas_complex_numIdEPKS1_S1_EviT2_lT_lS4_lS5_lPT3_PT1_,comdat
	.globl	_ZL38rocblas_dot_kernel_gfx942_float_doubleIlLi1024E19rocblas_complex_numIdEPKS1_S1_EviT2_lT_lS4_lS5_lPT3_PT1_ ; -- Begin function _ZL38rocblas_dot_kernel_gfx942_float_doubleIlLi1024E19rocblas_complex_numIdEPKS1_S1_EviT2_lT_lS4_lS5_lPT3_PT1_
	.p2align	8
	.type	_ZL38rocblas_dot_kernel_gfx942_float_doubleIlLi1024E19rocblas_complex_numIdEPKS1_S1_EviT2_lT_lS4_lS5_lPT3_PT1_,@function
_ZL38rocblas_dot_kernel_gfx942_float_doubleIlLi1024E19rocblas_complex_numIdEPKS1_S1_EviT2_lT_lS4_lS5_lPT3_PT1_: ; @_ZL38rocblas_dot_kernel_gfx942_float_doubleIlLi1024E19rocblas_complex_numIdEPKS1_S1_EviT2_lT_lS4_lS5_lPT3_PT1_
; %bb.0:
	s_endpgm
	.section	.rodata,"a",@progbits
	.p2align	6, 0x0
	.amdhsa_kernel _ZL38rocblas_dot_kernel_gfx942_float_doubleIlLi1024E19rocblas_complex_numIdEPKS1_S1_EviT2_lT_lS4_lS5_lPT3_PT1_
		.amdhsa_group_segment_fixed_size 0
		.amdhsa_private_segment_fixed_size 0
		.amdhsa_kernarg_size 88
		.amdhsa_user_sgpr_count 15
		.amdhsa_user_sgpr_dispatch_ptr 0
		.amdhsa_user_sgpr_queue_ptr 0
		.amdhsa_user_sgpr_kernarg_segment_ptr 1
		.amdhsa_user_sgpr_dispatch_id 0
		.amdhsa_user_sgpr_private_segment_size 0
		.amdhsa_wavefront_size32 1
		.amdhsa_uses_dynamic_stack 0
		.amdhsa_enable_private_segment 0
		.amdhsa_system_sgpr_workgroup_id_x 1
		.amdhsa_system_sgpr_workgroup_id_y 0
		.amdhsa_system_sgpr_workgroup_id_z 0
		.amdhsa_system_sgpr_workgroup_info 0
		.amdhsa_system_vgpr_workitem_id 0
		.amdhsa_next_free_vgpr 1
		.amdhsa_next_free_sgpr 1
		.amdhsa_reserve_vcc 0
		.amdhsa_float_round_mode_32 0
		.amdhsa_float_round_mode_16_64 0
		.amdhsa_float_denorm_mode_32 3
		.amdhsa_float_denorm_mode_16_64 3
		.amdhsa_dx10_clamp 1
		.amdhsa_ieee_mode 1
		.amdhsa_fp16_overflow 0
		.amdhsa_workgroup_processor_mode 1
		.amdhsa_memory_ordered 1
		.amdhsa_forward_progress 0
		.amdhsa_shared_vgpr_count 0
		.amdhsa_exception_fp_ieee_invalid_op 0
		.amdhsa_exception_fp_denorm_src 0
		.amdhsa_exception_fp_ieee_div_zero 0
		.amdhsa_exception_fp_ieee_overflow 0
		.amdhsa_exception_fp_ieee_underflow 0
		.amdhsa_exception_fp_ieee_inexact 0
		.amdhsa_exception_int_div_zero 0
	.end_amdhsa_kernel
	.section	.text._ZL38rocblas_dot_kernel_gfx942_float_doubleIlLi1024E19rocblas_complex_numIdEPKS1_S1_EviT2_lT_lS4_lS5_lPT3_PT1_,"axG",@progbits,_ZL38rocblas_dot_kernel_gfx942_float_doubleIlLi1024E19rocblas_complex_numIdEPKS1_S1_EviT2_lT_lS4_lS5_lPT3_PT1_,comdat
.Lfunc_end107:
	.size	_ZL38rocblas_dot_kernel_gfx942_float_doubleIlLi1024E19rocblas_complex_numIdEPKS1_S1_EviT2_lT_lS4_lS5_lPT3_PT1_, .Lfunc_end107-_ZL38rocblas_dot_kernel_gfx942_float_doubleIlLi1024E19rocblas_complex_numIdEPKS1_S1_EviT2_lT_lS4_lS5_lPT3_PT1_
                                        ; -- End function
	.section	.AMDGPU.csdata,"",@progbits
; Kernel info:
; codeLenInByte = 4
; NumSgprs: 0
; NumVgprs: 0
; ScratchSize: 0
; MemoryBound: 0
; FloatMode: 240
; IeeeMode: 1
; LDSByteSize: 0 bytes/workgroup (compile time only)
; SGPRBlocks: 0
; VGPRBlocks: 0
; NumSGPRsForWavesPerEU: 1
; NumVGPRsForWavesPerEU: 1
; Occupancy: 16
; WaveLimiterHint : 0
; COMPUTE_PGM_RSRC2:SCRATCH_EN: 0
; COMPUTE_PGM_RSRC2:USER_SGPR: 15
; COMPUTE_PGM_RSRC2:TRAP_HANDLER: 0
; COMPUTE_PGM_RSRC2:TGID_X_EN: 1
; COMPUTE_PGM_RSRC2:TGID_Y_EN: 0
; COMPUTE_PGM_RSRC2:TGID_Z_EN: 0
; COMPUTE_PGM_RSRC2:TIDIG_COMP_CNT: 0
	.section	.text._ZL18rocblas_dot_kernelIlLb0ELi512ELi2ELb0E19rocblas_complex_numIdEPKS1_S1_EviT5_lT_lS4_lS5_liPT6_PT4_,"axG",@progbits,_ZL18rocblas_dot_kernelIlLb0ELi512ELi2ELb0E19rocblas_complex_numIdEPKS1_S1_EviT5_lT_lS4_lS5_liPT6_PT4_,comdat
	.globl	_ZL18rocblas_dot_kernelIlLb0ELi512ELi2ELb0E19rocblas_complex_numIdEPKS1_S1_EviT5_lT_lS4_lS5_liPT6_PT4_ ; -- Begin function _ZL18rocblas_dot_kernelIlLb0ELi512ELi2ELb0E19rocblas_complex_numIdEPKS1_S1_EviT5_lT_lS4_lS5_liPT6_PT4_
	.p2align	8
	.type	_ZL18rocblas_dot_kernelIlLb0ELi512ELi2ELb0E19rocblas_complex_numIdEPKS1_S1_EviT5_lT_lS4_lS5_liPT6_PT4_,@function
_ZL18rocblas_dot_kernelIlLb0ELi512ELi2ELb0E19rocblas_complex_numIdEPKS1_S1_EviT5_lT_lS4_lS5_liPT6_PT4_: ; @_ZL18rocblas_dot_kernelIlLb0ELi512ELi2ELb0E19rocblas_complex_numIdEPKS1_S1_EviT5_lT_lS4_lS5_liPT6_PT4_
; %bb.0:
	s_mov_b32 s12, s15
	s_clause 0x1
	s_load_b32 s15, s[0:1], 0x0
	s_load_b32 s3, s[0:1], 0x60
	v_mov_b32_e32 v1, 0
	v_mov_b32_e32 v2, 0
	v_lshl_or_b32 v5, s14, 9, v0
	s_mov_b32 s13, 0
	s_mov_b32 s2, exec_lo
	s_delay_alu instid0(VALU_DEP_2)
	v_dual_mov_b32 v4, v2 :: v_dual_mov_b32 v3, v1
	s_waitcnt lgkmcnt(0)
	v_cmpx_gt_i32_e64 s15, v5
	s_cbranch_execz .LBB108_4
; %bb.1:
	s_clause 0x3
	s_load_b256 s[4:11], s[0:1], 0x20
	s_load_b64 s[20:21], s[0:1], 0x40
	s_load_b128 s[16:19], s[0:1], 0x10
	s_load_b64 s[22:23], s[0:1], 0x8
	v_ashrrev_i32_e32 v3, 31, v5
	s_waitcnt lgkmcnt(0)
	s_mul_i32 s5, s12, s5
	s_mul_hi_u32 s24, s12, s4
	v_mul_lo_u32 v7, v5, s19
	v_mul_lo_u32 v8, v3, s18
	v_mad_u64_u32 v[1:2], null, v5, s18, 0
	v_mul_lo_u32 v6, v5, s11
	v_mul_lo_u32 v9, v3, s10
	v_mad_u64_u32 v[3:4], null, v5, s10, 0
	s_mul_i32 s4, s12, s4
	s_add_i32 s5, s24, s5
	s_delay_alu instid0(VALU_DEP_4)
	v_add3_u32 v2, v2, v7, v8
	s_lshl_b64 s[4:5], s[4:5], 4
	s_mul_i32 s21, s12, s21
	s_add_u32 s22, s22, s4
	s_addc_u32 s23, s23, s5
	s_lshl_b64 s[4:5], s[16:17], 4
	s_mul_hi_u32 s25, s12, s20
	v_add3_u32 v4, v4, v6, v9
	s_add_u32 s4, s22, s4
	s_mul_i32 s20, s12, s20
	s_addc_u32 s5, s23, s5
	s_add_i32 s21, s25, s21
	v_lshlrev_b64 v[1:2], 4, v[1:2]
	s_lshl_b64 s[16:17], s[20:21], 4
	v_lshlrev_b64 v[3:4], 4, v[3:4]
	s_add_u32 s16, s6, s16
	s_addc_u32 s17, s7, s17
	s_lshl_b64 s[6:7], s[8:9], 4
	v_add_co_u32 v1, vcc_lo, s4, v1
	s_add_u32 s6, s16, s6
	v_add_co_ci_u32_e32 v2, vcc_lo, s5, v2, vcc_lo
	s_addc_u32 s7, s17, s7
	v_add_co_u32 v5, vcc_lo, s6, v3
	v_add_co_ci_u32_e32 v6, vcc_lo, s7, v4, vcc_lo
	global_load_b128 v[1:4], v[1:2], off
	global_load_b128 v[5:8], v[5:6], off
	s_add_i32 s8, s14, s3
	s_waitcnt vmcnt(0)
	v_mul_f64 v[9:10], v[7:8], v[3:4]
	v_mul_f64 v[3:4], v[5:6], v[3:4]
	s_delay_alu instid0(VALU_DEP_2) | instskip(NEXT) | instid1(VALU_DEP_2)
	v_fma_f64 v[5:6], v[5:6], v[1:2], -v[9:10]
	v_fma_f64 v[3:4], v[7:8], v[1:2], v[3:4]
	s_delay_alu instid0(VALU_DEP_2) | instskip(NEXT) | instid1(VALU_DEP_2)
	v_add_f64 v[1:2], v[5:6], 0
	v_add_f64 v[3:4], v[3:4], 0
	v_lshl_or_b32 v5, s8, 9, v0
	s_mov_b32 s8, exec_lo
	s_delay_alu instid0(VALU_DEP_1)
	v_cmpx_gt_i32_e64 s15, v5
	s_cbranch_execz .LBB108_3
; %bb.2:
	v_ashrrev_i32_e32 v10, 31, v5
	v_mul_lo_u32 v11, v5, s11
	v_mad_u64_u32 v[6:7], null, v5, s10, 0
	v_mul_lo_u32 v13, v5, s19
	s_delay_alu instid0(VALU_DEP_4) | instskip(SKIP_2) | instid1(VALU_DEP_3)
	v_mul_lo_u32 v12, v10, s10
	v_mad_u64_u32 v[8:9], null, v5, s18, 0
	v_mul_lo_u32 v5, v10, s18
	v_add3_u32 v7, v7, v11, v12
	s_delay_alu instid0(VALU_DEP_2) | instskip(NEXT) | instid1(VALU_DEP_2)
	v_add3_u32 v9, v9, v13, v5
	v_lshlrev_b64 v[5:6], 4, v[6:7]
	s_delay_alu instid0(VALU_DEP_2) | instskip(NEXT) | instid1(VALU_DEP_2)
	v_lshlrev_b64 v[7:8], 4, v[8:9]
	v_add_co_u32 v5, vcc_lo, s6, v5
	s_delay_alu instid0(VALU_DEP_3) | instskip(NEXT) | instid1(VALU_DEP_3)
	v_add_co_ci_u32_e32 v6, vcc_lo, s7, v6, vcc_lo
	v_add_co_u32 v9, vcc_lo, s4, v7
	s_delay_alu instid0(VALU_DEP_4)
	v_add_co_ci_u32_e32 v10, vcc_lo, s5, v8, vcc_lo
	global_load_b128 v[5:8], v[5:6], off
	global_load_b128 v[9:12], v[9:10], off
	s_waitcnt vmcnt(0)
	v_mul_f64 v[13:14], v[5:6], v[11:12]
	v_mul_f64 v[11:12], v[7:8], v[11:12]
	s_delay_alu instid0(VALU_DEP_2) | instskip(NEXT) | instid1(VALU_DEP_2)
	v_fma_f64 v[7:8], v[7:8], v[9:10], v[13:14]
	v_fma_f64 v[5:6], v[5:6], v[9:10], -v[11:12]
	s_delay_alu instid0(VALU_DEP_2) | instskip(NEXT) | instid1(VALU_DEP_2)
	v_add_f64 v[3:4], v[3:4], v[7:8]
	v_add_f64 v[1:2], v[1:2], v[5:6]
.LBB108_3:
	s_or_b32 exec_lo, exec_lo, s8
.LBB108_4:
	s_delay_alu instid0(SALU_CYCLE_1) | instskip(SKIP_2) | instid1(VALU_DEP_2)
	s_or_b32 exec_lo, exec_lo, s2
	v_and_b32_e32 v14, 31, v0
	v_cmp_gt_u32_e32 vcc_lo, 32, v0
	v_lshlrev_b32_e32 v9, 4, v14
	s_and_saveexec_b32 s2, vcc_lo
	s_cbranch_execz .LBB108_6
; %bb.5:
	v_mov_b32_e32 v5, 0
	s_delay_alu instid0(VALU_DEP_1)
	v_mov_b32_e32 v6, v5
	v_mov_b32_e32 v7, v5
	v_mov_b32_e32 v8, v5
	ds_store_b128 v9, v[5:8]
.LBB108_6:
	s_or_b32 exec_lo, exec_lo, s2
	v_mbcnt_lo_u32_b32 v13, -1, 0
	s_mov_b32 s4, exec_lo
	s_waitcnt lgkmcnt(0)
	s_barrier
	buffer_gl0_inv
	v_cmp_gt_u32_e64 s2, 16, v13
	s_delay_alu instid0(VALU_DEP_1) | instskip(SKIP_1) | instid1(VALU_DEP_2)
	v_cndmask_b32_e64 v5, 0, 1, s2
	v_cmp_gt_u32_e64 s2, 24, v13
	v_lshlrev_b32_e32 v5, 4, v5
	s_delay_alu instid0(VALU_DEP_1)
	v_add_lshl_u32 v8, v5, v13, 2
	ds_bpermute_b32 v5, v8, v1
	ds_bpermute_b32 v6, v8, v2
	;; [unrolled: 1-line block ×4, first 2 shown]
	s_waitcnt lgkmcnt(2)
	v_add_f64 v[1:2], v[1:2], v[5:6]
	v_cndmask_b32_e64 v5, 0, 1, s2
	s_waitcnt lgkmcnt(0)
	v_add_f64 v[3:4], v[3:4], v[7:8]
	v_cmp_gt_u32_e64 s2, 28, v13
	s_delay_alu instid0(VALU_DEP_3) | instskip(NEXT) | instid1(VALU_DEP_1)
	v_lshlrev_b32_e32 v5, 3, v5
	v_add_lshl_u32 v10, v5, v13, 2
	ds_bpermute_b32 v5, v10, v1
	ds_bpermute_b32 v6, v10, v2
	;; [unrolled: 1-line block ×4, first 2 shown]
	s_waitcnt lgkmcnt(2)
	v_add_f64 v[1:2], v[1:2], v[5:6]
	v_cndmask_b32_e64 v5, 0, 1, s2
	s_waitcnt lgkmcnt(0)
	v_add_f64 v[3:4], v[3:4], v[7:8]
	v_cmp_gt_u32_e64 s2, 30, v13
	s_delay_alu instid0(VALU_DEP_3) | instskip(NEXT) | instid1(VALU_DEP_1)
	v_lshlrev_b32_e32 v5, 2, v5
	v_add_lshl_u32 v11, v5, v13, 2
	ds_bpermute_b32 v5, v11, v1
	ds_bpermute_b32 v6, v11, v2
	ds_bpermute_b32 v7, v11, v3
	ds_bpermute_b32 v8, v11, v4
	s_waitcnt lgkmcnt(2)
	v_add_f64 v[1:2], v[1:2], v[5:6]
	v_cndmask_b32_e64 v5, 0, 1, s2
	s_waitcnt lgkmcnt(0)
	v_add_f64 v[3:4], v[3:4], v[7:8]
	v_cmp_ne_u32_e64 s2, 31, v13
	s_delay_alu instid0(VALU_DEP_3) | instskip(NEXT) | instid1(VALU_DEP_1)
	v_lshlrev_b32_e32 v5, 1, v5
	v_add_lshl_u32 v12, v5, v13, 2
	ds_bpermute_b32 v5, v12, v1
	ds_bpermute_b32 v6, v12, v2
	;; [unrolled: 1-line block ×4, first 2 shown]
	s_waitcnt lgkmcnt(2)
	v_add_f64 v[1:2], v[1:2], v[5:6]
	s_waitcnt lgkmcnt(0)
	v_add_f64 v[5:6], v[3:4], v[7:8]
	v_add_co_ci_u32_e64 v3, s2, 0, v13, s2
	s_delay_alu instid0(VALU_DEP_1)
	v_lshlrev_b32_e32 v13, 2, v3
	ds_bpermute_b32 v3, v13, v1
	ds_bpermute_b32 v4, v13, v2
	;; [unrolled: 1-line block ×4, first 2 shown]
	v_cmpx_eq_u32_e32 0, v14
	s_cbranch_execz .LBB108_8
; %bb.7:
	s_waitcnt lgkmcnt(0)
	v_add_f64 v[5:6], v[5:6], v[7:8]
	v_add_f64 v[3:4], v[1:2], v[3:4]
	v_lshrrev_b32_e32 v1, 1, v0
	s_delay_alu instid0(VALU_DEP_1)
	v_and_b32_e32 v1, 0xf0, v1
	ds_store_b128 v1, v[3:6]
.LBB108_8:
	s_or_b32 exec_lo, exec_lo, s4
	s_waitcnt lgkmcnt(2)
	v_mov_b32_e32 v3, 0
	v_mov_b32_e32 v4, 0
	s_delay_alu instid0(VALU_DEP_2)
	v_mov_b32_e32 v1, v3
	s_mov_b32 s4, exec_lo
	s_waitcnt lgkmcnt(0)
	s_barrier
	v_mov_b32_e32 v2, v4
	buffer_gl0_inv
	v_cmpx_gt_u32_e32 16, v0
	s_cbranch_execz .LBB108_10
; %bb.9:
	ds_load_b128 v[1:4], v9
.LBB108_10:
	s_or_b32 exec_lo, exec_lo, s4
	s_and_saveexec_b32 s2, vcc_lo
	s_cbranch_execz .LBB108_12
; %bb.11:
	s_waitcnt lgkmcnt(0)
	ds_bpermute_b32 v5, v10, v1
	ds_bpermute_b32 v6, v10, v2
	ds_bpermute_b32 v7, v10, v3
	ds_bpermute_b32 v8, v10, v4
	s_waitcnt lgkmcnt(2)
	v_add_f64 v[1:2], v[1:2], v[5:6]
	s_waitcnt lgkmcnt(0)
	v_add_f64 v[3:4], v[3:4], v[7:8]
	ds_bpermute_b32 v5, v11, v1
	ds_bpermute_b32 v6, v11, v2
	ds_bpermute_b32 v7, v11, v3
	ds_bpermute_b32 v8, v11, v4
	s_waitcnt lgkmcnt(2)
	v_add_f64 v[1:2], v[1:2], v[5:6]
	s_waitcnt lgkmcnt(0)
	v_add_f64 v[3:4], v[3:4], v[7:8]
	;; [unrolled: 8-line block ×4, first 2 shown]
.LBB108_12:
	s_or_b32 exec_lo, exec_lo, s2
	s_delay_alu instid0(SALU_CYCLE_1)
	s_mov_b32 s2, exec_lo
	v_cmpx_eq_u32_e32 0, v0
	s_cbranch_execz .LBB108_18
; %bb.13:
	s_cmp_lg_u32 s3, 1
	s_cbranch_scc0 .LBB108_15
; %bb.14:
	s_load_b64 s[4:5], s[0:1], 0x50
	s_mul_hi_u32 s7, s3, s12
	s_mul_i32 s6, s3, s12
	s_mov_b32 s15, 0
	s_lshl_b64 s[2:3], s[6:7], 4
	s_waitcnt lgkmcnt(0)
	s_add_u32 s4, s4, s2
	s_addc_u32 s5, s5, s3
	s_lshl_b64 s[2:3], s[14:15], 4
	s_delay_alu instid0(SALU_CYCLE_1)
	s_add_u32 s2, s4, s2
	s_addc_u32 s3, s5, s3
	s_cbranch_execz .LBB108_16
	s_branch .LBB108_17
.LBB108_15:
                                        ; implicit-def: $sgpr2_sgpr3
.LBB108_16:
	s_load_b64 s[0:1], s[0:1], 0x58
	s_lshl_b64 s[2:3], s[12:13], 4
	s_waitcnt lgkmcnt(0)
	s_add_u32 s2, s0, s2
	s_addc_u32 s3, s1, s3
.LBB108_17:
	v_mov_b32_e32 v0, 0
	s_waitcnt lgkmcnt(0)
	global_store_b128 v0, v[1:4], s[2:3]
.LBB108_18:
	s_nop 0
	s_sendmsg sendmsg(MSG_DEALLOC_VGPRS)
	s_endpgm
	.section	.rodata,"a",@progbits
	.p2align	6, 0x0
	.amdhsa_kernel _ZL18rocblas_dot_kernelIlLb0ELi512ELi2ELb0E19rocblas_complex_numIdEPKS1_S1_EviT5_lT_lS4_lS5_liPT6_PT4_
		.amdhsa_group_segment_fixed_size 512
		.amdhsa_private_segment_fixed_size 0
		.amdhsa_kernarg_size 352
		.amdhsa_user_sgpr_count 14
		.amdhsa_user_sgpr_dispatch_ptr 0
		.amdhsa_user_sgpr_queue_ptr 0
		.amdhsa_user_sgpr_kernarg_segment_ptr 1
		.amdhsa_user_sgpr_dispatch_id 0
		.amdhsa_user_sgpr_private_segment_size 0
		.amdhsa_wavefront_size32 1
		.amdhsa_uses_dynamic_stack 0
		.amdhsa_enable_private_segment 0
		.amdhsa_system_sgpr_workgroup_id_x 1
		.amdhsa_system_sgpr_workgroup_id_y 0
		.amdhsa_system_sgpr_workgroup_id_z 1
		.amdhsa_system_sgpr_workgroup_info 0
		.amdhsa_system_vgpr_workitem_id 0
		.amdhsa_next_free_vgpr 15
		.amdhsa_next_free_sgpr 26
		.amdhsa_reserve_vcc 1
		.amdhsa_float_round_mode_32 0
		.amdhsa_float_round_mode_16_64 0
		.amdhsa_float_denorm_mode_32 3
		.amdhsa_float_denorm_mode_16_64 3
		.amdhsa_dx10_clamp 1
		.amdhsa_ieee_mode 1
		.amdhsa_fp16_overflow 0
		.amdhsa_workgroup_processor_mode 1
		.amdhsa_memory_ordered 1
		.amdhsa_forward_progress 0
		.amdhsa_shared_vgpr_count 0
		.amdhsa_exception_fp_ieee_invalid_op 0
		.amdhsa_exception_fp_denorm_src 0
		.amdhsa_exception_fp_ieee_div_zero 0
		.amdhsa_exception_fp_ieee_overflow 0
		.amdhsa_exception_fp_ieee_underflow 0
		.amdhsa_exception_fp_ieee_inexact 0
		.amdhsa_exception_int_div_zero 0
	.end_amdhsa_kernel
	.section	.text._ZL18rocblas_dot_kernelIlLb0ELi512ELi2ELb0E19rocblas_complex_numIdEPKS1_S1_EviT5_lT_lS4_lS5_liPT6_PT4_,"axG",@progbits,_ZL18rocblas_dot_kernelIlLb0ELi512ELi2ELb0E19rocblas_complex_numIdEPKS1_S1_EviT5_lT_lS4_lS5_liPT6_PT4_,comdat
.Lfunc_end108:
	.size	_ZL18rocblas_dot_kernelIlLb0ELi512ELi2ELb0E19rocblas_complex_numIdEPKS1_S1_EviT5_lT_lS4_lS5_liPT6_PT4_, .Lfunc_end108-_ZL18rocblas_dot_kernelIlLb0ELi512ELi2ELb0E19rocblas_complex_numIdEPKS1_S1_EviT5_lT_lS4_lS5_liPT6_PT4_
                                        ; -- End function
	.section	.AMDGPU.csdata,"",@progbits
; Kernel info:
; codeLenInByte = 1620
; NumSgprs: 28
; NumVgprs: 15
; ScratchSize: 0
; MemoryBound: 0
; FloatMode: 240
; IeeeMode: 1
; LDSByteSize: 512 bytes/workgroup (compile time only)
; SGPRBlocks: 3
; VGPRBlocks: 1
; NumSGPRsForWavesPerEU: 28
; NumVGPRsForWavesPerEU: 15
; Occupancy: 16
; WaveLimiterHint : 0
; COMPUTE_PGM_RSRC2:SCRATCH_EN: 0
; COMPUTE_PGM_RSRC2:USER_SGPR: 14
; COMPUTE_PGM_RSRC2:TRAP_HANDLER: 0
; COMPUTE_PGM_RSRC2:TGID_X_EN: 1
; COMPUTE_PGM_RSRC2:TGID_Y_EN: 0
; COMPUTE_PGM_RSRC2:TGID_Z_EN: 1
; COMPUTE_PGM_RSRC2:TIDIG_COMP_CNT: 0
	.section	.text._ZL24rocblas_dot_kernel_magsqIlLb0ELi512ELi2ELb0E19rocblas_complex_numIdEPKS1_S1_EviT5_lT_liPT6_PT4_,"axG",@progbits,_ZL24rocblas_dot_kernel_magsqIlLb0ELi512ELi2ELb0E19rocblas_complex_numIdEPKS1_S1_EviT5_lT_liPT6_PT4_,comdat
	.globl	_ZL24rocblas_dot_kernel_magsqIlLb0ELi512ELi2ELb0E19rocblas_complex_numIdEPKS1_S1_EviT5_lT_liPT6_PT4_ ; -- Begin function _ZL24rocblas_dot_kernel_magsqIlLb0ELi512ELi2ELb0E19rocblas_complex_numIdEPKS1_S1_EviT5_lT_liPT6_PT4_
	.p2align	8
	.type	_ZL24rocblas_dot_kernel_magsqIlLb0ELi512ELi2ELb0E19rocblas_complex_numIdEPKS1_S1_EviT5_lT_liPT6_PT4_,@function
_ZL24rocblas_dot_kernel_magsqIlLb0ELi512ELi2ELb0E19rocblas_complex_numIdEPKS1_S1_EviT5_lT_liPT6_PT4_: ; @_ZL24rocblas_dot_kernel_magsqIlLb0ELi512ELi2ELb0E19rocblas_complex_numIdEPKS1_S1_EviT5_lT_liPT6_PT4_
; %bb.0:
	s_clause 0x1
	s_load_b32 s10, s[0:1], 0x0
	s_load_b32 s3, s[0:1], 0x40
	v_mov_b32_e32 v1, 0
	v_mov_b32_e32 v2, 0
	v_lshl_or_b32 v5, s14, 9, v0
	s_mov_b32 s8, s15
	s_mov_b32 s9, 0
	s_mov_b32 s2, exec_lo
	v_dual_mov_b32 v4, v2 :: v_dual_mov_b32 v3, v1
	s_waitcnt lgkmcnt(0)
	v_cmpx_gt_i32_e64 s10, v5
	s_cbranch_execz .LBB109_4
; %bb.1:
	s_clause 0x2
	s_load_b128 s[4:7], s[0:1], 0x10
	s_load_b64 s[12:13], s[0:1], 0x20
	s_load_b64 s[16:17], s[0:1], 0x8
	v_ashrrev_i32_e32 v1, 31, v5
	s_waitcnt lgkmcnt(0)
	v_mul_lo_u32 v3, v5, s7
	s_delay_alu instid0(VALU_DEP_2)
	v_mul_lo_u32 v4, v1, s6
	v_mad_u64_u32 v[1:2], null, v5, s6, 0
	s_mul_i32 s11, s8, s13
	s_mul_hi_u32 s13, s8, s12
	s_mul_i32 s12, s8, s12
	s_add_i32 s13, s13, s11
	s_delay_alu instid0(SALU_CYCLE_1) | instskip(NEXT) | instid1(VALU_DEP_1)
	s_lshl_b64 s[12:13], s[12:13], 4
	v_add3_u32 v2, v2, v3, v4
	s_add_u32 s11, s16, s12
	s_addc_u32 s12, s17, s13
	s_lshl_b64 s[4:5], s[4:5], 4
	s_delay_alu instid0(VALU_DEP_1) | instskip(SKIP_3) | instid1(VALU_DEP_1)
	v_lshlrev_b64 v[1:2], 4, v[1:2]
	s_add_u32 s4, s11, s4
	s_addc_u32 s5, s12, s5
	s_add_i32 s11, s14, s3
	v_add_co_u32 v1, vcc_lo, s4, v1
	s_delay_alu instid0(VALU_DEP_2) | instskip(SKIP_4) | instid1(VALU_DEP_2)
	v_add_co_ci_u32_e32 v2, vcc_lo, s5, v2, vcc_lo
	global_load_b128 v[1:4], v[1:2], off
	s_waitcnt vmcnt(0)
	v_mul_f64 v[5:6], v[3:4], v[3:4]
	v_mul_f64 v[3:4], v[1:2], v[3:4]
	v_fma_f64 v[1:2], v[1:2], v[1:2], -v[5:6]
	s_delay_alu instid0(VALU_DEP_2) | instskip(SKIP_1) | instid1(VALU_DEP_1)
	v_fma_f64 v[3:4], v[3:4], 2.0, 0
	v_lshl_or_b32 v5, s11, 9, v0
	v_cmp_gt_i32_e32 vcc_lo, s10, v5
	s_and_saveexec_b32 s10, vcc_lo
	s_cbranch_execz .LBB109_3
; %bb.2:
	v_ashrrev_i32_e32 v8, 31, v5
	v_mul_lo_u32 v9, v5, s7
	v_mad_u64_u32 v[6:7], null, v5, s6, 0
	s_delay_alu instid0(VALU_DEP_3) | instskip(NEXT) | instid1(VALU_DEP_1)
	v_mul_lo_u32 v5, v8, s6
	v_add3_u32 v7, v7, v9, v5
	s_delay_alu instid0(VALU_DEP_1) | instskip(NEXT) | instid1(VALU_DEP_1)
	v_lshlrev_b64 v[5:6], 4, v[6:7]
	v_add_co_u32 v5, vcc_lo, s4, v5
	s_delay_alu instid0(VALU_DEP_2) | instskip(SKIP_4) | instid1(VALU_DEP_2)
	v_add_co_ci_u32_e32 v6, vcc_lo, s5, v6, vcc_lo
	global_load_b128 v[5:8], v[5:6], off
	s_waitcnt vmcnt(0)
	v_mul_f64 v[9:10], v[7:8], v[7:8]
	v_mul_f64 v[7:8], v[5:6], v[7:8]
	v_fma_f64 v[5:6], v[5:6], v[5:6], -v[9:10]
	s_delay_alu instid0(VALU_DEP_2) | instskip(NEXT) | instid1(VALU_DEP_2)
	v_fma_f64 v[3:4], v[7:8], 2.0, v[3:4]
	v_add_f64 v[1:2], v[1:2], v[5:6]
.LBB109_3:
	s_or_b32 exec_lo, exec_lo, s10
.LBB109_4:
	s_delay_alu instid0(SALU_CYCLE_1) | instskip(SKIP_2) | instid1(VALU_DEP_2)
	s_or_b32 exec_lo, exec_lo, s2
	v_and_b32_e32 v14, 31, v0
	v_cmp_gt_u32_e32 vcc_lo, 32, v0
	v_lshlrev_b32_e32 v9, 4, v14
	s_and_saveexec_b32 s2, vcc_lo
	s_cbranch_execz .LBB109_6
; %bb.5:
	v_mov_b32_e32 v5, 0
	s_delay_alu instid0(VALU_DEP_1)
	v_mov_b32_e32 v6, v5
	v_mov_b32_e32 v7, v5
	v_mov_b32_e32 v8, v5
	ds_store_b128 v9, v[5:8]
.LBB109_6:
	s_or_b32 exec_lo, exec_lo, s2
	v_mbcnt_lo_u32_b32 v13, -1, 0
	s_mov_b32 s4, exec_lo
	s_waitcnt lgkmcnt(0)
	s_barrier
	buffer_gl0_inv
	v_cmp_gt_u32_e64 s2, 16, v13
	s_delay_alu instid0(VALU_DEP_1) | instskip(SKIP_1) | instid1(VALU_DEP_2)
	v_cndmask_b32_e64 v5, 0, 1, s2
	v_cmp_gt_u32_e64 s2, 24, v13
	v_lshlrev_b32_e32 v5, 4, v5
	s_delay_alu instid0(VALU_DEP_1)
	v_add_lshl_u32 v8, v5, v13, 2
	ds_bpermute_b32 v5, v8, v1
	ds_bpermute_b32 v6, v8, v2
	;; [unrolled: 1-line block ×4, first 2 shown]
	s_waitcnt lgkmcnt(2)
	v_add_f64 v[1:2], v[1:2], v[5:6]
	v_cndmask_b32_e64 v5, 0, 1, s2
	s_waitcnt lgkmcnt(0)
	v_add_f64 v[3:4], v[3:4], v[7:8]
	v_cmp_gt_u32_e64 s2, 28, v13
	s_delay_alu instid0(VALU_DEP_3) | instskip(NEXT) | instid1(VALU_DEP_1)
	v_lshlrev_b32_e32 v5, 3, v5
	v_add_lshl_u32 v10, v5, v13, 2
	ds_bpermute_b32 v5, v10, v1
	ds_bpermute_b32 v6, v10, v2
	;; [unrolled: 1-line block ×4, first 2 shown]
	s_waitcnt lgkmcnt(2)
	v_add_f64 v[1:2], v[1:2], v[5:6]
	v_cndmask_b32_e64 v5, 0, 1, s2
	s_waitcnt lgkmcnt(0)
	v_add_f64 v[3:4], v[3:4], v[7:8]
	v_cmp_gt_u32_e64 s2, 30, v13
	s_delay_alu instid0(VALU_DEP_3) | instskip(NEXT) | instid1(VALU_DEP_1)
	v_lshlrev_b32_e32 v5, 2, v5
	v_add_lshl_u32 v11, v5, v13, 2
	ds_bpermute_b32 v5, v11, v1
	ds_bpermute_b32 v6, v11, v2
	;; [unrolled: 1-line block ×4, first 2 shown]
	s_waitcnt lgkmcnt(2)
	v_add_f64 v[1:2], v[1:2], v[5:6]
	v_cndmask_b32_e64 v5, 0, 1, s2
	s_waitcnt lgkmcnt(0)
	v_add_f64 v[3:4], v[3:4], v[7:8]
	v_cmp_ne_u32_e64 s2, 31, v13
	s_delay_alu instid0(VALU_DEP_3) | instskip(NEXT) | instid1(VALU_DEP_1)
	v_lshlrev_b32_e32 v5, 1, v5
	v_add_lshl_u32 v12, v5, v13, 2
	ds_bpermute_b32 v5, v12, v1
	ds_bpermute_b32 v6, v12, v2
	;; [unrolled: 1-line block ×4, first 2 shown]
	s_waitcnt lgkmcnt(2)
	v_add_f64 v[1:2], v[1:2], v[5:6]
	s_waitcnt lgkmcnt(0)
	v_add_f64 v[5:6], v[3:4], v[7:8]
	v_add_co_ci_u32_e64 v3, s2, 0, v13, s2
	s_delay_alu instid0(VALU_DEP_1)
	v_lshlrev_b32_e32 v13, 2, v3
	ds_bpermute_b32 v3, v13, v1
	ds_bpermute_b32 v4, v13, v2
	;; [unrolled: 1-line block ×4, first 2 shown]
	v_cmpx_eq_u32_e32 0, v14
	s_cbranch_execz .LBB109_8
; %bb.7:
	s_waitcnt lgkmcnt(0)
	v_add_f64 v[5:6], v[5:6], v[7:8]
	v_add_f64 v[3:4], v[1:2], v[3:4]
	v_lshrrev_b32_e32 v1, 1, v0
	s_delay_alu instid0(VALU_DEP_1)
	v_and_b32_e32 v1, 0xf0, v1
	ds_store_b128 v1, v[3:6]
.LBB109_8:
	s_or_b32 exec_lo, exec_lo, s4
	s_waitcnt lgkmcnt(2)
	v_mov_b32_e32 v3, 0
	v_mov_b32_e32 v4, 0
	s_delay_alu instid0(VALU_DEP_2)
	v_mov_b32_e32 v1, v3
	s_mov_b32 s4, exec_lo
	s_waitcnt lgkmcnt(0)
	s_barrier
	v_mov_b32_e32 v2, v4
	buffer_gl0_inv
	v_cmpx_gt_u32_e32 16, v0
	s_cbranch_execz .LBB109_10
; %bb.9:
	ds_load_b128 v[1:4], v9
.LBB109_10:
	s_or_b32 exec_lo, exec_lo, s4
	s_and_saveexec_b32 s2, vcc_lo
	s_cbranch_execz .LBB109_12
; %bb.11:
	s_waitcnt lgkmcnt(0)
	ds_bpermute_b32 v5, v10, v1
	ds_bpermute_b32 v6, v10, v2
	ds_bpermute_b32 v7, v10, v3
	ds_bpermute_b32 v8, v10, v4
	s_waitcnt lgkmcnt(2)
	v_add_f64 v[1:2], v[1:2], v[5:6]
	s_waitcnt lgkmcnt(0)
	v_add_f64 v[3:4], v[3:4], v[7:8]
	ds_bpermute_b32 v5, v11, v1
	ds_bpermute_b32 v6, v11, v2
	ds_bpermute_b32 v7, v11, v3
	ds_bpermute_b32 v8, v11, v4
	s_waitcnt lgkmcnt(2)
	v_add_f64 v[1:2], v[1:2], v[5:6]
	s_waitcnt lgkmcnt(0)
	v_add_f64 v[3:4], v[3:4], v[7:8]
	;; [unrolled: 8-line block ×4, first 2 shown]
.LBB109_12:
	s_or_b32 exec_lo, exec_lo, s2
	s_delay_alu instid0(SALU_CYCLE_1)
	s_mov_b32 s2, exec_lo
	v_cmpx_eq_u32_e32 0, v0
	s_cbranch_execz .LBB109_18
; %bb.13:
	s_cmp_lg_u32 s3, 1
	s_cbranch_scc0 .LBB109_15
; %bb.14:
	s_load_b64 s[4:5], s[0:1], 0x30
	s_mul_hi_u32 s7, s3, s8
	s_mul_i32 s6, s3, s8
	s_mov_b32 s15, 0
	s_lshl_b64 s[2:3], s[6:7], 4
	s_waitcnt lgkmcnt(0)
	s_add_u32 s4, s4, s2
	s_addc_u32 s5, s5, s3
	s_lshl_b64 s[2:3], s[14:15], 4
	s_delay_alu instid0(SALU_CYCLE_1)
	s_add_u32 s2, s4, s2
	s_addc_u32 s3, s5, s3
	s_cbranch_execz .LBB109_16
	s_branch .LBB109_17
.LBB109_15:
                                        ; implicit-def: $sgpr2_sgpr3
.LBB109_16:
	s_load_b64 s[0:1], s[0:1], 0x38
	s_lshl_b64 s[2:3], s[8:9], 4
	s_waitcnt lgkmcnt(0)
	s_add_u32 s2, s0, s2
	s_addc_u32 s3, s1, s3
.LBB109_17:
	v_mov_b32_e32 v0, 0
	s_waitcnt lgkmcnt(0)
	global_store_b128 v0, v[1:4], s[2:3]
.LBB109_18:
	s_nop 0
	s_sendmsg sendmsg(MSG_DEALLOC_VGPRS)
	s_endpgm
	.section	.rodata,"a",@progbits
	.p2align	6, 0x0
	.amdhsa_kernel _ZL24rocblas_dot_kernel_magsqIlLb0ELi512ELi2ELb0E19rocblas_complex_numIdEPKS1_S1_EviT5_lT_liPT6_PT4_
		.amdhsa_group_segment_fixed_size 512
		.amdhsa_private_segment_fixed_size 0
		.amdhsa_kernarg_size 320
		.amdhsa_user_sgpr_count 14
		.amdhsa_user_sgpr_dispatch_ptr 0
		.amdhsa_user_sgpr_queue_ptr 0
		.amdhsa_user_sgpr_kernarg_segment_ptr 1
		.amdhsa_user_sgpr_dispatch_id 0
		.amdhsa_user_sgpr_private_segment_size 0
		.amdhsa_wavefront_size32 1
		.amdhsa_uses_dynamic_stack 0
		.amdhsa_enable_private_segment 0
		.amdhsa_system_sgpr_workgroup_id_x 1
		.amdhsa_system_sgpr_workgroup_id_y 0
		.amdhsa_system_sgpr_workgroup_id_z 1
		.amdhsa_system_sgpr_workgroup_info 0
		.amdhsa_system_vgpr_workitem_id 0
		.amdhsa_next_free_vgpr 15
		.amdhsa_next_free_sgpr 18
		.amdhsa_reserve_vcc 1
		.amdhsa_float_round_mode_32 0
		.amdhsa_float_round_mode_16_64 0
		.amdhsa_float_denorm_mode_32 3
		.amdhsa_float_denorm_mode_16_64 3
		.amdhsa_dx10_clamp 1
		.amdhsa_ieee_mode 1
		.amdhsa_fp16_overflow 0
		.amdhsa_workgroup_processor_mode 1
		.amdhsa_memory_ordered 1
		.amdhsa_forward_progress 0
		.amdhsa_shared_vgpr_count 0
		.amdhsa_exception_fp_ieee_invalid_op 0
		.amdhsa_exception_fp_denorm_src 0
		.amdhsa_exception_fp_ieee_div_zero 0
		.amdhsa_exception_fp_ieee_overflow 0
		.amdhsa_exception_fp_ieee_underflow 0
		.amdhsa_exception_fp_ieee_inexact 0
		.amdhsa_exception_int_div_zero 0
	.end_amdhsa_kernel
	.section	.text._ZL24rocblas_dot_kernel_magsqIlLb0ELi512ELi2ELb0E19rocblas_complex_numIdEPKS1_S1_EviT5_lT_liPT6_PT4_,"axG",@progbits,_ZL24rocblas_dot_kernel_magsqIlLb0ELi512ELi2ELb0E19rocblas_complex_numIdEPKS1_S1_EviT5_lT_liPT6_PT4_,comdat
.Lfunc_end109:
	.size	_ZL24rocblas_dot_kernel_magsqIlLb0ELi512ELi2ELb0E19rocblas_complex_numIdEPKS1_S1_EviT5_lT_liPT6_PT4_, .Lfunc_end109-_ZL24rocblas_dot_kernel_magsqIlLb0ELi512ELi2ELb0E19rocblas_complex_numIdEPKS1_S1_EviT5_lT_liPT6_PT4_
                                        ; -- End function
	.section	.AMDGPU.csdata,"",@progbits
; Kernel info:
; codeLenInByte = 1412
; NumSgprs: 20
; NumVgprs: 15
; ScratchSize: 0
; MemoryBound: 0
; FloatMode: 240
; IeeeMode: 1
; LDSByteSize: 512 bytes/workgroup (compile time only)
; SGPRBlocks: 2
; VGPRBlocks: 1
; NumSGPRsForWavesPerEU: 20
; NumVGPRsForWavesPerEU: 15
; Occupancy: 16
; WaveLimiterHint : 0
; COMPUTE_PGM_RSRC2:SCRATCH_EN: 0
; COMPUTE_PGM_RSRC2:USER_SGPR: 14
; COMPUTE_PGM_RSRC2:TRAP_HANDLER: 0
; COMPUTE_PGM_RSRC2:TGID_X_EN: 1
; COMPUTE_PGM_RSRC2:TGID_Y_EN: 0
; COMPUTE_PGM_RSRC2:TGID_Z_EN: 1
; COMPUTE_PGM_RSRC2:TIDIG_COMP_CNT: 0
	.section	.text._ZL28rocblas_dot_batched_4_kernelIiLi32ELi4ELb1E19rocblas_complex_numIfES1_PKS1_EviT5_lT_lS4_lS5_liPT4_,"axG",@progbits,_ZL28rocblas_dot_batched_4_kernelIiLi32ELi4ELb1E19rocblas_complex_numIfES1_PKS1_EviT5_lT_lS4_lS5_liPT4_,comdat
	.globl	_ZL28rocblas_dot_batched_4_kernelIiLi32ELi4ELb1E19rocblas_complex_numIfES1_PKS1_EviT5_lT_lS4_lS5_liPT4_ ; -- Begin function _ZL28rocblas_dot_batched_4_kernelIiLi32ELi4ELb1E19rocblas_complex_numIfES1_PKS1_EviT5_lT_lS4_lS5_liPT4_
	.p2align	8
	.type	_ZL28rocblas_dot_batched_4_kernelIiLi32ELi4ELb1E19rocblas_complex_numIfES1_PKS1_EviT5_lT_lS4_lS5_liPT4_,@function
_ZL28rocblas_dot_batched_4_kernelIiLi32ELi4ELb1E19rocblas_complex_numIfES1_PKS1_EviT5_lT_lS4_lS5_liPT4_: ; @_ZL28rocblas_dot_batched_4_kernelIiLi32ELi4ELb1E19rocblas_complex_numIfES1_PKS1_EviT5_lT_lS4_lS5_liPT4_
; %bb.0:
	s_load_b32 s2, s[0:1], 0x48
	v_bfe_u32 v1, v0, 10, 10
	s_delay_alu instid0(VALU_DEP_1) | instskip(SKIP_1) | instid1(VALU_DEP_1)
	v_lshl_add_u32 v1, s15, 2, v1
	s_waitcnt lgkmcnt(0)
	v_cmp_gt_u32_e32 vcc_lo, s2, v1
	s_and_saveexec_b32 s2, vcc_lo
	s_cbranch_execz .LBB110_7
; %bb.1:
	s_clause 0x1
	s_load_b32 s10, s[0:1], 0x0
	s_load_b64 s[8:9], s[0:1], 0x50
	v_mov_b32_e32 v2, 0
	v_and_b32_e32 v0, 0x3ff, v0
	s_mov_b32 s11, exec_lo
	s_delay_alu instid0(VALU_DEP_2)
	v_mov_b32_e32 v7, v2
	v_mov_b32_e32 v8, v2
	s_waitcnt lgkmcnt(0)
	v_cmpx_gt_i32_e64 s10, v0
	s_cbranch_execz .LBB110_5
; %bb.2:
	s_clause 0x5
	s_load_b64 s[12:13], s[0:1], 0x40
	s_load_b128 s[4:7], s[0:1], 0x20
	s_load_b32 s14, s[0:1], 0x18
	s_load_b32 s16, s[0:1], 0x38
	s_load_b64 s[18:19], s[0:1], 0x30
	s_load_b128 s[0:3], s[0:1], 0x8
	v_mov_b32_e32 v8, 0
	s_waitcnt lgkmcnt(0)
	v_mad_u64_u32 v[3:4], null, s12, v1, 0
	v_mad_u64_u32 v[5:6], null, s4, v1, 0
	v_mad_i64_i32 v[10:11], null, s16, v0, 0
	s_ashr_i32 s15, s14, 31
	s_ashr_i32 s17, s16, 31
	s_delay_alu instid0(VALU_DEP_2) | instskip(SKIP_1) | instid1(VALU_DEP_3)
	v_mad_u64_u32 v[12:13], null, s13, v1, v[4:5]
	v_mov_b32_e32 v7, 0
	v_lshlrev_b64 v[10:11], 3, v[10:11]
	s_lshl_b64 s[12:13], s[18:19], 3
	s_delay_alu instid0(SALU_CYCLE_1) | instskip(SKIP_1) | instid1(VALU_DEP_3)
	s_add_u32 s6, s6, s12
	s_addc_u32 s7, s7, s13
	v_mov_b32_e32 v4, v12
	v_mad_u64_u32 v[13:14], null, s5, v1, v[6:7]
	v_mad_i64_i32 v[14:15], null, s14, v0, 0
	v_mov_b32_e32 v9, v0
	s_delay_alu instid0(VALU_DEP_4) | instskip(SKIP_2) | instid1(VALU_DEP_4)
	v_lshlrev_b64 v[3:4], 3, v[3:4]
	s_lshl_b64 s[2:3], s[2:3], 3
	s_lshl_b64 s[4:5], s[16:17], 8
	v_mov_b32_e32 v6, v13
	s_add_u32 s0, s0, s2
	s_delay_alu instid0(VALU_DEP_4) | instskip(SKIP_1) | instid1(VALU_DEP_3)
	v_lshlrev_b64 v[12:13], 3, v[14:15]
	v_add_co_u32 v3, vcc_lo, v10, v3
	v_lshlrev_b64 v[5:6], 3, v[5:6]
	v_add_co_ci_u32_e32 v4, vcc_lo, v11, v4, vcc_lo
	s_addc_u32 s1, s1, s3
	s_lshl_b64 s[2:3], s[14:15], 8
	s_delay_alu instid0(VALU_DEP_2) | instskip(NEXT) | instid1(VALU_DEP_3)
	v_add_co_u32 v5, vcc_lo, v12, v5
	v_add_co_ci_u32_e32 v6, vcc_lo, v13, v6, vcc_lo
	v_add_co_u32 v3, vcc_lo, s6, v3
	v_add_co_ci_u32_e32 v4, vcc_lo, s7, v4, vcc_lo
	s_delay_alu instid0(VALU_DEP_4) | instskip(NEXT) | instid1(VALU_DEP_4)
	v_add_co_u32 v5, vcc_lo, s0, v5
	v_add_co_ci_u32_e32 v6, vcc_lo, s1, v6, vcc_lo
	s_delay_alu instid0(VALU_DEP_4) | instskip(NEXT) | instid1(VALU_DEP_4)
	;; [unrolled: 3-line block ×3, first 2 shown]
	v_add_co_u32 v5, vcc_lo, v5, 4
	v_add_co_ci_u32_e32 v6, vcc_lo, 0, v6, vcc_lo
	s_mov_b32 s1, 0
	.p2align	6
.LBB110_3:                              ; =>This Inner Loop Header: Depth=1
	global_load_b64 v[10:11], v[5:6], off offset:-4
	global_load_b64 v[12:13], v[3:4], off offset:-4
	v_add_co_u32 v3, vcc_lo, v3, s4
	v_add_co_ci_u32_e32 v4, vcc_lo, s5, v4, vcc_lo
	v_add_co_u32 v5, vcc_lo, v5, s2
	v_add_co_ci_u32_e32 v6, vcc_lo, s3, v6, vcc_lo
	s_waitcnt vmcnt(0)
	v_mul_f32_e32 v14, v11, v13
	v_mul_f32_e32 v11, v11, v12
	s_delay_alu instid0(VALU_DEP_2) | instskip(NEXT) | instid1(VALU_DEP_2)
	v_dual_fmac_f32 v14, v10, v12 :: v_dual_add_nc_u32 v9, 32, v9
	v_fma_f32 v10, v10, v13, -v11
	s_delay_alu instid0(VALU_DEP_2) | instskip(NEXT) | instid1(VALU_DEP_3)
	v_cmp_le_i32_e64 s0, s10, v9
	v_add_f32_e32 v7, v7, v14
	s_delay_alu instid0(VALU_DEP_3) | instskip(NEXT) | instid1(VALU_DEP_3)
	v_add_f32_e32 v8, v8, v10
	s_or_b32 s1, s0, s1
	s_delay_alu instid0(SALU_CYCLE_1)
	s_and_not1_b32 exec_lo, exec_lo, s1
	s_cbranch_execnz .LBB110_3
; %bb.4:
	s_or_b32 exec_lo, exec_lo, s1
.LBB110_5:
	s_delay_alu instid0(SALU_CYCLE_1)
	s_or_b32 exec_lo, exec_lo, s11
	v_mbcnt_lo_u32_b32 v3, -1, 0
	s_barrier
	buffer_gl0_inv
	v_cmp_gt_u32_e32 vcc_lo, 16, v3
	v_cndmask_b32_e64 v4, 0, 1, vcc_lo
	v_cmp_gt_u32_e32 vcc_lo, 24, v3
	s_delay_alu instid0(VALU_DEP_2) | instskip(SKIP_2) | instid1(VALU_DEP_3)
	v_lshlrev_b32_e32 v4, 4, v4
	v_cndmask_b32_e64 v6, 0, 1, vcc_lo
	v_cmp_gt_u32_e32 vcc_lo, 28, v3
	v_add_lshl_u32 v4, v4, v3, 2
	ds_bpermute_b32 v5, v4, v7
	ds_bpermute_b32 v4, v4, v8
	s_waitcnt lgkmcnt(1)
	v_dual_add_f32 v5, v7, v5 :: v_dual_lshlrev_b32 v6, 3, v6
	s_delay_alu instid0(VALU_DEP_1)
	v_add_lshl_u32 v6, v6, v3, 2
	ds_bpermute_b32 v7, v6, v5
	s_waitcnt lgkmcnt(0)
	v_dual_add_f32 v5, v5, v7 :: v_dual_add_f32 v4, v8, v4
	v_cndmask_b32_e64 v8, 0, 1, vcc_lo
	v_cmp_gt_u32_e32 vcc_lo, 30, v3
	ds_bpermute_b32 v6, v6, v4
	v_lshlrev_b32_e32 v8, 2, v8
	s_delay_alu instid0(VALU_DEP_1)
	v_add_lshl_u32 v8, v8, v3, 2
	s_waitcnt lgkmcnt(0)
	v_add_f32_e32 v4, v4, v6
	ds_bpermute_b32 v6, v8, v5
	ds_bpermute_b32 v7, v8, v4
	v_cndmask_b32_e64 v8, 0, 1, vcc_lo
	v_cmp_ne_u32_e32 vcc_lo, 31, v3
	s_waitcnt lgkmcnt(0)
	v_dual_add_f32 v5, v5, v6 :: v_dual_add_f32 v4, v4, v7
	s_delay_alu instid0(VALU_DEP_3) | instskip(NEXT) | instid1(VALU_DEP_1)
	v_lshlrev_b32_e32 v8, 1, v8
	v_add_lshl_u32 v8, v8, v3, 2
	v_add_co_ci_u32_e32 v3, vcc_lo, 0, v3, vcc_lo
	v_cmp_eq_u32_e32 vcc_lo, 0, v0
	ds_bpermute_b32 v6, v8, v5
	ds_bpermute_b32 v7, v8, v4
	s_waitcnt lgkmcnt(1)
	v_dual_add_f32 v3, v5, v6 :: v_dual_lshlrev_b32 v8, 2, v3
	s_waitcnt lgkmcnt(0)
	v_add_f32_e32 v5, v4, v7
	ds_bpermute_b32 v4, v8, v3
	ds_bpermute_b32 v6, v8, v5
	s_and_b32 exec_lo, exec_lo, vcc_lo
	s_cbranch_execz .LBB110_7
; %bb.6:
	v_lshlrev_b64 v[0:1], 3, v[1:2]
	s_waitcnt lgkmcnt(0)
	v_add_f32_e32 v2, v5, v6
	s_delay_alu instid0(VALU_DEP_2) | instskip(NEXT) | instid1(VALU_DEP_3)
	v_add_co_u32 v5, vcc_lo, s8, v0
	v_add_co_ci_u32_e32 v6, vcc_lo, s9, v1, vcc_lo
	v_add_f32_e32 v1, v3, v4
	global_store_b64 v[5:6], v[1:2], off
.LBB110_7:
	s_nop 0
	s_sendmsg sendmsg(MSG_DEALLOC_VGPRS)
	s_endpgm
	.section	.rodata,"a",@progbits
	.p2align	6, 0x0
	.amdhsa_kernel _ZL28rocblas_dot_batched_4_kernelIiLi32ELi4ELb1E19rocblas_complex_numIfES1_PKS1_EviT5_lT_lS4_lS5_liPT4_
		.amdhsa_group_segment_fixed_size 0
		.amdhsa_private_segment_fixed_size 0
		.amdhsa_kernarg_size 88
		.amdhsa_user_sgpr_count 15
		.amdhsa_user_sgpr_dispatch_ptr 0
		.amdhsa_user_sgpr_queue_ptr 0
		.amdhsa_user_sgpr_kernarg_segment_ptr 1
		.amdhsa_user_sgpr_dispatch_id 0
		.amdhsa_user_sgpr_private_segment_size 0
		.amdhsa_wavefront_size32 1
		.amdhsa_uses_dynamic_stack 0
		.amdhsa_enable_private_segment 0
		.amdhsa_system_sgpr_workgroup_id_x 1
		.amdhsa_system_sgpr_workgroup_id_y 0
		.amdhsa_system_sgpr_workgroup_id_z 0
		.amdhsa_system_sgpr_workgroup_info 0
		.amdhsa_system_vgpr_workitem_id 1
		.amdhsa_next_free_vgpr 16
		.amdhsa_next_free_sgpr 20
		.amdhsa_reserve_vcc 1
		.amdhsa_float_round_mode_32 0
		.amdhsa_float_round_mode_16_64 0
		.amdhsa_float_denorm_mode_32 3
		.amdhsa_float_denorm_mode_16_64 3
		.amdhsa_dx10_clamp 1
		.amdhsa_ieee_mode 1
		.amdhsa_fp16_overflow 0
		.amdhsa_workgroup_processor_mode 1
		.amdhsa_memory_ordered 1
		.amdhsa_forward_progress 0
		.amdhsa_shared_vgpr_count 0
		.amdhsa_exception_fp_ieee_invalid_op 0
		.amdhsa_exception_fp_denorm_src 0
		.amdhsa_exception_fp_ieee_div_zero 0
		.amdhsa_exception_fp_ieee_overflow 0
		.amdhsa_exception_fp_ieee_underflow 0
		.amdhsa_exception_fp_ieee_inexact 0
		.amdhsa_exception_int_div_zero 0
	.end_amdhsa_kernel
	.section	.text._ZL28rocblas_dot_batched_4_kernelIiLi32ELi4ELb1E19rocblas_complex_numIfES1_PKS1_EviT5_lT_lS4_lS5_liPT4_,"axG",@progbits,_ZL28rocblas_dot_batched_4_kernelIiLi32ELi4ELb1E19rocblas_complex_numIfES1_PKS1_EviT5_lT_lS4_lS5_liPT4_,comdat
.Lfunc_end110:
	.size	_ZL28rocblas_dot_batched_4_kernelIiLi32ELi4ELb1E19rocblas_complex_numIfES1_PKS1_EviT5_lT_lS4_lS5_liPT4_, .Lfunc_end110-_ZL28rocblas_dot_batched_4_kernelIiLi32ELi4ELb1E19rocblas_complex_numIfES1_PKS1_EviT5_lT_lS4_lS5_liPT4_
                                        ; -- End function
	.section	.AMDGPU.csdata,"",@progbits
; Kernel info:
; codeLenInByte = 884
; NumSgprs: 22
; NumVgprs: 16
; ScratchSize: 0
; MemoryBound: 0
; FloatMode: 240
; IeeeMode: 1
; LDSByteSize: 0 bytes/workgroup (compile time only)
; SGPRBlocks: 2
; VGPRBlocks: 1
; NumSGPRsForWavesPerEU: 22
; NumVGPRsForWavesPerEU: 16
; Occupancy: 16
; WaveLimiterHint : 0
; COMPUTE_PGM_RSRC2:SCRATCH_EN: 0
; COMPUTE_PGM_RSRC2:USER_SGPR: 15
; COMPUTE_PGM_RSRC2:TRAP_HANDLER: 0
; COMPUTE_PGM_RSRC2:TGID_X_EN: 1
; COMPUTE_PGM_RSRC2:TGID_Y_EN: 0
; COMPUTE_PGM_RSRC2:TGID_Z_EN: 0
; COMPUTE_PGM_RSRC2:TIDIG_COMP_CNT: 1
	.section	.text._ZL28rocblas_dot_batched_4_kernelIiLi64ELi4ELb1E19rocblas_complex_numIfES1_PKS1_EviT5_lT_lS4_lS5_liPT4_,"axG",@progbits,_ZL28rocblas_dot_batched_4_kernelIiLi64ELi4ELb1E19rocblas_complex_numIfES1_PKS1_EviT5_lT_lS4_lS5_liPT4_,comdat
	.globl	_ZL28rocblas_dot_batched_4_kernelIiLi64ELi4ELb1E19rocblas_complex_numIfES1_PKS1_EviT5_lT_lS4_lS5_liPT4_ ; -- Begin function _ZL28rocblas_dot_batched_4_kernelIiLi64ELi4ELb1E19rocblas_complex_numIfES1_PKS1_EviT5_lT_lS4_lS5_liPT4_
	.p2align	8
	.type	_ZL28rocblas_dot_batched_4_kernelIiLi64ELi4ELb1E19rocblas_complex_numIfES1_PKS1_EviT5_lT_lS4_lS5_liPT4_,@function
_ZL28rocblas_dot_batched_4_kernelIiLi64ELi4ELb1E19rocblas_complex_numIfES1_PKS1_EviT5_lT_lS4_lS5_liPT4_: ; @_ZL28rocblas_dot_batched_4_kernelIiLi64ELi4ELb1E19rocblas_complex_numIfES1_PKS1_EviT5_lT_lS4_lS5_liPT4_
; %bb.0:
	s_load_b32 s2, s[0:1], 0x48
	v_bfe_u32 v1, v0, 10, 10
	s_delay_alu instid0(VALU_DEP_1) | instskip(SKIP_1) | instid1(VALU_DEP_1)
	v_lshl_add_u32 v1, s15, 2, v1
	s_waitcnt lgkmcnt(0)
	v_cmp_gt_u32_e32 vcc_lo, s2, v1
	s_and_saveexec_b32 s2, vcc_lo
	s_cbranch_execz .LBB111_7
; %bb.1:
	s_clause 0x1
	s_load_b32 s10, s[0:1], 0x0
	s_load_b64 s[8:9], s[0:1], 0x50
	v_mov_b32_e32 v2, 0
	v_and_b32_e32 v0, 0x3ff, v0
	s_mov_b32 s11, exec_lo
	s_delay_alu instid0(VALU_DEP_2)
	v_mov_b32_e32 v7, v2
	v_mov_b32_e32 v9, v2
	s_waitcnt lgkmcnt(0)
	v_cmpx_gt_i32_e64 s10, v0
	s_cbranch_execz .LBB111_5
; %bb.2:
	s_clause 0x4
	s_load_b64 s[12:13], s[0:1], 0x40
	s_load_b128 s[4:7], s[0:1], 0x20
	s_load_b32 s14, s[0:1], 0x18
	s_load_b32 s16, s[0:1], 0x38
	s_load_b64 s[18:19], s[0:1], 0x30
	v_dual_mov_b32 v7, 0 :: v_dual_mov_b32 v8, v0
	s_load_b128 s[0:3], s[0:1], 0x8
	s_waitcnt lgkmcnt(0)
	v_mad_u64_u32 v[3:4], null, s12, v1, 0
	v_mad_u64_u32 v[5:6], null, s4, v1, 0
	v_mad_i64_i32 v[9:10], null, s16, v0, 0
	s_ashr_i32 s15, s14, 31
	s_ashr_i32 s17, s16, 31
	s_delay_alu instid0(VALU_DEP_2) | instskip(NEXT) | instid1(VALU_DEP_3)
	v_mad_u64_u32 v[11:12], null, s13, v1, v[4:5]
	v_mad_u64_u32 v[12:13], null, s5, v1, v[6:7]
	v_mad_i64_i32 v[13:14], null, s14, v0, 0
	s_delay_alu instid0(VALU_DEP_4) | instskip(SKIP_1) | instid1(VALU_DEP_4)
	v_lshlrev_b64 v[9:10], 3, v[9:10]
	s_lshl_b64 s[12:13], s[18:19], 3
	v_mov_b32_e32 v4, v11
	s_add_u32 s6, s6, s12
	s_delay_alu instid0(VALU_DEP_4) | instskip(SKIP_1) | instid1(VALU_DEP_4)
	v_mov_b32_e32 v6, v12
	s_addc_u32 s7, s7, s13
	v_lshlrev_b64 v[11:12], 3, v[13:14]
	v_lshlrev_b64 v[3:4], 3, v[3:4]
	s_lshl_b64 s[2:3], s[2:3], 3
	v_lshlrev_b64 v[5:6], 3, v[5:6]
	s_lshl_b64 s[4:5], s[16:17], 9
	s_add_u32 s0, s0, s2
	s_addc_u32 s1, s1, s3
	v_add_co_u32 v3, vcc_lo, v9, v3
	v_mov_b32_e32 v9, 0
	v_add_co_ci_u32_e32 v4, vcc_lo, v10, v4, vcc_lo
	v_add_co_u32 v5, vcc_lo, v11, v5
	v_add_co_ci_u32_e32 v6, vcc_lo, v12, v6, vcc_lo
	v_add_co_u32 v3, vcc_lo, s6, v3
	s_delay_alu instid0(VALU_DEP_4) | instskip(NEXT) | instid1(VALU_DEP_4)
	v_add_co_ci_u32_e32 v4, vcc_lo, s7, v4, vcc_lo
	v_add_co_u32 v5, vcc_lo, s0, v5
	s_delay_alu instid0(VALU_DEP_4) | instskip(NEXT) | instid1(VALU_DEP_4)
	;; [unrolled: 3-line block ×3, first 2 shown]
	v_add_co_ci_u32_e32 v4, vcc_lo, 0, v4, vcc_lo
	v_add_co_u32 v5, vcc_lo, v5, 4
	s_delay_alu instid0(VALU_DEP_4)
	v_add_co_ci_u32_e32 v6, vcc_lo, 0, v6, vcc_lo
	s_lshl_b64 s[2:3], s[14:15], 9
	s_mov_b32 s1, 0
	.p2align	6
.LBB111_3:                              ; =>This Inner Loop Header: Depth=1
	global_load_b64 v[10:11], v[5:6], off offset:-4
	global_load_b64 v[12:13], v[3:4], off offset:-4
	v_add_co_u32 v3, vcc_lo, v3, s4
	v_add_co_ci_u32_e32 v4, vcc_lo, s5, v4, vcc_lo
	v_add_co_u32 v5, vcc_lo, v5, s2
	v_add_co_ci_u32_e32 v6, vcc_lo, s3, v6, vcc_lo
	s_waitcnt vmcnt(0)
	v_mul_f32_e32 v14, v11, v13
	v_mul_f32_e32 v11, v11, v12
	s_delay_alu instid0(VALU_DEP_2) | instskip(SKIP_1) | instid1(VALU_DEP_3)
	v_fmac_f32_e32 v14, v10, v12
	v_add_nc_u32_e32 v8, 64, v8
	v_fma_f32 v10, v10, v13, -v11
	s_delay_alu instid0(VALU_DEP_3) | instskip(NEXT) | instid1(VALU_DEP_3)
	v_add_f32_e32 v7, v7, v14
	v_cmp_le_i32_e64 s0, s10, v8
	s_delay_alu instid0(VALU_DEP_3) | instskip(NEXT) | instid1(VALU_DEP_2)
	v_add_f32_e32 v9, v9, v10
	s_or_b32 s1, s0, s1
	s_delay_alu instid0(SALU_CYCLE_1)
	s_and_not1_b32 exec_lo, exec_lo, s1
	s_cbranch_execnz .LBB111_3
; %bb.4:
	s_or_b32 exec_lo, exec_lo, s1
.LBB111_5:
	s_delay_alu instid0(SALU_CYCLE_1)
	s_or_b32 exec_lo, exec_lo, s11
	v_mbcnt_lo_u32_b32 v3, -1, 0
	s_barrier
	buffer_gl0_inv
	v_lshlrev_b32_e32 v4, 2, v3
	v_cmp_gt_u32_e32 vcc_lo, 16, v3
	ds_bpermute_b32 v5, v4, v7
	v_cndmask_b32_e64 v6, 0, 1, vcc_lo
	v_cmp_gt_u32_e32 vcc_lo, 24, v3
	v_cndmask_b32_e64 v8, 0, 1, vcc_lo
	v_cmp_gt_u32_e32 vcc_lo, 28, v3
	s_waitcnt lgkmcnt(0)
	v_add_f32_e32 v5, v7, v5
	ds_bpermute_b32 v4, v4, v9
	v_lshlrev_b32_e32 v6, 4, v6
	s_delay_alu instid0(VALU_DEP_1)
	v_add_lshl_u32 v6, v6, v3, 2
	ds_bpermute_b32 v7, v6, v5
	s_waitcnt lgkmcnt(1)
	v_add_f32_e32 v4, v9, v4
	ds_bpermute_b32 v6, v6, v4
	s_waitcnt lgkmcnt(1)
	v_dual_add_f32 v5, v5, v7 :: v_dual_lshlrev_b32 v8, 3, v8
	s_delay_alu instid0(VALU_DEP_1)
	v_add_lshl_u32 v8, v8, v3, 2
	s_waitcnt lgkmcnt(0)
	v_add_f32_e32 v4, v4, v6
	ds_bpermute_b32 v6, v8, v5
	ds_bpermute_b32 v7, v8, v4
	v_cndmask_b32_e64 v8, 0, 1, vcc_lo
	v_cmp_gt_u32_e32 vcc_lo, 30, v3
	s_waitcnt lgkmcnt(1)
	s_delay_alu instid0(VALU_DEP_2) | instskip(NEXT) | instid1(VALU_DEP_1)
	v_dual_add_f32 v5, v5, v6 :: v_dual_lshlrev_b32 v8, 2, v8
	v_add_lshl_u32 v8, v8, v3, 2
	ds_bpermute_b32 v6, v8, v5
	s_waitcnt lgkmcnt(0)
	v_dual_add_f32 v5, v5, v6 :: v_dual_add_f32 v4, v4, v7
	ds_bpermute_b32 v7, v8, v4
	v_cndmask_b32_e64 v8, 0, 1, vcc_lo
	v_cmp_ne_u32_e32 vcc_lo, 31, v3
	s_waitcnt lgkmcnt(0)
	v_add_f32_e32 v4, v4, v7
	s_delay_alu instid0(VALU_DEP_3) | instskip(NEXT) | instid1(VALU_DEP_1)
	v_lshlrev_b32_e32 v8, 1, v8
	v_add_lshl_u32 v8, v8, v3, 2
	v_add_co_ci_u32_e32 v3, vcc_lo, 0, v3, vcc_lo
	v_cmp_eq_u32_e32 vcc_lo, 0, v0
	ds_bpermute_b32 v6, v8, v5
	ds_bpermute_b32 v7, v8, v4
	s_waitcnt lgkmcnt(1)
	v_dual_add_f32 v3, v5, v6 :: v_dual_lshlrev_b32 v8, 2, v3
	s_waitcnt lgkmcnt(0)
	v_add_f32_e32 v5, v4, v7
	ds_bpermute_b32 v4, v8, v3
	ds_bpermute_b32 v6, v8, v5
	s_and_b32 exec_lo, exec_lo, vcc_lo
	s_cbranch_execz .LBB111_7
; %bb.6:
	v_lshlrev_b64 v[0:1], 3, v[1:2]
	s_waitcnt lgkmcnt(0)
	v_add_f32_e32 v2, v5, v6
	s_delay_alu instid0(VALU_DEP_2) | instskip(NEXT) | instid1(VALU_DEP_3)
	v_add_co_u32 v5, vcc_lo, s8, v0
	v_add_co_ci_u32_e32 v6, vcc_lo, s9, v1, vcc_lo
	v_add_f32_e32 v1, v3, v4
	global_store_b64 v[5:6], v[1:2], off
.LBB111_7:
	s_nop 0
	s_sendmsg sendmsg(MSG_DEALLOC_VGPRS)
	s_endpgm
	.section	.rodata,"a",@progbits
	.p2align	6, 0x0
	.amdhsa_kernel _ZL28rocblas_dot_batched_4_kernelIiLi64ELi4ELb1E19rocblas_complex_numIfES1_PKS1_EviT5_lT_lS4_lS5_liPT4_
		.amdhsa_group_segment_fixed_size 0
		.amdhsa_private_segment_fixed_size 0
		.amdhsa_kernarg_size 88
		.amdhsa_user_sgpr_count 15
		.amdhsa_user_sgpr_dispatch_ptr 0
		.amdhsa_user_sgpr_queue_ptr 0
		.amdhsa_user_sgpr_kernarg_segment_ptr 1
		.amdhsa_user_sgpr_dispatch_id 0
		.amdhsa_user_sgpr_private_segment_size 0
		.amdhsa_wavefront_size32 1
		.amdhsa_uses_dynamic_stack 0
		.amdhsa_enable_private_segment 0
		.amdhsa_system_sgpr_workgroup_id_x 1
		.amdhsa_system_sgpr_workgroup_id_y 0
		.amdhsa_system_sgpr_workgroup_id_z 0
		.amdhsa_system_sgpr_workgroup_info 0
		.amdhsa_system_vgpr_workitem_id 1
		.amdhsa_next_free_vgpr 15
		.amdhsa_next_free_sgpr 20
		.amdhsa_reserve_vcc 1
		.amdhsa_float_round_mode_32 0
		.amdhsa_float_round_mode_16_64 0
		.amdhsa_float_denorm_mode_32 3
		.amdhsa_float_denorm_mode_16_64 3
		.amdhsa_dx10_clamp 1
		.amdhsa_ieee_mode 1
		.amdhsa_fp16_overflow 0
		.amdhsa_workgroup_processor_mode 1
		.amdhsa_memory_ordered 1
		.amdhsa_forward_progress 0
		.amdhsa_shared_vgpr_count 0
		.amdhsa_exception_fp_ieee_invalid_op 0
		.amdhsa_exception_fp_denorm_src 0
		.amdhsa_exception_fp_ieee_div_zero 0
		.amdhsa_exception_fp_ieee_overflow 0
		.amdhsa_exception_fp_ieee_underflow 0
		.amdhsa_exception_fp_ieee_inexact 0
		.amdhsa_exception_int_div_zero 0
	.end_amdhsa_kernel
	.section	.text._ZL28rocblas_dot_batched_4_kernelIiLi64ELi4ELb1E19rocblas_complex_numIfES1_PKS1_EviT5_lT_lS4_lS5_liPT4_,"axG",@progbits,_ZL28rocblas_dot_batched_4_kernelIiLi64ELi4ELb1E19rocblas_complex_numIfES1_PKS1_EviT5_lT_lS4_lS5_liPT4_,comdat
.Lfunc_end111:
	.size	_ZL28rocblas_dot_batched_4_kernelIiLi64ELi4ELb1E19rocblas_complex_numIfES1_PKS1_EviT5_lT_lS4_lS5_liPT4_, .Lfunc_end111-_ZL28rocblas_dot_batched_4_kernelIiLi64ELi4ELb1E19rocblas_complex_numIfES1_PKS1_EviT5_lT_lS4_lS5_liPT4_
                                        ; -- End function
	.section	.AMDGPU.csdata,"",@progbits
; Kernel info:
; codeLenInByte = 920
; NumSgprs: 22
; NumVgprs: 15
; ScratchSize: 0
; MemoryBound: 0
; FloatMode: 240
; IeeeMode: 1
; LDSByteSize: 0 bytes/workgroup (compile time only)
; SGPRBlocks: 2
; VGPRBlocks: 1
; NumSGPRsForWavesPerEU: 22
; NumVGPRsForWavesPerEU: 15
; Occupancy: 16
; WaveLimiterHint : 0
; COMPUTE_PGM_RSRC2:SCRATCH_EN: 0
; COMPUTE_PGM_RSRC2:USER_SGPR: 15
; COMPUTE_PGM_RSRC2:TRAP_HANDLER: 0
; COMPUTE_PGM_RSRC2:TGID_X_EN: 1
; COMPUTE_PGM_RSRC2:TGID_Y_EN: 0
; COMPUTE_PGM_RSRC2:TGID_Z_EN: 0
; COMPUTE_PGM_RSRC2:TIDIG_COMP_CNT: 1
	.section	.text._ZL26rocblas_dot_kernel_inc1by2ILb1ELi1024ELi32ELb1E19rocblas_complex_numIfEPKS1_S1_EviT4_llS4_lliPT5_PT3_,"axG",@progbits,_ZL26rocblas_dot_kernel_inc1by2ILb1ELi1024ELi32ELb1E19rocblas_complex_numIfEPKS1_S1_EviT4_llS4_lliPT5_PT3_,comdat
	.globl	_ZL26rocblas_dot_kernel_inc1by2ILb1ELi1024ELi32ELb1E19rocblas_complex_numIfEPKS1_S1_EviT4_llS4_lliPT5_PT3_ ; -- Begin function _ZL26rocblas_dot_kernel_inc1by2ILb1ELi1024ELi32ELb1E19rocblas_complex_numIfEPKS1_S1_EviT4_llS4_lliPT5_PT3_
	.p2align	8
	.type	_ZL26rocblas_dot_kernel_inc1by2ILb1ELi1024ELi32ELb1E19rocblas_complex_numIfEPKS1_S1_EviT4_llS4_lliPT5_PT3_,@function
_ZL26rocblas_dot_kernel_inc1by2ILb1ELi1024ELi32ELb1E19rocblas_complex_numIfEPKS1_S1_EviT4_llS4_lliPT5_PT3_: ; @_ZL26rocblas_dot_kernel_inc1by2ILb1ELi1024ELi32ELb1E19rocblas_complex_numIfEPKS1_S1_EviT4_llS4_lliPT5_PT3_
; %bb.0:
	s_clause 0x1
	s_load_b32 s6, s[0:1], 0x0
	s_load_b64 s[2:3], s[0:1], 0x48
	v_mov_b32_e32 v5, 0
	v_mov_b32_e32 v7, 0
	s_mov_b32 s4, s15
	s_mov_b32 s5, 0
	s_mov_b32 s7, exec_lo
	s_waitcnt lgkmcnt(0)
	v_cmpx_gt_i32_e64 s6, v0
	s_cbranch_execz .LBB112_4
; %bb.1:
	s_clause 0x3
	s_load_b128 s[8:11], s[0:1], 0x28
	s_load_b128 s[12:15], s[0:1], 0x10
	s_load_b64 s[16:17], s[0:1], 0x20
	s_load_b64 s[0:1], s[0:1], 0x8
	v_lshlrev_b32_e32 v1, 3, v0
	v_or_b32_e32 v6, 0x400, v0
	v_mov_b32_e32 v5, 0
	v_mov_b32_e32 v7, 0
	s_waitcnt lgkmcnt(0)
	s_mul_i32 s11, s11, s4
	s_mul_hi_u32 s18, s10, s4
	s_mul_i32 s10, s10, s4
	s_add_i32 s11, s18, s11
	s_lshl_b64 s[8:9], s[8:9], 3
	s_lshl_b64 s[10:11], s[10:11], 3
	s_mul_i32 s15, s15, s4
	s_add_u32 s8, s10, s8
	s_mul_hi_u32 s18, s14, s4
	s_addc_u32 s9, s11, s9
	s_add_u32 s16, s16, s8
	s_mul_i32 s14, s14, s4
	s_addc_u32 s17, s17, s9
	s_add_i32 s15, s18, s15
	s_lshl_b64 s[8:9], s[12:13], 3
	s_lshl_b64 s[10:11], s[14:15], 3
	s_delay_alu instid0(SALU_CYCLE_1) | instskip(SKIP_4) | instid1(VALU_DEP_1)
	s_add_u32 s8, s10, s8
	s_addc_u32 s9, s11, s9
	s_add_u32 s0, s0, s8
	s_addc_u32 s1, s1, s9
	v_add_co_u32 v3, s0, s0, v1
	v_add_co_ci_u32_e64 v4, null, s1, 0, s0
	v_add_co_u32 v1, s0, s16, v1
	s_delay_alu instid0(VALU_DEP_3) | instskip(SKIP_1) | instid1(VALU_DEP_4)
	v_add_co_u32 v3, vcc_lo, v3, 4
	v_add_co_ci_u32_e64 v2, null, s17, 0, s0
	v_add_co_ci_u32_e32 v4, vcc_lo, 0, v4, vcc_lo
	s_mov_b32 s1, s5
	s_mov_b32 s8, s5
	s_set_inst_prefetch_distance 0x1
	.p2align	6
.LBB112_2:                              ; =>This Inner Loop Header: Depth=1
	global_load_b64 v[8:9], v[1:2], off
	global_load_b64 v[10:11], v[3:4], off offset:-4
	v_cmp_le_i32_e32 vcc_lo, s6, v6
	v_add_nc_u32_e32 v6, 0x400, v6
	v_add_co_u32 v1, s0, 0x2000, v1
	s_delay_alu instid0(VALU_DEP_1)
	v_add_co_ci_u32_e64 v2, s0, 0, v2, s0
	s_add_i32 s9, s8, 1
	v_add_co_u32 v3, s0, 0x2000, v3
	s_cmp_gt_u32 s8, 30
	v_add_co_ci_u32_e64 v4, s0, 0, v4, s0
	s_cselect_b32 s0, -1, 0
	s_mov_b32 s8, s9
	s_or_b32 s0, s0, vcc_lo
	s_delay_alu instid0(SALU_CYCLE_1) | instskip(NEXT) | instid1(SALU_CYCLE_1)
	s_and_b32 s0, exec_lo, s0
	s_or_b32 s1, s0, s1
	s_waitcnt vmcnt(0)
	v_mul_f32_e32 v12, v11, v9
	v_mul_f32_e32 v11, v11, v8
	s_delay_alu instid0(VALU_DEP_2) | instskip(NEXT) | instid1(VALU_DEP_2)
	v_fmac_f32_e32 v12, v10, v8
	v_fma_f32 v8, v10, v9, -v11
	s_delay_alu instid0(VALU_DEP_2) | instskip(NEXT) | instid1(VALU_DEP_2)
	v_add_f32_e32 v7, v7, v12
	v_add_f32_e32 v5, v5, v8
	s_and_not1_b32 exec_lo, exec_lo, s1
	s_cbranch_execnz .LBB112_2
; %bb.3:
	s_set_inst_prefetch_distance 0x2
	s_or_b32 exec_lo, exec_lo, s1
.LBB112_4:
	s_delay_alu instid0(SALU_CYCLE_1) | instskip(SKIP_2) | instid1(VALU_DEP_2)
	s_or_b32 exec_lo, exec_lo, s7
	v_and_b32_e32 v1, 31, v0
	v_cmp_gt_u32_e32 vcc_lo, 32, v0
	v_lshlrev_b32_e32 v3, 3, v1
	s_and_saveexec_b32 s0, vcc_lo
	s_cbranch_execz .LBB112_6
; %bb.5:
	v_mov_b32_e32 v8, 0
	s_delay_alu instid0(VALU_DEP_1)
	v_mov_b32_e32 v9, v8
	ds_store_b64 v3, v[8:9]
.LBB112_6:
	s_or_b32 exec_lo, exec_lo, s0
	v_mbcnt_lo_u32_b32 v2, -1, 0
	s_mov_b32 s1, exec_lo
	s_waitcnt lgkmcnt(0)
	s_barrier
	buffer_gl0_inv
	v_cmp_gt_u32_e64 s0, 16, v2
	s_delay_alu instid0(VALU_DEP_1) | instskip(SKIP_1) | instid1(VALU_DEP_2)
	v_cndmask_b32_e64 v4, 0, 1, s0
	v_cmp_gt_u32_e64 s0, 24, v2
	v_lshlrev_b32_e32 v4, 4, v4
	s_delay_alu instid0(VALU_DEP_2) | instskip(SKIP_1) | instid1(VALU_DEP_3)
	v_cndmask_b32_e64 v6, 0, 1, s0
	v_cmp_gt_u32_e64 s0, 28, v2
	v_add_lshl_u32 v4, v4, v2, 2
	ds_bpermute_b32 v8, v4, v7
	ds_bpermute_b32 v9, v4, v5
	s_waitcnt lgkmcnt(1)
	v_dual_add_f32 v7, v7, v8 :: v_dual_lshlrev_b32 v6, 3, v6
	s_delay_alu instid0(VALU_DEP_1)
	v_add_lshl_u32 v6, v6, v2, 2
	s_waitcnt lgkmcnt(0)
	v_add_f32_e32 v8, v5, v9
	v_cndmask_b32_e64 v5, 0, 1, s0
	v_cmp_gt_u32_e64 s0, 30, v2
	ds_bpermute_b32 v9, v6, v7
	s_waitcnt lgkmcnt(0)
	v_add_f32_e32 v9, v7, v9
	v_cndmask_b32_e64 v7, 0, 1, s0
	v_cmp_ne_u32_e64 s0, 31, v2
	s_delay_alu instid0(VALU_DEP_2)
	v_lshlrev_b32_e32 v7, 1, v7
	ds_bpermute_b32 v10, v6, v8
	v_lshlrev_b32_e32 v5, 2, v5
	v_add_lshl_u32 v7, v7, v2, 2
	s_waitcnt lgkmcnt(0)
	v_add_f32_e32 v8, v8, v10
	s_delay_alu instid0(VALU_DEP_3)
	v_add_lshl_u32 v5, v5, v2, 2
	v_add_co_ci_u32_e64 v2, s0, 0, v2, s0
	ds_bpermute_b32 v10, v5, v9
	ds_bpermute_b32 v11, v5, v8
	s_waitcnt lgkmcnt(0)
	v_dual_add_f32 v9, v9, v10 :: v_dual_add_f32 v10, v8, v11
	ds_bpermute_b32 v11, v7, v9
	ds_bpermute_b32 v12, v7, v10
	v_lshlrev_b32_e32 v8, 2, v2
	s_waitcnt lgkmcnt(0)
	v_dual_add_f32 v2, v9, v11 :: v_dual_add_f32 v9, v10, v12
	ds_bpermute_b32 v10, v8, v2
	ds_bpermute_b32 v11, v8, v9
	v_cmpx_eq_u32_e32 0, v1
	s_cbranch_execz .LBB112_8
; %bb.7:
	v_lshrrev_b32_e32 v12, 2, v0
	s_waitcnt lgkmcnt(0)
	v_dual_add_f32 v1, v2, v10 :: v_dual_add_f32 v2, v9, v11
	s_delay_alu instid0(VALU_DEP_2)
	v_and_b32_e32 v9, 0xf8, v12
	ds_store_b64 v9, v[1:2]
.LBB112_8:
	s_or_b32 exec_lo, exec_lo, s1
	v_dual_mov_b32 v2, 0 :: v_dual_mov_b32 v1, 0
	s_waitcnt lgkmcnt(0)
	s_barrier
	buffer_gl0_inv
	s_and_saveexec_b32 s0, vcc_lo
	s_cbranch_execz .LBB112_10
; %bb.9:
	ds_load_b64 v[1:2], v3
.LBB112_10:
	s_or_b32 exec_lo, exec_lo, s0
	s_and_saveexec_b32 s0, vcc_lo
	s_cbranch_execz .LBB112_12
; %bb.11:
	s_waitcnt lgkmcnt(0)
	ds_bpermute_b32 v3, v4, v1
	ds_bpermute_b32 v4, v4, v2
	s_waitcnt lgkmcnt(0)
	v_dual_add_f32 v1, v1, v3 :: v_dual_add_f32 v2, v2, v4
	ds_bpermute_b32 v3, v6, v1
	ds_bpermute_b32 v4, v6, v2
	s_waitcnt lgkmcnt(0)
	v_dual_add_f32 v1, v1, v3 :: v_dual_add_f32 v2, v2, v4
	ds_bpermute_b32 v3, v5, v1
	ds_bpermute_b32 v4, v5, v2
	s_waitcnt lgkmcnt(0)
	v_dual_add_f32 v1, v1, v3 :: v_dual_add_f32 v2, v2, v4
	ds_bpermute_b32 v3, v7, v1
	ds_bpermute_b32 v4, v7, v2
	s_waitcnt lgkmcnt(0)
	v_dual_add_f32 v1, v1, v3 :: v_dual_add_f32 v2, v2, v4
	ds_bpermute_b32 v3, v8, v1
	ds_bpermute_b32 v4, v8, v2
	s_waitcnt lgkmcnt(0)
	v_dual_add_f32 v1, v1, v3 :: v_dual_add_f32 v2, v2, v4
.LBB112_12:
	s_or_b32 exec_lo, exec_lo, s0
	s_delay_alu instid0(SALU_CYCLE_1)
	s_mov_b32 s0, exec_lo
	v_cmpx_eq_u32_e32 0, v0
	s_cbranch_execz .LBB112_14
; %bb.13:
	s_lshl_b64 s[0:1], s[4:5], 3
	v_mov_b32_e32 v0, 0
	s_add_u32 s0, s2, s0
	s_addc_u32 s1, s3, s1
	s_waitcnt lgkmcnt(0)
	global_store_b64 v0, v[1:2], s[0:1]
.LBB112_14:
	s_nop 0
	s_sendmsg sendmsg(MSG_DEALLOC_VGPRS)
	s_endpgm
	.section	.rodata,"a",@progbits
	.p2align	6, 0x0
	.amdhsa_kernel _ZL26rocblas_dot_kernel_inc1by2ILb1ELi1024ELi32ELb1E19rocblas_complex_numIfEPKS1_S1_EviT4_llS4_lliPT5_PT3_
		.amdhsa_group_segment_fixed_size 256
		.amdhsa_private_segment_fixed_size 0
		.amdhsa_kernarg_size 80
		.amdhsa_user_sgpr_count 14
		.amdhsa_user_sgpr_dispatch_ptr 0
		.amdhsa_user_sgpr_queue_ptr 0
		.amdhsa_user_sgpr_kernarg_segment_ptr 1
		.amdhsa_user_sgpr_dispatch_id 0
		.amdhsa_user_sgpr_private_segment_size 0
		.amdhsa_wavefront_size32 1
		.amdhsa_uses_dynamic_stack 0
		.amdhsa_enable_private_segment 0
		.amdhsa_system_sgpr_workgroup_id_x 1
		.amdhsa_system_sgpr_workgroup_id_y 0
		.amdhsa_system_sgpr_workgroup_id_z 1
		.amdhsa_system_sgpr_workgroup_info 0
		.amdhsa_system_vgpr_workitem_id 0
		.amdhsa_next_free_vgpr 13
		.amdhsa_next_free_sgpr 19
		.amdhsa_reserve_vcc 1
		.amdhsa_float_round_mode_32 0
		.amdhsa_float_round_mode_16_64 0
		.amdhsa_float_denorm_mode_32 3
		.amdhsa_float_denorm_mode_16_64 3
		.amdhsa_dx10_clamp 1
		.amdhsa_ieee_mode 1
		.amdhsa_fp16_overflow 0
		.amdhsa_workgroup_processor_mode 1
		.amdhsa_memory_ordered 1
		.amdhsa_forward_progress 0
		.amdhsa_shared_vgpr_count 0
		.amdhsa_exception_fp_ieee_invalid_op 0
		.amdhsa_exception_fp_denorm_src 0
		.amdhsa_exception_fp_ieee_div_zero 0
		.amdhsa_exception_fp_ieee_overflow 0
		.amdhsa_exception_fp_ieee_underflow 0
		.amdhsa_exception_fp_ieee_inexact 0
		.amdhsa_exception_int_div_zero 0
	.end_amdhsa_kernel
	.section	.text._ZL26rocblas_dot_kernel_inc1by2ILb1ELi1024ELi32ELb1E19rocblas_complex_numIfEPKS1_S1_EviT4_llS4_lliPT5_PT3_,"axG",@progbits,_ZL26rocblas_dot_kernel_inc1by2ILb1ELi1024ELi32ELb1E19rocblas_complex_numIfEPKS1_S1_EviT4_llS4_lliPT5_PT3_,comdat
.Lfunc_end112:
	.size	_ZL26rocblas_dot_kernel_inc1by2ILb1ELi1024ELi32ELb1E19rocblas_complex_numIfEPKS1_S1_EviT4_llS4_lliPT5_PT3_, .Lfunc_end112-_ZL26rocblas_dot_kernel_inc1by2ILb1ELi1024ELi32ELb1E19rocblas_complex_numIfEPKS1_S1_EviT4_llS4_lliPT5_PT3_
                                        ; -- End function
	.section	.AMDGPU.csdata,"",@progbits
; Kernel info:
; codeLenInByte = 1092
; NumSgprs: 21
; NumVgprs: 13
; ScratchSize: 0
; MemoryBound: 0
; FloatMode: 240
; IeeeMode: 1
; LDSByteSize: 256 bytes/workgroup (compile time only)
; SGPRBlocks: 2
; VGPRBlocks: 1
; NumSGPRsForWavesPerEU: 21
; NumVGPRsForWavesPerEU: 13
; Occupancy: 16
; WaveLimiterHint : 0
; COMPUTE_PGM_RSRC2:SCRATCH_EN: 0
; COMPUTE_PGM_RSRC2:USER_SGPR: 14
; COMPUTE_PGM_RSRC2:TRAP_HANDLER: 0
; COMPUTE_PGM_RSRC2:TGID_X_EN: 1
; COMPUTE_PGM_RSRC2:TGID_Y_EN: 0
; COMPUTE_PGM_RSRC2:TGID_Z_EN: 1
; COMPUTE_PGM_RSRC2:TIDIG_COMP_CNT: 0
	.section	.text._ZL18rocblas_dot_kernelIiLb1ELi1024ELi32ELb1E19rocblas_complex_numIfEPKS1_S1_EviT5_lT_lS4_lS5_liPT6_PT4_,"axG",@progbits,_ZL18rocblas_dot_kernelIiLb1ELi1024ELi32ELb1E19rocblas_complex_numIfEPKS1_S1_EviT5_lT_lS4_lS5_liPT6_PT4_,comdat
	.globl	_ZL18rocblas_dot_kernelIiLb1ELi1024ELi32ELb1E19rocblas_complex_numIfEPKS1_S1_EviT5_lT_lS4_lS5_liPT6_PT4_ ; -- Begin function _ZL18rocblas_dot_kernelIiLb1ELi1024ELi32ELb1E19rocblas_complex_numIfEPKS1_S1_EviT5_lT_lS4_lS5_liPT6_PT4_
	.p2align	8
	.type	_ZL18rocblas_dot_kernelIiLb1ELi1024ELi32ELb1E19rocblas_complex_numIfEPKS1_S1_EviT5_lT_lS4_lS5_liPT6_PT4_,@function
_ZL18rocblas_dot_kernelIiLb1ELi1024ELi32ELb1E19rocblas_complex_numIfEPKS1_S1_EviT5_lT_lS4_lS5_liPT6_PT4_: ; @_ZL18rocblas_dot_kernelIiLb1ELi1024ELi32ELb1E19rocblas_complex_numIfEPKS1_S1_EviT5_lT_lS4_lS5_liPT6_PT4_
; %bb.0:
	s_clause 0x1
	s_load_b32 s10, s[0:1], 0x0
	s_load_b64 s[2:3], s[0:1], 0x58
	v_dual_mov_b32 v5, 0 :: v_dual_mov_b32 v6, 0
	s_mov_b32 s8, s15
	s_mov_b32 s9, 0
	s_mov_b32 s11, exec_lo
	s_waitcnt lgkmcnt(0)
	v_cmpx_gt_i32_e64 s10, v0
	s_cbranch_execz .LBB113_4
; %bb.1:
	s_clause 0x6
	s_load_b32 s20, s[0:1], 0x60
	s_load_b128 s[4:7], s[0:1], 0x20
	s_load_b32 s22, s[0:1], 0x18
	s_load_b128 s[12:15], s[0:1], 0x8
	s_load_b64 s[16:17], s[0:1], 0x40
	s_load_b32 s23, s[0:1], 0x38
	s_load_b64 s[18:19], s[0:1], 0x30
	v_dual_mov_b32 v5, 0 :: v_dual_mov_b32 v6, 0
	s_waitcnt lgkmcnt(0)
	s_lshl_b32 s1, s20, 10
	s_mul_i32 s0, s5, s8
	v_mad_i64_i32 v[1:2], null, s22, v0, 0
	s_mul_hi_u32 s5, s4, s8
	s_mul_i32 s4, s4, s8
	s_add_i32 s5, s5, s0
	s_lshl_b64 s[14:15], s[14:15], 3
	v_mad_i64_i32 v[3:4], null, s23, v0, 0
	s_delay_alu instid0(VALU_DEP_2)
	v_lshlrev_b64 v[1:2], 3, v[1:2]
	s_lshl_b64 s[4:5], s[4:5], 3
	s_add_u32 s0, s12, s14
	s_addc_u32 s12, s13, s15
	s_add_u32 s0, s0, s4
	s_mul_i32 s17, s17, s8
	s_mul_hi_u32 s24, s16, s8
	s_addc_u32 s12, s12, s5
	v_add_co_u32 v1, vcc_lo, s0, v1
	s_mul_i32 s16, s16, s8
	s_mul_hi_i32 s21, s22, s1
	s_mul_i32 s20, s22, s1
	s_add_i32 s17, s24, s17
	v_add_co_ci_u32_e32 v2, vcc_lo, s12, v2, vcc_lo
	s_lshl_b64 s[14:15], s[18:19], 3
	v_lshlrev_b64 v[3:4], 3, v[3:4]
	s_lshl_b64 s[4:5], s[20:21], 3
	s_lshl_b64 s[12:13], s[16:17], 3
	s_add_u32 s0, s6, s14
	v_add_co_u32 v1, vcc_lo, v1, 4
	s_addc_u32 s6, s7, s15
	s_add_u32 s0, s0, s12
	v_add_co_ci_u32_e32 v2, vcc_lo, 0, v2, vcc_lo
	s_addc_u32 s6, s6, s13
	v_add_co_u32 v3, vcc_lo, s0, v3
	v_or_b32_e32 v7, s1, v0
	v_add_co_ci_u32_e32 v4, vcc_lo, s6, v4, vcc_lo
	s_mul_hi_i32 s7, s23, s1
	s_mul_i32 s6, s23, s1
	s_mov_b32 s12, s9
	s_lshl_b64 s[6:7], s[6:7], 3
	s_mov_b32 s13, s9
	.p2align	6
.LBB113_2:                              ; =>This Inner Loop Header: Depth=1
	global_load_b64 v[8:9], v[3:4], off
	global_load_b64 v[10:11], v[1:2], off offset:-4
	v_cmp_le_i32_e32 vcc_lo, s10, v7
	v_add_nc_u32_e32 v7, s1, v7
	v_add_co_u32 v1, s0, v1, s4
	s_delay_alu instid0(VALU_DEP_1)
	v_add_co_ci_u32_e64 v2, s0, s5, v2, s0
	s_add_i32 s14, s13, 1
	v_add_co_u32 v3, s0, v3, s6
	s_cmp_gt_u32 s13, 30
	v_add_co_ci_u32_e64 v4, s0, s7, v4, s0
	s_cselect_b32 s0, -1, 0
	s_mov_b32 s13, s14
	s_or_b32 s0, s0, vcc_lo
	s_delay_alu instid0(SALU_CYCLE_1) | instskip(NEXT) | instid1(SALU_CYCLE_1)
	s_and_b32 s0, exec_lo, s0
	s_or_b32 s12, s0, s12
	s_waitcnt vmcnt(0)
	v_mul_f32_e32 v12, v11, v9
	v_mul_f32_e32 v11, v11, v8
	s_delay_alu instid0(VALU_DEP_2) | instskip(NEXT) | instid1(VALU_DEP_2)
	v_fmac_f32_e32 v12, v10, v8
	v_fma_f32 v8, v10, v9, -v11
	s_delay_alu instid0(VALU_DEP_2) | instskip(NEXT) | instid1(VALU_DEP_2)
	v_add_f32_e32 v6, v6, v12
	v_add_f32_e32 v5, v5, v8
	s_and_not1_b32 exec_lo, exec_lo, s12
	s_cbranch_execnz .LBB113_2
; %bb.3:
	s_or_b32 exec_lo, exec_lo, s12
.LBB113_4:
	s_delay_alu instid0(SALU_CYCLE_1) | instskip(SKIP_2) | instid1(VALU_DEP_2)
	s_or_b32 exec_lo, exec_lo, s11
	v_and_b32_e32 v1, 31, v0
	v_cmp_gt_u32_e32 vcc_lo, 32, v0
	v_lshlrev_b32_e32 v3, 3, v1
	s_and_saveexec_b32 s0, vcc_lo
	s_cbranch_execz .LBB113_6
; %bb.5:
	v_mov_b32_e32 v7, 0
	s_delay_alu instid0(VALU_DEP_1)
	v_mov_b32_e32 v8, v7
	ds_store_b64 v3, v[7:8]
.LBB113_6:
	s_or_b32 exec_lo, exec_lo, s0
	v_mbcnt_lo_u32_b32 v2, -1, 0
	s_mov_b32 s1, exec_lo
	s_waitcnt lgkmcnt(0)
	s_barrier
	buffer_gl0_inv
	v_cmp_gt_u32_e64 s0, 16, v2
	s_delay_alu instid0(VALU_DEP_1) | instskip(SKIP_1) | instid1(VALU_DEP_2)
	v_cndmask_b32_e64 v4, 0, 1, s0
	v_cmp_gt_u32_e64 s0, 24, v2
	v_lshlrev_b32_e32 v4, 4, v4
	s_delay_alu instid0(VALU_DEP_2) | instskip(SKIP_1) | instid1(VALU_DEP_3)
	v_cndmask_b32_e64 v7, 0, 1, s0
	v_cmp_gt_u32_e64 s0, 28, v2
	v_add_lshl_u32 v4, v4, v2, 2
	ds_bpermute_b32 v8, v4, v6
	ds_bpermute_b32 v9, v4, v5
	s_waitcnt lgkmcnt(1)
	v_dual_add_f32 v6, v6, v8 :: v_dual_lshlrev_b32 v7, 3, v7
	s_delay_alu instid0(VALU_DEP_1)
	v_add_lshl_u32 v7, v7, v2, 2
	s_waitcnt lgkmcnt(0)
	v_add_f32_e32 v8, v5, v9
	v_cndmask_b32_e64 v5, 0, 1, s0
	v_cmp_gt_u32_e64 s0, 30, v2
	ds_bpermute_b32 v9, v7, v6
	ds_bpermute_b32 v10, v7, v8
	v_lshlrev_b32_e32 v5, 2, v5
	s_waitcnt lgkmcnt(0)
	v_dual_add_f32 v9, v6, v9 :: v_dual_add_f32 v8, v8, v10
	s_delay_alu instid0(VALU_DEP_2)
	v_add_lshl_u32 v5, v5, v2, 2
	v_cndmask_b32_e64 v6, 0, 1, s0
	v_cmp_ne_u32_e64 s0, 31, v2
	ds_bpermute_b32 v10, v5, v9
	ds_bpermute_b32 v11, v5, v8
	v_lshlrev_b32_e32 v6, 1, v6
	s_delay_alu instid0(VALU_DEP_1) | instskip(SKIP_3) | instid1(VALU_DEP_2)
	v_add_lshl_u32 v6, v6, v2, 2
	v_add_co_ci_u32_e64 v2, s0, 0, v2, s0
	s_waitcnt lgkmcnt(0)
	v_dual_add_f32 v9, v9, v10 :: v_dual_add_f32 v10, v8, v11
	v_lshlrev_b32_e32 v8, 2, v2
	ds_bpermute_b32 v11, v6, v9
	ds_bpermute_b32 v12, v6, v10
	s_waitcnt lgkmcnt(0)
	v_dual_add_f32 v2, v9, v11 :: v_dual_add_f32 v9, v10, v12
	ds_bpermute_b32 v10, v8, v2
	ds_bpermute_b32 v11, v8, v9
	v_cmpx_eq_u32_e32 0, v1
	s_cbranch_execz .LBB113_8
; %bb.7:
	v_lshrrev_b32_e32 v12, 2, v0
	s_waitcnt lgkmcnt(0)
	v_dual_add_f32 v1, v2, v10 :: v_dual_add_f32 v2, v9, v11
	s_delay_alu instid0(VALU_DEP_2)
	v_and_b32_e32 v9, 0xf8, v12
	ds_store_b64 v9, v[1:2]
.LBB113_8:
	s_or_b32 exec_lo, exec_lo, s1
	v_dual_mov_b32 v2, 0 :: v_dual_mov_b32 v1, 0
	s_waitcnt lgkmcnt(0)
	s_barrier
	buffer_gl0_inv
	s_and_saveexec_b32 s0, vcc_lo
	s_cbranch_execz .LBB113_10
; %bb.9:
	ds_load_b64 v[1:2], v3
.LBB113_10:
	s_or_b32 exec_lo, exec_lo, s0
	s_and_saveexec_b32 s0, vcc_lo
	s_cbranch_execz .LBB113_12
; %bb.11:
	s_waitcnt lgkmcnt(0)
	ds_bpermute_b32 v3, v4, v1
	ds_bpermute_b32 v4, v4, v2
	s_waitcnt lgkmcnt(0)
	v_dual_add_f32 v1, v1, v3 :: v_dual_add_f32 v2, v2, v4
	ds_bpermute_b32 v3, v7, v1
	ds_bpermute_b32 v4, v7, v2
	s_waitcnt lgkmcnt(0)
	v_dual_add_f32 v1, v1, v3 :: v_dual_add_f32 v2, v2, v4
	ds_bpermute_b32 v3, v5, v1
	ds_bpermute_b32 v4, v5, v2
	s_waitcnt lgkmcnt(0)
	v_dual_add_f32 v1, v1, v3 :: v_dual_add_f32 v2, v2, v4
	ds_bpermute_b32 v3, v6, v1
	ds_bpermute_b32 v4, v6, v2
	s_waitcnt lgkmcnt(0)
	v_dual_add_f32 v1, v1, v3 :: v_dual_add_f32 v2, v2, v4
	ds_bpermute_b32 v3, v8, v1
	ds_bpermute_b32 v4, v8, v2
	s_waitcnt lgkmcnt(0)
	v_dual_add_f32 v1, v1, v3 :: v_dual_add_f32 v2, v2, v4
.LBB113_12:
	s_or_b32 exec_lo, exec_lo, s0
	s_delay_alu instid0(SALU_CYCLE_1)
	s_mov_b32 s0, exec_lo
	v_cmpx_eq_u32_e32 0, v0
	s_cbranch_execz .LBB113_14
; %bb.13:
	s_lshl_b64 s[0:1], s[8:9], 3
	v_mov_b32_e32 v0, 0
	s_add_u32 s0, s2, s0
	s_addc_u32 s1, s3, s1
	s_waitcnt lgkmcnt(0)
	global_store_b64 v0, v[1:2], s[0:1]
.LBB113_14:
	s_nop 0
	s_sendmsg sendmsg(MSG_DEALLOC_VGPRS)
	s_endpgm
	.section	.rodata,"a",@progbits
	.p2align	6, 0x0
	.amdhsa_kernel _ZL18rocblas_dot_kernelIiLb1ELi1024ELi32ELb1E19rocblas_complex_numIfEPKS1_S1_EviT5_lT_lS4_lS5_liPT6_PT4_
		.amdhsa_group_segment_fixed_size 256
		.amdhsa_private_segment_fixed_size 0
		.amdhsa_kernarg_size 352
		.amdhsa_user_sgpr_count 14
		.amdhsa_user_sgpr_dispatch_ptr 0
		.amdhsa_user_sgpr_queue_ptr 0
		.amdhsa_user_sgpr_kernarg_segment_ptr 1
		.amdhsa_user_sgpr_dispatch_id 0
		.amdhsa_user_sgpr_private_segment_size 0
		.amdhsa_wavefront_size32 1
		.amdhsa_uses_dynamic_stack 0
		.amdhsa_enable_private_segment 0
		.amdhsa_system_sgpr_workgroup_id_x 1
		.amdhsa_system_sgpr_workgroup_id_y 0
		.amdhsa_system_sgpr_workgroup_id_z 1
		.amdhsa_system_sgpr_workgroup_info 0
		.amdhsa_system_vgpr_workitem_id 0
		.amdhsa_next_free_vgpr 13
		.amdhsa_next_free_sgpr 25
		.amdhsa_reserve_vcc 1
		.amdhsa_float_round_mode_32 0
		.amdhsa_float_round_mode_16_64 0
		.amdhsa_float_denorm_mode_32 3
		.amdhsa_float_denorm_mode_16_64 3
		.amdhsa_dx10_clamp 1
		.amdhsa_ieee_mode 1
		.amdhsa_fp16_overflow 0
		.amdhsa_workgroup_processor_mode 1
		.amdhsa_memory_ordered 1
		.amdhsa_forward_progress 0
		.amdhsa_shared_vgpr_count 0
		.amdhsa_exception_fp_ieee_invalid_op 0
		.amdhsa_exception_fp_denorm_src 0
		.amdhsa_exception_fp_ieee_div_zero 0
		.amdhsa_exception_fp_ieee_overflow 0
		.amdhsa_exception_fp_ieee_underflow 0
		.amdhsa_exception_fp_ieee_inexact 0
		.amdhsa_exception_int_div_zero 0
	.end_amdhsa_kernel
	.section	.text._ZL18rocblas_dot_kernelIiLb1ELi1024ELi32ELb1E19rocblas_complex_numIfEPKS1_S1_EviT5_lT_lS4_lS5_liPT6_PT4_,"axG",@progbits,_ZL18rocblas_dot_kernelIiLb1ELi1024ELi32ELb1E19rocblas_complex_numIfEPKS1_S1_EviT5_lT_lS4_lS5_liPT6_PT4_,comdat
.Lfunc_end113:
	.size	_ZL18rocblas_dot_kernelIiLb1ELi1024ELi32ELb1E19rocblas_complex_numIfEPKS1_S1_EviT5_lT_lS4_lS5_liPT6_PT4_, .Lfunc_end113-_ZL18rocblas_dot_kernelIiLb1ELi1024ELi32ELb1E19rocblas_complex_numIfEPKS1_S1_EviT5_lT_lS4_lS5_liPT6_PT4_
                                        ; -- End function
	.section	.AMDGPU.csdata,"",@progbits
; Kernel info:
; codeLenInByte = 1132
; NumSgprs: 27
; NumVgprs: 13
; ScratchSize: 0
; MemoryBound: 0
; FloatMode: 240
; IeeeMode: 1
; LDSByteSize: 256 bytes/workgroup (compile time only)
; SGPRBlocks: 3
; VGPRBlocks: 1
; NumSGPRsForWavesPerEU: 27
; NumVGPRsForWavesPerEU: 13
; Occupancy: 16
; WaveLimiterHint : 0
; COMPUTE_PGM_RSRC2:SCRATCH_EN: 0
; COMPUTE_PGM_RSRC2:USER_SGPR: 14
; COMPUTE_PGM_RSRC2:TRAP_HANDLER: 0
; COMPUTE_PGM_RSRC2:TGID_X_EN: 1
; COMPUTE_PGM_RSRC2:TGID_Y_EN: 0
; COMPUTE_PGM_RSRC2:TGID_Z_EN: 1
; COMPUTE_PGM_RSRC2:TIDIG_COMP_CNT: 0
	.section	.text._ZL24rocblas_dot_kernel_magsqIiLb1ELi1024ELi32ELb1E19rocblas_complex_numIfEPKS1_S1_EviT5_lT_liPT6_PT4_,"axG",@progbits,_ZL24rocblas_dot_kernel_magsqIiLb1ELi1024ELi32ELb1E19rocblas_complex_numIfEPKS1_S1_EviT5_lT_liPT6_PT4_,comdat
	.globl	_ZL24rocblas_dot_kernel_magsqIiLb1ELi1024ELi32ELb1E19rocblas_complex_numIfEPKS1_S1_EviT5_lT_liPT6_PT4_ ; -- Begin function _ZL24rocblas_dot_kernel_magsqIiLb1ELi1024ELi32ELb1E19rocblas_complex_numIfEPKS1_S1_EviT5_lT_liPT6_PT4_
	.p2align	8
	.type	_ZL24rocblas_dot_kernel_magsqIiLb1ELi1024ELi32ELb1E19rocblas_complex_numIfEPKS1_S1_EviT5_lT_liPT6_PT4_,@function
_ZL24rocblas_dot_kernel_magsqIiLb1ELi1024ELi32ELb1E19rocblas_complex_numIfEPKS1_S1_EviT5_lT_liPT6_PT4_: ; @_ZL24rocblas_dot_kernel_magsqIiLb1ELi1024ELi32ELb1E19rocblas_complex_numIfEPKS1_S1_EviT5_lT_liPT6_PT4_
; %bb.0:
	s_clause 0x1
	s_load_b32 s8, s[0:1], 0x0
	s_load_b64 s[2:3], s[0:1], 0x38
	v_dual_mov_b32 v3, 0 :: v_dual_mov_b32 v4, 0
	s_mov_b32 s4, s15
	s_mov_b32 s5, 0
	s_mov_b32 s9, exec_lo
	s_waitcnt lgkmcnt(0)
	v_cmpx_gt_i32_e64 s8, v0
	s_cbranch_execz .LBB114_4
; %bb.1:
	s_clause 0x3
	s_load_b32 s10, s[0:1], 0x40
	s_load_b64 s[6:7], s[0:1], 0x20
	s_load_b32 s16, s[0:1], 0x18
	s_load_b128 s[12:15], s[0:1], 0x8
	v_dual_mov_b32 v3, 0 :: v_dual_mov_b32 v4, 0
	s_waitcnt lgkmcnt(0)
	s_lshl_b32 s1, s10, 10
	s_mul_i32 s0, s7, s4
	v_mad_i64_i32 v[1:2], null, s16, v0, 0
	s_mul_hi_u32 s7, s6, s4
	s_mul_i32 s6, s6, s4
	s_add_i32 s7, s7, s0
	s_lshl_b64 s[10:11], s[14:15], 3
	s_lshl_b64 s[6:7], s[6:7], 3
	s_add_u32 s0, s12, s10
	s_delay_alu instid0(VALU_DEP_1)
	v_lshlrev_b64 v[1:2], 3, v[1:2]
	s_addc_u32 s10, s13, s11
	s_add_u32 s0, s0, s6
	s_addc_u32 s6, s10, s7
	v_or_b32_e32 v5, s1, v0
	s_mul_hi_i32 s15, s16, s1
	v_add_co_u32 v1, vcc_lo, s0, v1
	v_add_co_ci_u32_e32 v2, vcc_lo, s6, v2, vcc_lo
	s_mul_i32 s14, s16, s1
	s_mov_b32 s10, s5
	s_lshl_b64 s[6:7], s[14:15], 3
	s_mov_b32 s11, s5
	.p2align	6
.LBB114_2:                              ; =>This Inner Loop Header: Depth=1
	global_load_b64 v[6:7], v[1:2], off
	v_cmp_le_i32_e32 vcc_lo, s8, v5
	v_add_nc_u32_e32 v5, s1, v5
	s_add_i32 s12, s11, 1
	v_add_co_u32 v1, s0, v1, s6
	s_cmp_gt_u32 s11, 30
	v_add_co_ci_u32_e64 v2, s0, s7, v2, s0
	s_cselect_b32 s0, -1, 0
	s_mov_b32 s11, s12
	s_or_b32 s0, s0, vcc_lo
	s_delay_alu instid0(SALU_CYCLE_1) | instskip(NEXT) | instid1(SALU_CYCLE_1)
	s_and_b32 s0, exec_lo, s0
	s_or_b32 s10, s0, s10
	s_waitcnt vmcnt(0)
	v_mul_f32_e32 v8, v7, v7
	s_delay_alu instid0(VALU_DEP_1) | instskip(NEXT) | instid1(VALU_DEP_1)
	v_fmac_f32_e32 v8, v6, v6
	v_dual_mul_f32 v9, v6, v7 :: v_dual_add_f32 v4, v4, v8
	s_delay_alu instid0(VALU_DEP_1) | instskip(NEXT) | instid1(VALU_DEP_1)
	v_fma_f32 v6, v6, v7, -v9
	v_add_f32_e32 v3, v3, v6
	s_and_not1_b32 exec_lo, exec_lo, s10
	s_cbranch_execnz .LBB114_2
; %bb.3:
	s_or_b32 exec_lo, exec_lo, s10
.LBB114_4:
	s_delay_alu instid0(SALU_CYCLE_1) | instskip(SKIP_2) | instid1(VALU_DEP_2)
	s_or_b32 exec_lo, exec_lo, s9
	v_and_b32_e32 v1, 31, v0
	v_cmp_gt_u32_e32 vcc_lo, 32, v0
	v_lshlrev_b32_e32 v5, 3, v1
	s_and_saveexec_b32 s0, vcc_lo
	s_cbranch_execz .LBB114_6
; %bb.5:
	v_mov_b32_e32 v6, 0
	s_delay_alu instid0(VALU_DEP_1)
	v_mov_b32_e32 v7, v6
	ds_store_b64 v5, v[6:7]
.LBB114_6:
	s_or_b32 exec_lo, exec_lo, s0
	v_mbcnt_lo_u32_b32 v2, -1, 0
	s_mov_b32 s1, exec_lo
	s_waitcnt lgkmcnt(0)
	s_barrier
	buffer_gl0_inv
	v_cmp_gt_u32_e64 s0, 16, v2
	s_delay_alu instid0(VALU_DEP_1) | instskip(SKIP_1) | instid1(VALU_DEP_2)
	v_cndmask_b32_e64 v6, 0, 1, s0
	v_cmp_gt_u32_e64 s0, 24, v2
	v_lshlrev_b32_e32 v6, 4, v6
	s_delay_alu instid0(VALU_DEP_2) | instskip(SKIP_1) | instid1(VALU_DEP_3)
	v_cndmask_b32_e64 v7, 0, 1, s0
	v_cmp_gt_u32_e64 s0, 28, v2
	v_add_lshl_u32 v6, v6, v2, 2
	ds_bpermute_b32 v8, v6, v4
	ds_bpermute_b32 v9, v6, v3
	s_waitcnt lgkmcnt(1)
	v_dual_add_f32 v4, v4, v8 :: v_dual_lshlrev_b32 v7, 3, v7
	s_delay_alu instid0(VALU_DEP_1)
	v_add_lshl_u32 v7, v7, v2, 2
	s_waitcnt lgkmcnt(0)
	v_add_f32_e32 v8, v3, v9
	v_cndmask_b32_e64 v3, 0, 1, s0
	v_cmp_gt_u32_e64 s0, 30, v2
	ds_bpermute_b32 v9, v7, v4
	v_lshlrev_b32_e32 v3, 2, v3
	ds_bpermute_b32 v10, v7, v8
	v_add_lshl_u32 v3, v3, v2, 2
	s_waitcnt lgkmcnt(1)
	v_add_f32_e32 v9, v4, v9
	v_cndmask_b32_e64 v4, 0, 1, s0
	v_cmp_ne_u32_e64 s0, 31, v2
	s_waitcnt lgkmcnt(0)
	v_add_f32_e32 v8, v8, v10
	ds_bpermute_b32 v10, v3, v9
	v_lshlrev_b32_e32 v4, 1, v4
	ds_bpermute_b32 v11, v3, v8
	s_waitcnt lgkmcnt(1)
	v_add_f32_e32 v9, v9, v10
	v_add_lshl_u32 v4, v4, v2, 2
	v_add_co_ci_u32_e64 v2, s0, 0, v2, s0
	s_waitcnt lgkmcnt(0)
	v_add_f32_e32 v10, v8, v11
	ds_bpermute_b32 v11, v4, v9
	v_lshlrev_b32_e32 v8, 2, v2
	ds_bpermute_b32 v12, v4, v10
	s_waitcnt lgkmcnt(0)
	v_dual_add_f32 v2, v9, v11 :: v_dual_add_f32 v9, v10, v12
	ds_bpermute_b32 v10, v8, v2
	ds_bpermute_b32 v11, v8, v9
	v_cmpx_eq_u32_e32 0, v1
	s_cbranch_execz .LBB114_8
; %bb.7:
	v_lshrrev_b32_e32 v12, 2, v0
	s_waitcnt lgkmcnt(0)
	v_dual_add_f32 v1, v2, v10 :: v_dual_add_f32 v2, v9, v11
	s_delay_alu instid0(VALU_DEP_2)
	v_and_b32_e32 v9, 0xf8, v12
	ds_store_b64 v9, v[1:2]
.LBB114_8:
	s_or_b32 exec_lo, exec_lo, s1
	v_dual_mov_b32 v2, 0 :: v_dual_mov_b32 v1, 0
	s_waitcnt lgkmcnt(0)
	s_barrier
	buffer_gl0_inv
	s_and_saveexec_b32 s0, vcc_lo
	s_cbranch_execz .LBB114_10
; %bb.9:
	ds_load_b64 v[1:2], v5
.LBB114_10:
	s_or_b32 exec_lo, exec_lo, s0
	s_and_saveexec_b32 s0, vcc_lo
	s_cbranch_execz .LBB114_12
; %bb.11:
	s_waitcnt lgkmcnt(0)
	ds_bpermute_b32 v5, v6, v1
	ds_bpermute_b32 v6, v6, v2
	s_waitcnt lgkmcnt(0)
	v_dual_add_f32 v1, v1, v5 :: v_dual_add_f32 v2, v2, v6
	ds_bpermute_b32 v5, v7, v1
	ds_bpermute_b32 v6, v7, v2
	s_waitcnt lgkmcnt(0)
	v_dual_add_f32 v1, v1, v5 :: v_dual_add_f32 v2, v2, v6
	;; [unrolled: 4-line block ×5, first 2 shown]
.LBB114_12:
	s_or_b32 exec_lo, exec_lo, s0
	s_delay_alu instid0(SALU_CYCLE_1)
	s_mov_b32 s0, exec_lo
	v_cmpx_eq_u32_e32 0, v0
	s_cbranch_execz .LBB114_14
; %bb.13:
	s_lshl_b64 s[0:1], s[4:5], 3
	v_mov_b32_e32 v0, 0
	s_add_u32 s0, s2, s0
	s_addc_u32 s1, s3, s1
	s_waitcnt lgkmcnt(0)
	global_store_b64 v0, v[1:2], s[0:1]
.LBB114_14:
	s_nop 0
	s_sendmsg sendmsg(MSG_DEALLOC_VGPRS)
	s_endpgm
	.section	.rodata,"a",@progbits
	.p2align	6, 0x0
	.amdhsa_kernel _ZL24rocblas_dot_kernel_magsqIiLb1ELi1024ELi32ELb1E19rocblas_complex_numIfEPKS1_S1_EviT5_lT_liPT6_PT4_
		.amdhsa_group_segment_fixed_size 256
		.amdhsa_private_segment_fixed_size 0
		.amdhsa_kernarg_size 320
		.amdhsa_user_sgpr_count 14
		.amdhsa_user_sgpr_dispatch_ptr 0
		.amdhsa_user_sgpr_queue_ptr 0
		.amdhsa_user_sgpr_kernarg_segment_ptr 1
		.amdhsa_user_sgpr_dispatch_id 0
		.amdhsa_user_sgpr_private_segment_size 0
		.amdhsa_wavefront_size32 1
		.amdhsa_uses_dynamic_stack 0
		.amdhsa_enable_private_segment 0
		.amdhsa_system_sgpr_workgroup_id_x 1
		.amdhsa_system_sgpr_workgroup_id_y 0
		.amdhsa_system_sgpr_workgroup_id_z 1
		.amdhsa_system_sgpr_workgroup_info 0
		.amdhsa_system_vgpr_workitem_id 0
		.amdhsa_next_free_vgpr 13
		.amdhsa_next_free_sgpr 17
		.amdhsa_reserve_vcc 1
		.amdhsa_float_round_mode_32 0
		.amdhsa_float_round_mode_16_64 0
		.amdhsa_float_denorm_mode_32 3
		.amdhsa_float_denorm_mode_16_64 3
		.amdhsa_dx10_clamp 1
		.amdhsa_ieee_mode 1
		.amdhsa_fp16_overflow 0
		.amdhsa_workgroup_processor_mode 1
		.amdhsa_memory_ordered 1
		.amdhsa_forward_progress 0
		.amdhsa_shared_vgpr_count 0
		.amdhsa_exception_fp_ieee_invalid_op 0
		.amdhsa_exception_fp_denorm_src 0
		.amdhsa_exception_fp_ieee_div_zero 0
		.amdhsa_exception_fp_ieee_overflow 0
		.amdhsa_exception_fp_ieee_underflow 0
		.amdhsa_exception_fp_ieee_inexact 0
		.amdhsa_exception_int_div_zero 0
	.end_amdhsa_kernel
	.section	.text._ZL24rocblas_dot_kernel_magsqIiLb1ELi1024ELi32ELb1E19rocblas_complex_numIfEPKS1_S1_EviT5_lT_liPT6_PT4_,"axG",@progbits,_ZL24rocblas_dot_kernel_magsqIiLb1ELi1024ELi32ELb1E19rocblas_complex_numIfEPKS1_S1_EviT5_lT_liPT6_PT4_,comdat
.Lfunc_end114:
	.size	_ZL24rocblas_dot_kernel_magsqIiLb1ELi1024ELi32ELb1E19rocblas_complex_numIfEPKS1_S1_EviT5_lT_liPT6_PT4_, .Lfunc_end114-_ZL24rocblas_dot_kernel_magsqIiLb1ELi1024ELi32ELb1E19rocblas_complex_numIfEPKS1_S1_EviT5_lT_liPT6_PT4_
                                        ; -- End function
	.section	.AMDGPU.csdata,"",@progbits
; Kernel info:
; codeLenInByte = 988
; NumSgprs: 19
; NumVgprs: 13
; ScratchSize: 0
; MemoryBound: 0
; FloatMode: 240
; IeeeMode: 1
; LDSByteSize: 256 bytes/workgroup (compile time only)
; SGPRBlocks: 2
; VGPRBlocks: 1
; NumSGPRsForWavesPerEU: 19
; NumVGPRsForWavesPerEU: 13
; Occupancy: 16
; WaveLimiterHint : 0
; COMPUTE_PGM_RSRC2:SCRATCH_EN: 0
; COMPUTE_PGM_RSRC2:USER_SGPR: 14
; COMPUTE_PGM_RSRC2:TRAP_HANDLER: 0
; COMPUTE_PGM_RSRC2:TGID_X_EN: 1
; COMPUTE_PGM_RSRC2:TGID_Y_EN: 0
; COMPUTE_PGM_RSRC2:TGID_Z_EN: 1
; COMPUTE_PGM_RSRC2:TIDIG_COMP_CNT: 0
	.section	.text._ZL23rocblas_dot_kernel_inc1ILb0ELi512ELi2ELb1E19rocblas_complex_numIfEPKS1_S1_EviT4_llS4_lliPT5_PT3_,"axG",@progbits,_ZL23rocblas_dot_kernel_inc1ILb0ELi512ELi2ELb1E19rocblas_complex_numIfEPKS1_S1_EviT4_llS4_lliPT5_PT3_,comdat
	.globl	_ZL23rocblas_dot_kernel_inc1ILb0ELi512ELi2ELb1E19rocblas_complex_numIfEPKS1_S1_EviT4_llS4_lliPT5_PT3_ ; -- Begin function _ZL23rocblas_dot_kernel_inc1ILb0ELi512ELi2ELb1E19rocblas_complex_numIfEPKS1_S1_EviT4_llS4_lliPT5_PT3_
	.p2align	8
	.type	_ZL23rocblas_dot_kernel_inc1ILb0ELi512ELi2ELb1E19rocblas_complex_numIfEPKS1_S1_EviT4_llS4_lliPT5_PT3_,@function
_ZL23rocblas_dot_kernel_inc1ILb0ELi512ELi2ELb1E19rocblas_complex_numIfEPKS1_S1_EviT4_llS4_lliPT5_PT3_: ; @_ZL23rocblas_dot_kernel_inc1ILb0ELi512ELi2ELb1E19rocblas_complex_numIfEPKS1_S1_EviT4_llS4_lliPT5_PT3_
; %bb.0:
	s_clause 0x1
	s_load_b32 s10, s[0:1], 0x0
	s_load_b32 s3, s[0:1], 0x50
	v_lshl_or_b32 v1, s14, 9, v0
	v_dual_mov_b32 v5, 0 :: v_dual_mov_b32 v6, 0
	s_mov_b32 s8, s15
	s_mov_b32 s9, 0
	s_mov_b32 s2, exec_lo
	s_waitcnt lgkmcnt(0)
	v_cmpx_gt_i32_e64 s10, v1
	s_cbranch_execz .LBB115_4
; %bb.1:
	s_clause 0x3
	s_load_b128 s[16:19], s[0:1], 0x10
	s_load_b128 s[4:7], s[0:1], 0x28
	s_load_b64 s[12:13], s[0:1], 0x8
	s_load_b64 s[20:21], s[0:1], 0x20
	v_ashrrev_i32_e32 v2, 31, v1
	s_delay_alu instid0(VALU_DEP_1)
	v_lshlrev_b64 v[1:2], 3, v[1:2]
	s_waitcnt lgkmcnt(0)
	s_mul_i32 s11, s8, s19
	s_mul_hi_u32 s15, s8, s18
	s_mul_i32 s18, s8, s18
	s_add_i32 s19, s15, s11
	s_mul_i32 s11, s8, s7
	s_lshl_b64 s[18:19], s[18:19], 3
	s_mul_hi_u32 s15, s8, s6
	s_add_u32 s7, s12, s18
	s_addc_u32 s18, s13, s19
	s_lshl_b64 s[12:13], s[16:17], 3
	s_mul_i32 s16, s8, s6
	s_add_u32 s6, s7, s12
	s_addc_u32 s7, s18, s13
	s_add_i32 s17, s15, s11
	v_add_co_u32 v3, vcc_lo, s6, v1
	s_lshl_b64 s[12:13], s[16:17], 3
	v_add_co_ci_u32_e32 v4, vcc_lo, s7, v2, vcc_lo
	s_add_u32 s11, s20, s12
	s_addc_u32 s12, s21, s13
	s_lshl_b64 s[4:5], s[4:5], 3
	s_delay_alu instid0(SALU_CYCLE_1)
	s_add_u32 s4, s11, s4
	s_addc_u32 s5, s12, s5
	v_add_co_u32 v1, vcc_lo, s4, v1
	v_add_co_ci_u32_e32 v2, vcc_lo, s5, v2, vcc_lo
	global_load_b64 v[3:4], v[3:4], off
	global_load_b64 v[1:2], v[1:2], off
	s_add_i32 s11, s14, s3
	s_waitcnt vmcnt(0)
	v_mul_f32_e32 v5, v4, v2
	v_mul_f32_e32 v4, v4, v1
	s_delay_alu instid0(VALU_DEP_1) | instskip(NEXT) | instid1(VALU_DEP_3)
	v_fma_f32 v2, v3, v2, -v4
	v_fmac_f32_e32 v5, v3, v1
	v_lshl_or_b32 v1, s11, 9, v0
	s_delay_alu instid0(VALU_DEP_2) | instskip(NEXT) | instid1(VALU_DEP_2)
	v_dual_add_f32 v6, 0, v2 :: v_dual_add_f32 v5, 0, v5
	v_cmp_gt_i32_e32 vcc_lo, s10, v1
	s_and_saveexec_b32 s10, vcc_lo
	s_cbranch_execz .LBB115_3
; %bb.2:
	v_ashrrev_i32_e32 v2, 31, v1
	s_delay_alu instid0(VALU_DEP_1) | instskip(NEXT) | instid1(VALU_DEP_1)
	v_lshlrev_b64 v[1:2], 3, v[1:2]
	v_add_co_u32 v3, vcc_lo, s6, v1
	s_delay_alu instid0(VALU_DEP_2)
	v_add_co_ci_u32_e32 v4, vcc_lo, s7, v2, vcc_lo
	v_add_co_u32 v1, vcc_lo, s4, v1
	v_add_co_ci_u32_e32 v2, vcc_lo, s5, v2, vcc_lo
	global_load_b64 v[3:4], v[3:4], off
	global_load_b64 v[1:2], v[1:2], off
	s_waitcnt vmcnt(0)
	v_mul_f32_e32 v7, v4, v1
	v_mul_f32_e32 v4, v4, v2
	s_delay_alu instid0(VALU_DEP_2) | instskip(NEXT) | instid1(VALU_DEP_2)
	v_fma_f32 v2, v3, v2, -v7
	v_fmac_f32_e32 v4, v3, v1
	s_delay_alu instid0(VALU_DEP_1)
	v_dual_add_f32 v6, v6, v2 :: v_dual_add_f32 v5, v5, v4
.LBB115_3:
	s_or_b32 exec_lo, exec_lo, s10
.LBB115_4:
	s_delay_alu instid0(SALU_CYCLE_1) | instskip(SKIP_2) | instid1(VALU_DEP_2)
	s_or_b32 exec_lo, exec_lo, s2
	v_and_b32_e32 v1, 31, v0
	v_cmp_gt_u32_e32 vcc_lo, 32, v0
	v_lshlrev_b32_e32 v3, 3, v1
	s_and_saveexec_b32 s2, vcc_lo
	s_cbranch_execz .LBB115_6
; %bb.5:
	v_mov_b32_e32 v7, 0
	s_delay_alu instid0(VALU_DEP_1)
	v_mov_b32_e32 v8, v7
	ds_store_b64 v3, v[7:8]
.LBB115_6:
	s_or_b32 exec_lo, exec_lo, s2
	v_mbcnt_lo_u32_b32 v2, -1, 0
	s_mov_b32 s4, exec_lo
	s_waitcnt lgkmcnt(0)
	s_barrier
	buffer_gl0_inv
	v_cmp_gt_u32_e64 s2, 16, v2
	s_delay_alu instid0(VALU_DEP_1) | instskip(SKIP_1) | instid1(VALU_DEP_2)
	v_cndmask_b32_e64 v4, 0, 1, s2
	v_cmp_gt_u32_e64 s2, 24, v2
	v_lshlrev_b32_e32 v4, 4, v4
	s_delay_alu instid0(VALU_DEP_1) | instskip(SKIP_4) | instid1(VALU_DEP_2)
	v_add_lshl_u32 v4, v4, v2, 2
	ds_bpermute_b32 v7, v4, v5
	ds_bpermute_b32 v8, v4, v6
	v_cndmask_b32_e64 v4, 0, 1, s2
	v_cmp_gt_u32_e64 s2, 28, v2
	v_lshlrev_b32_e32 v4, 3, v4
	s_delay_alu instid0(VALU_DEP_1)
	v_add_lshl_u32 v4, v4, v2, 2
	s_waitcnt lgkmcnt(1)
	v_add_f32_e32 v7, v5, v7
	v_cndmask_b32_e64 v5, 0, 1, s2
	s_waitcnt lgkmcnt(0)
	v_add_f32_e32 v6, v6, v8
	v_cmp_gt_u32_e64 s2, 30, v2
	ds_bpermute_b32 v8, v4, v7
	v_lshlrev_b32_e32 v5, 2, v5
	ds_bpermute_b32 v9, v4, v6
	v_add_lshl_u32 v5, v5, v2, 2
	s_waitcnt lgkmcnt(0)
	v_dual_add_f32 v7, v7, v8 :: v_dual_add_f32 v8, v6, v9
	v_cndmask_b32_e64 v6, 0, 1, s2
	v_cmp_ne_u32_e64 s2, 31, v2
	ds_bpermute_b32 v9, v5, v7
	ds_bpermute_b32 v10, v5, v8
	v_lshlrev_b32_e32 v6, 1, v6
	s_delay_alu instid0(VALU_DEP_1)
	v_add_lshl_u32 v6, v6, v2, 2
	v_add_co_ci_u32_e64 v2, s2, 0, v2, s2
	s_waitcnt lgkmcnt(0)
	v_dual_add_f32 v9, v7, v9 :: v_dual_add_f32 v8, v8, v10
	ds_bpermute_b32 v10, v6, v9
	ds_bpermute_b32 v11, v6, v8
	v_lshlrev_b32_e32 v7, 2, v2
	s_waitcnt lgkmcnt(1)
	v_add_f32_e32 v2, v9, v10
	s_waitcnt lgkmcnt(0)
	v_add_f32_e32 v8, v8, v11
	ds_bpermute_b32 v9, v7, v2
	ds_bpermute_b32 v10, v7, v8
	v_cmpx_eq_u32_e32 0, v1
	s_cbranch_execz .LBB115_8
; %bb.7:
	v_lshrrev_b32_e32 v11, 2, v0
	s_waitcnt lgkmcnt(0)
	v_dual_add_f32 v1, v2, v9 :: v_dual_add_f32 v2, v8, v10
	s_delay_alu instid0(VALU_DEP_2)
	v_and_b32_e32 v8, 0x78, v11
	ds_store_b64 v8, v[1:2]
.LBB115_8:
	s_or_b32 exec_lo, exec_lo, s4
	v_dual_mov_b32 v2, 0 :: v_dual_mov_b32 v1, 0
	s_mov_b32 s4, exec_lo
	s_waitcnt lgkmcnt(0)
	s_barrier
	buffer_gl0_inv
	v_cmpx_gt_u32_e32 16, v0
	s_cbranch_execz .LBB115_10
; %bb.9:
	ds_load_b64 v[1:2], v3
.LBB115_10:
	s_or_b32 exec_lo, exec_lo, s4
	s_and_saveexec_b32 s2, vcc_lo
	s_cbranch_execz .LBB115_12
; %bb.11:
	s_waitcnt lgkmcnt(0)
	ds_bpermute_b32 v3, v4, v1
	ds_bpermute_b32 v4, v4, v2
	s_waitcnt lgkmcnt(0)
	v_dual_add_f32 v1, v1, v3 :: v_dual_add_f32 v2, v2, v4
	ds_bpermute_b32 v3, v5, v1
	ds_bpermute_b32 v4, v5, v2
	s_waitcnt lgkmcnt(0)
	v_dual_add_f32 v1, v1, v3 :: v_dual_add_f32 v2, v2, v4
	;; [unrolled: 4-line block ×4, first 2 shown]
.LBB115_12:
	s_or_b32 exec_lo, exec_lo, s2
	s_delay_alu instid0(SALU_CYCLE_1)
	s_mov_b32 s2, exec_lo
	v_cmpx_eq_u32_e32 0, v0
	s_cbranch_execz .LBB115_18
; %bb.13:
	s_cmp_lg_u32 s3, 1
	s_cbranch_scc0 .LBB115_15
; %bb.14:
	s_load_b64 s[4:5], s[0:1], 0x40
	s_mul_hi_u32 s7, s3, s8
	s_mul_i32 s6, s3, s8
	s_mov_b32 s15, 0
	s_lshl_b64 s[2:3], s[6:7], 3
	s_waitcnt lgkmcnt(0)
	s_add_u32 s4, s4, s2
	s_addc_u32 s5, s5, s3
	s_lshl_b64 s[2:3], s[14:15], 3
	s_delay_alu instid0(SALU_CYCLE_1)
	s_add_u32 s2, s4, s2
	s_addc_u32 s3, s5, s3
	s_cbranch_execz .LBB115_16
	s_branch .LBB115_17
.LBB115_15:
                                        ; implicit-def: $sgpr2_sgpr3
.LBB115_16:
	s_load_b64 s[0:1], s[0:1], 0x48
	s_lshl_b64 s[2:3], s[8:9], 3
	s_waitcnt lgkmcnt(0)
	s_add_u32 s2, s0, s2
	s_addc_u32 s3, s1, s3
.LBB115_17:
	v_mov_b32_e32 v0, 0
	s_waitcnt lgkmcnt(0)
	global_store_b64 v0, v[1:2], s[2:3]
.LBB115_18:
	s_nop 0
	s_sendmsg sendmsg(MSG_DEALLOC_VGPRS)
	s_endpgm
	.section	.rodata,"a",@progbits
	.p2align	6, 0x0
	.amdhsa_kernel _ZL23rocblas_dot_kernel_inc1ILb0ELi512ELi2ELb1E19rocblas_complex_numIfEPKS1_S1_EviT4_llS4_lliPT5_PT3_
		.amdhsa_group_segment_fixed_size 256
		.amdhsa_private_segment_fixed_size 0
		.amdhsa_kernarg_size 336
		.amdhsa_user_sgpr_count 14
		.amdhsa_user_sgpr_dispatch_ptr 0
		.amdhsa_user_sgpr_queue_ptr 0
		.amdhsa_user_sgpr_kernarg_segment_ptr 1
		.amdhsa_user_sgpr_dispatch_id 0
		.amdhsa_user_sgpr_private_segment_size 0
		.amdhsa_wavefront_size32 1
		.amdhsa_uses_dynamic_stack 0
		.amdhsa_enable_private_segment 0
		.amdhsa_system_sgpr_workgroup_id_x 1
		.amdhsa_system_sgpr_workgroup_id_y 0
		.amdhsa_system_sgpr_workgroup_id_z 1
		.amdhsa_system_sgpr_workgroup_info 0
		.amdhsa_system_vgpr_workitem_id 0
		.amdhsa_next_free_vgpr 12
		.amdhsa_next_free_sgpr 22
		.amdhsa_reserve_vcc 1
		.amdhsa_float_round_mode_32 0
		.amdhsa_float_round_mode_16_64 0
		.amdhsa_float_denorm_mode_32 3
		.amdhsa_float_denorm_mode_16_64 3
		.amdhsa_dx10_clamp 1
		.amdhsa_ieee_mode 1
		.amdhsa_fp16_overflow 0
		.amdhsa_workgroup_processor_mode 1
		.amdhsa_memory_ordered 1
		.amdhsa_forward_progress 0
		.amdhsa_shared_vgpr_count 0
		.amdhsa_exception_fp_ieee_invalid_op 0
		.amdhsa_exception_fp_denorm_src 0
		.amdhsa_exception_fp_ieee_div_zero 0
		.amdhsa_exception_fp_ieee_overflow 0
		.amdhsa_exception_fp_ieee_underflow 0
		.amdhsa_exception_fp_ieee_inexact 0
		.amdhsa_exception_int_div_zero 0
	.end_amdhsa_kernel
	.section	.text._ZL23rocblas_dot_kernel_inc1ILb0ELi512ELi2ELb1E19rocblas_complex_numIfEPKS1_S1_EviT4_llS4_lliPT5_PT3_,"axG",@progbits,_ZL23rocblas_dot_kernel_inc1ILb0ELi512ELi2ELb1E19rocblas_complex_numIfEPKS1_S1_EviT4_llS4_lliPT5_PT3_,comdat
.Lfunc_end115:
	.size	_ZL23rocblas_dot_kernel_inc1ILb0ELi512ELi2ELb1E19rocblas_complex_numIfEPKS1_S1_EviT4_llS4_lliPT5_PT3_, .Lfunc_end115-_ZL23rocblas_dot_kernel_inc1ILb0ELi512ELi2ELb1E19rocblas_complex_numIfEPKS1_S1_EviT4_llS4_lliPT5_PT3_
                                        ; -- End function
	.section	.AMDGPU.csdata,"",@progbits
; Kernel info:
; codeLenInByte = 1136
; NumSgprs: 24
; NumVgprs: 12
; ScratchSize: 0
; MemoryBound: 0
; FloatMode: 240
; IeeeMode: 1
; LDSByteSize: 256 bytes/workgroup (compile time only)
; SGPRBlocks: 2
; VGPRBlocks: 1
; NumSGPRsForWavesPerEU: 24
; NumVGPRsForWavesPerEU: 12
; Occupancy: 16
; WaveLimiterHint : 0
; COMPUTE_PGM_RSRC2:SCRATCH_EN: 0
; COMPUTE_PGM_RSRC2:USER_SGPR: 14
; COMPUTE_PGM_RSRC2:TRAP_HANDLER: 0
; COMPUTE_PGM_RSRC2:TGID_X_EN: 1
; COMPUTE_PGM_RSRC2:TGID_Y_EN: 0
; COMPUTE_PGM_RSRC2:TGID_Z_EN: 1
; COMPUTE_PGM_RSRC2:TIDIG_COMP_CNT: 0
	.section	.text._ZL18rocblas_dot_kernelIiLb0ELi512ELi2ELb1E19rocblas_complex_numIfEPKS1_S1_EviT5_lT_lS4_lS5_liPT6_PT4_,"axG",@progbits,_ZL18rocblas_dot_kernelIiLb0ELi512ELi2ELb1E19rocblas_complex_numIfEPKS1_S1_EviT5_lT_lS4_lS5_liPT6_PT4_,comdat
	.globl	_ZL18rocblas_dot_kernelIiLb0ELi512ELi2ELb1E19rocblas_complex_numIfEPKS1_S1_EviT5_lT_lS4_lS5_liPT6_PT4_ ; -- Begin function _ZL18rocblas_dot_kernelIiLb0ELi512ELi2ELb1E19rocblas_complex_numIfEPKS1_S1_EviT5_lT_lS4_lS5_liPT6_PT4_
	.p2align	8
	.type	_ZL18rocblas_dot_kernelIiLb0ELi512ELi2ELb1E19rocblas_complex_numIfEPKS1_S1_EviT5_lT_lS4_lS5_liPT6_PT4_,@function
_ZL18rocblas_dot_kernelIiLb0ELi512ELi2ELb1E19rocblas_complex_numIfEPKS1_S1_EviT5_lT_lS4_lS5_liPT6_PT4_: ; @_ZL18rocblas_dot_kernelIiLb0ELi512ELi2ELb1E19rocblas_complex_numIfEPKS1_S1_EviT5_lT_lS4_lS5_liPT6_PT4_
; %bb.0:
	s_clause 0x1
	s_load_b32 s10, s[0:1], 0x0
	s_load_b32 s3, s[0:1], 0x60
	v_lshl_or_b32 v3, s14, 9, v0
	v_dual_mov_b32 v1, 0 :: v_dual_mov_b32 v2, 0
	s_mov_b32 s8, s15
	s_mov_b32 s9, 0
	s_mov_b32 s2, exec_lo
	s_waitcnt lgkmcnt(0)
	v_cmpx_gt_i32_e64 s10, v3
	s_cbranch_execz .LBB116_4
; %bb.1:
	s_clause 0x5
	s_load_b128 s[4:7], s[0:1], 0x20
	s_load_b64 s[20:21], s[0:1], 0x40
	s_load_b32 s11, s[0:1], 0x38
	s_load_b32 s12, s[0:1], 0x18
	s_load_b128 s[16:19], s[0:1], 0x8
	s_load_b64 s[22:23], s[0:1], 0x30
	s_waitcnt lgkmcnt(0)
	s_mul_i32 s5, s8, s5
	s_mul_hi_u32 s13, s8, s4
	s_mul_i32 s4, s8, s4
	s_add_i32 s5, s13, s5
	v_mad_i64_i32 v[4:5], null, v3, s12, 0
	s_lshl_b64 s[4:5], s[4:5], 3
	v_mad_i64_i32 v[1:2], null, v3, s11, 0
	s_add_u32 s13, s16, s4
	s_addc_u32 s17, s17, s5
	s_lshl_b64 s[4:5], s[18:19], 3
	s_mul_i32 s15, s8, s21
	s_mul_hi_u32 s21, s8, s20
	s_add_u32 s4, s13, s4
	s_mul_i32 s16, s8, s20
	s_addc_u32 s5, s17, s5
	s_add_i32 s17, s21, s15
	v_lshlrev_b64 v[3:4], 3, v[4:5]
	s_lshl_b64 s[16:17], s[16:17], 3
	v_lshlrev_b64 v[1:2], 3, v[1:2]
	s_add_u32 s13, s6, s16
	s_addc_u32 s15, s7, s17
	s_lshl_b64 s[6:7], s[22:23], 3
	v_add_co_u32 v3, vcc_lo, s4, v3
	s_add_u32 s6, s13, s6
	v_add_co_ci_u32_e32 v4, vcc_lo, s5, v4, vcc_lo
	s_addc_u32 s7, s15, s7
	v_add_co_u32 v1, vcc_lo, s6, v1
	v_add_co_ci_u32_e32 v2, vcc_lo, s7, v2, vcc_lo
	global_load_b64 v[3:4], v[3:4], off
	global_load_b64 v[1:2], v[1:2], off
	s_add_i32 s13, s14, s3
	s_waitcnt vmcnt(0)
	v_mul_f32_e32 v5, v4, v2
	v_mul_f32_e32 v4, v4, v1
	s_delay_alu instid0(VALU_DEP_1) | instskip(NEXT) | instid1(VALU_DEP_3)
	v_fma_f32 v2, v3, v2, -v4
	v_fmac_f32_e32 v5, v3, v1
	v_lshl_or_b32 v3, s13, 9, v0
	s_delay_alu instid0(VALU_DEP_2) | instskip(NEXT) | instid1(VALU_DEP_2)
	v_dual_add_f32 v2, 0, v2 :: v_dual_add_f32 v1, 0, v5
	v_cmp_gt_i32_e32 vcc_lo, s10, v3
	s_and_saveexec_b32 s10, vcc_lo
	s_cbranch_execz .LBB116_3
; %bb.2:
	v_mad_i64_i32 v[4:5], null, v3, s12, 0
	v_mad_i64_i32 v[6:7], null, v3, s11, 0
	s_delay_alu instid0(VALU_DEP_2) | instskip(NEXT) | instid1(VALU_DEP_2)
	v_lshlrev_b64 v[3:4], 3, v[4:5]
	v_lshlrev_b64 v[5:6], 3, v[6:7]
	s_delay_alu instid0(VALU_DEP_2) | instskip(NEXT) | instid1(VALU_DEP_3)
	v_add_co_u32 v3, vcc_lo, s4, v3
	v_add_co_ci_u32_e32 v4, vcc_lo, s5, v4, vcc_lo
	s_delay_alu instid0(VALU_DEP_3) | instskip(NEXT) | instid1(VALU_DEP_4)
	v_add_co_u32 v5, vcc_lo, s6, v5
	v_add_co_ci_u32_e32 v6, vcc_lo, s7, v6, vcc_lo
	global_load_b64 v[3:4], v[3:4], off
	global_load_b64 v[5:6], v[5:6], off
	s_waitcnt vmcnt(0)
	v_mul_f32_e32 v7, v4, v5
	v_mul_f32_e32 v4, v4, v6
	s_delay_alu instid0(VALU_DEP_2) | instskip(NEXT) | instid1(VALU_DEP_2)
	v_fma_f32 v6, v3, v6, -v7
	v_fmac_f32_e32 v4, v3, v5
	s_delay_alu instid0(VALU_DEP_1)
	v_dual_add_f32 v2, v2, v6 :: v_dual_add_f32 v1, v1, v4
.LBB116_3:
	s_or_b32 exec_lo, exec_lo, s10
.LBB116_4:
	s_delay_alu instid0(SALU_CYCLE_1) | instskip(SKIP_2) | instid1(VALU_DEP_2)
	s_or_b32 exec_lo, exec_lo, s2
	v_and_b32_e32 v8, 31, v0
	v_cmp_gt_u32_e32 vcc_lo, 32, v0
	v_lshlrev_b32_e32 v3, 3, v8
	s_and_saveexec_b32 s2, vcc_lo
	s_cbranch_execz .LBB116_6
; %bb.5:
	v_mov_b32_e32 v4, 0
	s_delay_alu instid0(VALU_DEP_1)
	v_mov_b32_e32 v5, v4
	ds_store_b64 v3, v[4:5]
.LBB116_6:
	s_or_b32 exec_lo, exec_lo, s2
	v_mbcnt_lo_u32_b32 v7, -1, 0
	s_mov_b32 s4, exec_lo
	s_waitcnt lgkmcnt(0)
	s_barrier
	buffer_gl0_inv
	v_cmp_gt_u32_e64 s2, 16, v7
	s_delay_alu instid0(VALU_DEP_1) | instskip(SKIP_1) | instid1(VALU_DEP_2)
	v_cndmask_b32_e64 v4, 0, 1, s2
	v_cmp_gt_u32_e64 s2, 24, v7
	v_lshlrev_b32_e32 v4, 4, v4
	s_delay_alu instid0(VALU_DEP_1)
	v_add_lshl_u32 v4, v4, v7, 2
	ds_bpermute_b32 v5, v4, v1
	ds_bpermute_b32 v6, v4, v2
	v_cndmask_b32_e64 v4, 0, 1, s2
	v_cmp_gt_u32_e64 s2, 28, v7
	s_waitcnt lgkmcnt(1)
	s_delay_alu instid0(VALU_DEP_2) | instskip(NEXT) | instid1(VALU_DEP_2)
	v_dual_add_f32 v1, v1, v5 :: v_dual_lshlrev_b32 v4, 3, v4
	v_cndmask_b32_e64 v5, 0, 1, s2
	s_waitcnt lgkmcnt(0)
	v_add_f32_e32 v2, v2, v6
	v_cmp_gt_u32_e64 s2, 30, v7
	v_add_lshl_u32 v4, v4, v7, 2
	v_lshlrev_b32_e32 v5, 2, v5
	ds_bpermute_b32 v6, v4, v1
	ds_bpermute_b32 v9, v4, v2
	v_add_lshl_u32 v5, v5, v7, 2
	s_waitcnt lgkmcnt(1)
	v_add_f32_e32 v1, v1, v6
	v_cndmask_b32_e64 v6, 0, 1, s2
	v_cmp_ne_u32_e64 s2, 31, v7
	s_delay_alu instid0(VALU_DEP_2) | instskip(NEXT) | instid1(VALU_DEP_1)
	v_lshlrev_b32_e32 v6, 1, v6
	v_add_lshl_u32 v6, v6, v7, 2
	s_delay_alu instid0(VALU_DEP_3)
	v_add_co_ci_u32_e64 v7, s2, 0, v7, s2
	s_waitcnt lgkmcnt(0)
	v_add_f32_e32 v2, v2, v9
	ds_bpermute_b32 v9, v5, v1
	v_lshlrev_b32_e32 v7, 2, v7
	ds_bpermute_b32 v10, v5, v2
	s_waitcnt lgkmcnt(1)
	v_add_f32_e32 v1, v1, v9
	ds_bpermute_b32 v9, v6, v1
	s_waitcnt lgkmcnt(0)
	v_dual_add_f32 v2, v2, v10 :: v_dual_add_f32 v1, v1, v9
	ds_bpermute_b32 v10, v6, v2
	ds_bpermute_b32 v9, v7, v1
	s_waitcnt lgkmcnt(1)
	v_add_f32_e32 v2, v2, v10
	ds_bpermute_b32 v10, v7, v2
	v_cmpx_eq_u32_e32 0, v8
	s_cbranch_execz .LBB116_8
; %bb.7:
	v_lshrrev_b32_e32 v8, 2, v0
	s_waitcnt lgkmcnt(0)
	v_dual_add_f32 v1, v1, v9 :: v_dual_add_f32 v2, v2, v10
	s_delay_alu instid0(VALU_DEP_2)
	v_and_b32_e32 v8, 0x78, v8
	ds_store_b64 v8, v[1:2]
.LBB116_8:
	s_or_b32 exec_lo, exec_lo, s4
	v_dual_mov_b32 v2, 0 :: v_dual_mov_b32 v1, 0
	s_mov_b32 s4, exec_lo
	s_waitcnt lgkmcnt(0)
	s_barrier
	buffer_gl0_inv
	v_cmpx_gt_u32_e32 16, v0
	s_cbranch_execz .LBB116_10
; %bb.9:
	ds_load_b64 v[1:2], v3
.LBB116_10:
	s_or_b32 exec_lo, exec_lo, s4
	s_and_saveexec_b32 s2, vcc_lo
	s_cbranch_execz .LBB116_12
; %bb.11:
	s_waitcnt lgkmcnt(0)
	ds_bpermute_b32 v3, v4, v1
	ds_bpermute_b32 v4, v4, v2
	s_waitcnt lgkmcnt(0)
	v_dual_add_f32 v1, v1, v3 :: v_dual_add_f32 v2, v2, v4
	ds_bpermute_b32 v3, v5, v1
	ds_bpermute_b32 v4, v5, v2
	s_waitcnt lgkmcnt(0)
	v_dual_add_f32 v1, v1, v3 :: v_dual_add_f32 v2, v2, v4
	;; [unrolled: 4-line block ×4, first 2 shown]
.LBB116_12:
	s_or_b32 exec_lo, exec_lo, s2
	s_delay_alu instid0(SALU_CYCLE_1)
	s_mov_b32 s2, exec_lo
	v_cmpx_eq_u32_e32 0, v0
	s_cbranch_execz .LBB116_18
; %bb.13:
	s_cmp_lg_u32 s3, 1
	s_cbranch_scc0 .LBB116_15
; %bb.14:
	s_load_b64 s[4:5], s[0:1], 0x50
	s_mul_hi_u32 s7, s3, s8
	s_mul_i32 s6, s3, s8
	s_mov_b32 s15, 0
	s_lshl_b64 s[2:3], s[6:7], 3
	s_waitcnt lgkmcnt(0)
	s_add_u32 s4, s4, s2
	s_addc_u32 s5, s5, s3
	s_lshl_b64 s[2:3], s[14:15], 3
	s_delay_alu instid0(SALU_CYCLE_1)
	s_add_u32 s2, s4, s2
	s_addc_u32 s3, s5, s3
	s_cbranch_execz .LBB116_16
	s_branch .LBB116_17
.LBB116_15:
                                        ; implicit-def: $sgpr2_sgpr3
.LBB116_16:
	s_load_b64 s[0:1], s[0:1], 0x58
	s_lshl_b64 s[2:3], s[8:9], 3
	s_waitcnt lgkmcnt(0)
	s_add_u32 s2, s0, s2
	s_addc_u32 s3, s1, s3
.LBB116_17:
	v_mov_b32_e32 v0, 0
	s_waitcnt lgkmcnt(0)
	global_store_b64 v0, v[1:2], s[2:3]
.LBB116_18:
	s_nop 0
	s_sendmsg sendmsg(MSG_DEALLOC_VGPRS)
	s_endpgm
	.section	.rodata,"a",@progbits
	.p2align	6, 0x0
	.amdhsa_kernel _ZL18rocblas_dot_kernelIiLb0ELi512ELi2ELb1E19rocblas_complex_numIfEPKS1_S1_EviT5_lT_lS4_lS5_liPT6_PT4_
		.amdhsa_group_segment_fixed_size 256
		.amdhsa_private_segment_fixed_size 0
		.amdhsa_kernarg_size 352
		.amdhsa_user_sgpr_count 14
		.amdhsa_user_sgpr_dispatch_ptr 0
		.amdhsa_user_sgpr_queue_ptr 0
		.amdhsa_user_sgpr_kernarg_segment_ptr 1
		.amdhsa_user_sgpr_dispatch_id 0
		.amdhsa_user_sgpr_private_segment_size 0
		.amdhsa_wavefront_size32 1
		.amdhsa_uses_dynamic_stack 0
		.amdhsa_enable_private_segment 0
		.amdhsa_system_sgpr_workgroup_id_x 1
		.amdhsa_system_sgpr_workgroup_id_y 0
		.amdhsa_system_sgpr_workgroup_id_z 1
		.amdhsa_system_sgpr_workgroup_info 0
		.amdhsa_system_vgpr_workitem_id 0
		.amdhsa_next_free_vgpr 11
		.amdhsa_next_free_sgpr 24
		.amdhsa_reserve_vcc 1
		.amdhsa_float_round_mode_32 0
		.amdhsa_float_round_mode_16_64 0
		.amdhsa_float_denorm_mode_32 3
		.amdhsa_float_denorm_mode_16_64 3
		.amdhsa_dx10_clamp 1
		.amdhsa_ieee_mode 1
		.amdhsa_fp16_overflow 0
		.amdhsa_workgroup_processor_mode 1
		.amdhsa_memory_ordered 1
		.amdhsa_forward_progress 0
		.amdhsa_shared_vgpr_count 0
		.amdhsa_exception_fp_ieee_invalid_op 0
		.amdhsa_exception_fp_denorm_src 0
		.amdhsa_exception_fp_ieee_div_zero 0
		.amdhsa_exception_fp_ieee_overflow 0
		.amdhsa_exception_fp_ieee_underflow 0
		.amdhsa_exception_fp_ieee_inexact 0
		.amdhsa_exception_int_div_zero 0
	.end_amdhsa_kernel
	.section	.text._ZL18rocblas_dot_kernelIiLb0ELi512ELi2ELb1E19rocblas_complex_numIfEPKS1_S1_EviT5_lT_lS4_lS5_liPT6_PT4_,"axG",@progbits,_ZL18rocblas_dot_kernelIiLb0ELi512ELi2ELb1E19rocblas_complex_numIfEPKS1_S1_EviT5_lT_lS4_lS5_liPT6_PT4_,comdat
.Lfunc_end116:
	.size	_ZL18rocblas_dot_kernelIiLb0ELi512ELi2ELb1E19rocblas_complex_numIfEPKS1_S1_EviT5_lT_lS4_lS5_liPT6_PT4_, .Lfunc_end116-_ZL18rocblas_dot_kernelIiLb0ELi512ELi2ELb1E19rocblas_complex_numIfEPKS1_S1_EviT5_lT_lS4_lS5_liPT6_PT4_
                                        ; -- End function
	.section	.AMDGPU.csdata,"",@progbits
; Kernel info:
; codeLenInByte = 1196
; NumSgprs: 26
; NumVgprs: 11
; ScratchSize: 0
; MemoryBound: 0
; FloatMode: 240
; IeeeMode: 1
; LDSByteSize: 256 bytes/workgroup (compile time only)
; SGPRBlocks: 3
; VGPRBlocks: 1
; NumSGPRsForWavesPerEU: 26
; NumVGPRsForWavesPerEU: 11
; Occupancy: 16
; WaveLimiterHint : 0
; COMPUTE_PGM_RSRC2:SCRATCH_EN: 0
; COMPUTE_PGM_RSRC2:USER_SGPR: 14
; COMPUTE_PGM_RSRC2:TRAP_HANDLER: 0
; COMPUTE_PGM_RSRC2:TGID_X_EN: 1
; COMPUTE_PGM_RSRC2:TGID_Y_EN: 0
; COMPUTE_PGM_RSRC2:TGID_Z_EN: 1
; COMPUTE_PGM_RSRC2:TIDIG_COMP_CNT: 0
	.section	.text._ZL24rocblas_dot_kernel_magsqIiLb0ELi512ELi2ELb1E19rocblas_complex_numIfEPKS1_S1_EviT5_lT_liPT6_PT4_,"axG",@progbits,_ZL24rocblas_dot_kernel_magsqIiLb0ELi512ELi2ELb1E19rocblas_complex_numIfEPKS1_S1_EviT5_lT_liPT6_PT4_,comdat
	.globl	_ZL24rocblas_dot_kernel_magsqIiLb0ELi512ELi2ELb1E19rocblas_complex_numIfEPKS1_S1_EviT5_lT_liPT6_PT4_ ; -- Begin function _ZL24rocblas_dot_kernel_magsqIiLb0ELi512ELi2ELb1E19rocblas_complex_numIfEPKS1_S1_EviT5_lT_liPT6_PT4_
	.p2align	8
	.type	_ZL24rocblas_dot_kernel_magsqIiLb0ELi512ELi2ELb1E19rocblas_complex_numIfEPKS1_S1_EviT5_lT_liPT6_PT4_,@function
_ZL24rocblas_dot_kernel_magsqIiLb0ELi512ELi2ELb1E19rocblas_complex_numIfEPKS1_S1_EviT5_lT_liPT6_PT4_: ; @_ZL24rocblas_dot_kernel_magsqIiLb0ELi512ELi2ELb1E19rocblas_complex_numIfEPKS1_S1_EviT5_lT_liPT6_PT4_
; %bb.0:
	s_clause 0x1
	s_load_b32 s6, s[0:1], 0x0
	s_load_b32 s3, s[0:1], 0x40
	v_lshl_or_b32 v3, s14, 9, v0
	v_dual_mov_b32 v1, 0 :: v_dual_mov_b32 v2, 0
	s_mov_b32 s4, s15
	s_mov_b32 s5, 0
	s_mov_b32 s2, exec_lo
	s_waitcnt lgkmcnt(0)
	v_cmpx_gt_i32_e64 s6, v3
	s_cbranch_execz .LBB117_4
; %bb.1:
	s_clause 0x2
	s_load_b64 s[12:13], s[0:1], 0x20
	s_load_b32 s7, s[0:1], 0x18
	s_load_b128 s[8:11], s[0:1], 0x8
	s_waitcnt lgkmcnt(0)
	s_mul_i32 s13, s4, s13
	v_mad_i64_i32 v[1:2], null, v3, s7, 0
	s_mul_hi_u32 s15, s4, s12
	s_mul_i32 s12, s4, s12
	s_add_i32 s13, s15, s13
	s_delay_alu instid0(SALU_CYCLE_1) | instskip(NEXT) | instid1(SALU_CYCLE_1)
	s_lshl_b64 s[12:13], s[12:13], 3
	s_add_u32 s12, s8, s12
	s_delay_alu instid0(VALU_DEP_1) | instskip(SKIP_2) | instid1(SALU_CYCLE_1)
	v_lshlrev_b64 v[1:2], 3, v[1:2]
	s_addc_u32 s13, s9, s13
	s_lshl_b64 s[8:9], s[10:11], 3
	s_add_u32 s8, s12, s8
	s_addc_u32 s9, s13, s9
	s_delay_alu instid0(VALU_DEP_1)
	v_add_co_u32 v1, vcc_lo, s8, v1
	v_add_co_ci_u32_e32 v2, vcc_lo, s9, v2, vcc_lo
	s_add_i32 s10, s14, s3
	global_load_b64 v[2:3], v[1:2], off
	s_waitcnt vmcnt(0)
	v_mul_f32_e32 v4, v2, v3
	s_delay_alu instid0(VALU_DEP_1) | instskip(SKIP_2) | instid1(VALU_DEP_2)
	v_fma_f32 v4, v2, v3, -v4
	v_mul_f32_e32 v1, v3, v3
	v_lshl_or_b32 v3, s10, 9, v0
	v_dual_fmac_f32 v1, v2, v2 :: v_dual_add_f32 v2, 0, v4
	s_delay_alu instid0(VALU_DEP_2)
	v_cmp_gt_i32_e32 vcc_lo, s6, v3
	s_and_saveexec_b32 s6, vcc_lo
	s_cbranch_execz .LBB117_3
; %bb.2:
	v_mad_i64_i32 v[4:5], null, v3, s7, 0
	s_delay_alu instid0(VALU_DEP_1) | instskip(NEXT) | instid1(VALU_DEP_1)
	v_lshlrev_b64 v[3:4], 3, v[4:5]
	v_add_co_u32 v3, vcc_lo, s8, v3
	s_delay_alu instid0(VALU_DEP_2) | instskip(SKIP_4) | instid1(VALU_DEP_2)
	v_add_co_ci_u32_e32 v4, vcc_lo, s9, v4, vcc_lo
	global_load_b64 v[3:4], v[3:4], off
	s_waitcnt vmcnt(0)
	v_mul_f32_e32 v5, v3, v4
	v_mul_f32_e32 v6, v4, v4
	v_fma_f32 v4, v3, v4, -v5
	s_delay_alu instid0(VALU_DEP_2) | instskip(NEXT) | instid1(VALU_DEP_1)
	v_fmac_f32_e32 v6, v3, v3
	v_dual_add_f32 v2, v2, v4 :: v_dual_add_f32 v1, v1, v6
.LBB117_3:
	s_or_b32 exec_lo, exec_lo, s6
.LBB117_4:
	s_delay_alu instid0(SALU_CYCLE_1) | instskip(SKIP_2) | instid1(VALU_DEP_2)
	s_or_b32 exec_lo, exec_lo, s2
	v_and_b32_e32 v8, 31, v0
	v_cmp_gt_u32_e32 vcc_lo, 32, v0
	v_lshlrev_b32_e32 v3, 3, v8
	s_and_saveexec_b32 s2, vcc_lo
	s_cbranch_execz .LBB117_6
; %bb.5:
	v_mov_b32_e32 v4, 0
	s_delay_alu instid0(VALU_DEP_1)
	v_mov_b32_e32 v5, v4
	ds_store_b64 v3, v[4:5]
.LBB117_6:
	s_or_b32 exec_lo, exec_lo, s2
	v_mbcnt_lo_u32_b32 v7, -1, 0
	s_mov_b32 s6, exec_lo
	s_waitcnt lgkmcnt(0)
	s_barrier
	buffer_gl0_inv
	v_cmp_gt_u32_e64 s2, 16, v7
	s_delay_alu instid0(VALU_DEP_1) | instskip(SKIP_1) | instid1(VALU_DEP_2)
	v_cndmask_b32_e64 v4, 0, 1, s2
	v_cmp_gt_u32_e64 s2, 24, v7
	v_lshlrev_b32_e32 v4, 4, v4
	s_delay_alu instid0(VALU_DEP_1)
	v_add_lshl_u32 v4, v4, v7, 2
	ds_bpermute_b32 v5, v4, v1
	ds_bpermute_b32 v6, v4, v2
	v_cndmask_b32_e64 v4, 0, 1, s2
	v_cmp_gt_u32_e64 s2, 28, v7
	s_waitcnt lgkmcnt(1)
	s_delay_alu instid0(VALU_DEP_2) | instskip(NEXT) | instid1(VALU_DEP_2)
	v_dual_add_f32 v1, v1, v5 :: v_dual_lshlrev_b32 v4, 3, v4
	v_cndmask_b32_e64 v5, 0, 1, s2
	s_waitcnt lgkmcnt(0)
	v_add_f32_e32 v2, v2, v6
	v_cmp_gt_u32_e64 s2, 30, v7
	v_add_lshl_u32 v4, v4, v7, 2
	v_lshlrev_b32_e32 v5, 2, v5
	ds_bpermute_b32 v6, v4, v1
	ds_bpermute_b32 v9, v4, v2
	v_add_lshl_u32 v5, v5, v7, 2
	s_waitcnt lgkmcnt(1)
	v_add_f32_e32 v1, v1, v6
	v_cndmask_b32_e64 v6, 0, 1, s2
	v_cmp_ne_u32_e64 s2, 31, v7
	s_delay_alu instid0(VALU_DEP_2) | instskip(NEXT) | instid1(VALU_DEP_1)
	v_lshlrev_b32_e32 v6, 1, v6
	v_add_lshl_u32 v6, v6, v7, 2
	s_delay_alu instid0(VALU_DEP_3)
	v_add_co_ci_u32_e64 v7, s2, 0, v7, s2
	s_waitcnt lgkmcnt(0)
	v_add_f32_e32 v2, v2, v9
	ds_bpermute_b32 v9, v5, v1
	v_lshlrev_b32_e32 v7, 2, v7
	ds_bpermute_b32 v10, v5, v2
	s_waitcnt lgkmcnt(1)
	v_add_f32_e32 v1, v1, v9
	ds_bpermute_b32 v9, v6, v1
	s_waitcnt lgkmcnt(0)
	v_dual_add_f32 v2, v2, v10 :: v_dual_add_f32 v1, v1, v9
	ds_bpermute_b32 v10, v6, v2
	ds_bpermute_b32 v9, v7, v1
	s_waitcnt lgkmcnt(1)
	v_add_f32_e32 v2, v2, v10
	ds_bpermute_b32 v10, v7, v2
	v_cmpx_eq_u32_e32 0, v8
	s_cbranch_execz .LBB117_8
; %bb.7:
	v_lshrrev_b32_e32 v8, 2, v0
	s_waitcnt lgkmcnt(0)
	v_dual_add_f32 v1, v1, v9 :: v_dual_add_f32 v2, v2, v10
	s_delay_alu instid0(VALU_DEP_2)
	v_and_b32_e32 v8, 0x78, v8
	ds_store_b64 v8, v[1:2]
.LBB117_8:
	s_or_b32 exec_lo, exec_lo, s6
	v_dual_mov_b32 v2, 0 :: v_dual_mov_b32 v1, 0
	s_mov_b32 s6, exec_lo
	s_waitcnt lgkmcnt(0)
	s_barrier
	buffer_gl0_inv
	v_cmpx_gt_u32_e32 16, v0
	s_cbranch_execz .LBB117_10
; %bb.9:
	ds_load_b64 v[1:2], v3
.LBB117_10:
	s_or_b32 exec_lo, exec_lo, s6
	s_and_saveexec_b32 s2, vcc_lo
	s_cbranch_execz .LBB117_12
; %bb.11:
	s_waitcnt lgkmcnt(0)
	ds_bpermute_b32 v3, v4, v1
	ds_bpermute_b32 v4, v4, v2
	s_waitcnt lgkmcnt(0)
	v_dual_add_f32 v1, v1, v3 :: v_dual_add_f32 v2, v2, v4
	ds_bpermute_b32 v3, v5, v1
	ds_bpermute_b32 v4, v5, v2
	s_waitcnt lgkmcnt(0)
	v_dual_add_f32 v1, v1, v3 :: v_dual_add_f32 v2, v2, v4
	;; [unrolled: 4-line block ×4, first 2 shown]
.LBB117_12:
	s_or_b32 exec_lo, exec_lo, s2
	s_delay_alu instid0(SALU_CYCLE_1)
	s_mov_b32 s2, exec_lo
	v_cmpx_eq_u32_e32 0, v0
	s_cbranch_execz .LBB117_18
; %bb.13:
	s_cmp_lg_u32 s3, 1
	s_cbranch_scc0 .LBB117_15
; %bb.14:
	s_load_b64 s[6:7], s[0:1], 0x30
	s_mul_hi_u32 s9, s3, s4
	s_mul_i32 s8, s3, s4
	s_mov_b32 s15, 0
	s_lshl_b64 s[2:3], s[8:9], 3
	s_waitcnt lgkmcnt(0)
	s_add_u32 s6, s6, s2
	s_addc_u32 s7, s7, s3
	s_lshl_b64 s[2:3], s[14:15], 3
	s_delay_alu instid0(SALU_CYCLE_1)
	s_add_u32 s2, s6, s2
	s_addc_u32 s3, s7, s3
	s_cbranch_execz .LBB117_16
	s_branch .LBB117_17
.LBB117_15:
                                        ; implicit-def: $sgpr2_sgpr3
.LBB117_16:
	s_load_b64 s[0:1], s[0:1], 0x38
	s_lshl_b64 s[2:3], s[4:5], 3
	s_waitcnt lgkmcnt(0)
	s_add_u32 s2, s0, s2
	s_addc_u32 s3, s1, s3
.LBB117_17:
	v_mov_b32_e32 v0, 0
	s_waitcnt lgkmcnt(0)
	global_store_b64 v0, v[1:2], s[2:3]
.LBB117_18:
	s_nop 0
	s_sendmsg sendmsg(MSG_DEALLOC_VGPRS)
	s_endpgm
	.section	.rodata,"a",@progbits
	.p2align	6, 0x0
	.amdhsa_kernel _ZL24rocblas_dot_kernel_magsqIiLb0ELi512ELi2ELb1E19rocblas_complex_numIfEPKS1_S1_EviT5_lT_liPT6_PT4_
		.amdhsa_group_segment_fixed_size 256
		.amdhsa_private_segment_fixed_size 0
		.amdhsa_kernarg_size 320
		.amdhsa_user_sgpr_count 14
		.amdhsa_user_sgpr_dispatch_ptr 0
		.amdhsa_user_sgpr_queue_ptr 0
		.amdhsa_user_sgpr_kernarg_segment_ptr 1
		.amdhsa_user_sgpr_dispatch_id 0
		.amdhsa_user_sgpr_private_segment_size 0
		.amdhsa_wavefront_size32 1
		.amdhsa_uses_dynamic_stack 0
		.amdhsa_enable_private_segment 0
		.amdhsa_system_sgpr_workgroup_id_x 1
		.amdhsa_system_sgpr_workgroup_id_y 0
		.amdhsa_system_sgpr_workgroup_id_z 1
		.amdhsa_system_sgpr_workgroup_info 0
		.amdhsa_system_vgpr_workitem_id 0
		.amdhsa_next_free_vgpr 11
		.amdhsa_next_free_sgpr 16
		.amdhsa_reserve_vcc 1
		.amdhsa_float_round_mode_32 0
		.amdhsa_float_round_mode_16_64 0
		.amdhsa_float_denorm_mode_32 3
		.amdhsa_float_denorm_mode_16_64 3
		.amdhsa_dx10_clamp 1
		.amdhsa_ieee_mode 1
		.amdhsa_fp16_overflow 0
		.amdhsa_workgroup_processor_mode 1
		.amdhsa_memory_ordered 1
		.amdhsa_forward_progress 0
		.amdhsa_shared_vgpr_count 0
		.amdhsa_exception_fp_ieee_invalid_op 0
		.amdhsa_exception_fp_denorm_src 0
		.amdhsa_exception_fp_ieee_div_zero 0
		.amdhsa_exception_fp_ieee_overflow 0
		.amdhsa_exception_fp_ieee_underflow 0
		.amdhsa_exception_fp_ieee_inexact 0
		.amdhsa_exception_int_div_zero 0
	.end_amdhsa_kernel
	.section	.text._ZL24rocblas_dot_kernel_magsqIiLb0ELi512ELi2ELb1E19rocblas_complex_numIfEPKS1_S1_EviT5_lT_liPT6_PT4_,"axG",@progbits,_ZL24rocblas_dot_kernel_magsqIiLb0ELi512ELi2ELb1E19rocblas_complex_numIfEPKS1_S1_EviT5_lT_liPT6_PT4_,comdat
.Lfunc_end117:
	.size	_ZL24rocblas_dot_kernel_magsqIiLb0ELi512ELi2ELb1E19rocblas_complex_numIfEPKS1_S1_EviT5_lT_liPT6_PT4_, .Lfunc_end117-_ZL24rocblas_dot_kernel_magsqIiLb0ELi512ELi2ELb1E19rocblas_complex_numIfEPKS1_S1_EviT5_lT_liPT6_PT4_
                                        ; -- End function
	.section	.AMDGPU.csdata,"",@progbits
; Kernel info:
; codeLenInByte = 1060
; NumSgprs: 18
; NumVgprs: 11
; ScratchSize: 0
; MemoryBound: 0
; FloatMode: 240
; IeeeMode: 1
; LDSByteSize: 256 bytes/workgroup (compile time only)
; SGPRBlocks: 2
; VGPRBlocks: 1
; NumSGPRsForWavesPerEU: 18
; NumVGPRsForWavesPerEU: 11
; Occupancy: 16
; WaveLimiterHint : 0
; COMPUTE_PGM_RSRC2:SCRATCH_EN: 0
; COMPUTE_PGM_RSRC2:USER_SGPR: 14
; COMPUTE_PGM_RSRC2:TRAP_HANDLER: 0
; COMPUTE_PGM_RSRC2:TGID_X_EN: 1
; COMPUTE_PGM_RSRC2:TGID_Y_EN: 0
; COMPUTE_PGM_RSRC2:TGID_Z_EN: 1
; COMPUTE_PGM_RSRC2:TIDIG_COMP_CNT: 0
	.section	.text._ZL28rocblas_dot_batched_4_kernelIlLi32ELi4ELb1E19rocblas_complex_numIfES1_PKS1_EviT5_lT_lS4_lS5_liPT4_,"axG",@progbits,_ZL28rocblas_dot_batched_4_kernelIlLi32ELi4ELb1E19rocblas_complex_numIfES1_PKS1_EviT5_lT_lS4_lS5_liPT4_,comdat
	.globl	_ZL28rocblas_dot_batched_4_kernelIlLi32ELi4ELb1E19rocblas_complex_numIfES1_PKS1_EviT5_lT_lS4_lS5_liPT4_ ; -- Begin function _ZL28rocblas_dot_batched_4_kernelIlLi32ELi4ELb1E19rocblas_complex_numIfES1_PKS1_EviT5_lT_lS4_lS5_liPT4_
	.p2align	8
	.type	_ZL28rocblas_dot_batched_4_kernelIlLi32ELi4ELb1E19rocblas_complex_numIfES1_PKS1_EviT5_lT_lS4_lS5_liPT4_,@function
_ZL28rocblas_dot_batched_4_kernelIlLi32ELi4ELb1E19rocblas_complex_numIfES1_PKS1_EviT5_lT_lS4_lS5_liPT4_: ; @_ZL28rocblas_dot_batched_4_kernelIlLi32ELi4ELb1E19rocblas_complex_numIfES1_PKS1_EviT5_lT_lS4_lS5_liPT4_
; %bb.0:
	s_load_b32 s2, s[0:1], 0x48
	v_bfe_u32 v1, v0, 10, 10
	s_delay_alu instid0(VALU_DEP_1) | instskip(SKIP_1) | instid1(VALU_DEP_1)
	v_lshl_add_u32 v1, s15, 2, v1
	s_waitcnt lgkmcnt(0)
	v_cmp_gt_u32_e32 vcc_lo, s2, v1
	s_and_saveexec_b32 s2, vcc_lo
	s_cbranch_execz .LBB118_7
; %bb.1:
	s_clause 0x1
	s_load_b32 s16, s[0:1], 0x0
	s_load_b64 s[2:3], s[0:1], 0x50
	v_mov_b32_e32 v2, 0
	v_and_b32_e32 v0, 0x3ff, v0
	s_mov_b32 s17, exec_lo
	s_delay_alu instid0(VALU_DEP_2)
	v_mov_b32_e32 v7, v2
	v_mov_b32_e32 v8, v2
	s_waitcnt lgkmcnt(0)
	v_cmpx_gt_i32_e64 s16, v0
	s_cbranch_execz .LBB118_5
; %bb.2:
	s_clause 0x3
	s_load_b256 s[4:11], s[0:1], 0x20
	s_load_b64 s[18:19], s[0:1], 0x40
	s_load_b128 s[12:15], s[0:1], 0x10
	s_load_b64 s[0:1], s[0:1], 0x8
	s_waitcnt lgkmcnt(0)
	v_mad_u64_u32 v[3:4], null, s10, v0, 0
	v_mad_u64_u32 v[5:6], null, s18, v1, 0
	;; [unrolled: 1-line block ×4, first 2 shown]
	s_lshl_b64 s[8:9], s[8:9], 3
	s_delay_alu instid0(VALU_DEP_3) | instskip(NEXT) | instid1(VALU_DEP_3)
	v_mad_u64_u32 v[11:12], null, s11, v0, v[4:5]
	v_mad_u64_u32 v[12:13], null, s19, v1, v[6:7]
	s_delay_alu instid0(VALU_DEP_3) | instskip(SKIP_2) | instid1(VALU_DEP_3)
	v_mad_u64_u32 v[13:14], null, s15, v0, v[8:9]
	s_add_u32 s8, s6, s8
	s_addc_u32 s9, s7, s9
	v_mad_u64_u32 v[14:15], null, s5, v1, v[10:11]
	v_mov_b32_e32 v4, v11
	s_delay_alu instid0(VALU_DEP_4) | instskip(NEXT) | instid1(VALU_DEP_4)
	v_mov_b32_e32 v6, v12
	v_mov_b32_e32 v8, v13
	s_lshl_b64 s[6:7], s[12:13], 3
	s_lshl_b64 s[4:5], s[10:11], 8
	v_lshlrev_b64 v[3:4], 3, v[3:4]
	v_mov_b32_e32 v10, v14
	v_lshlrev_b64 v[5:6], 3, v[5:6]
	v_lshlrev_b64 v[7:8], 3, v[7:8]
	s_add_u32 s0, s0, s6
	s_addc_u32 s1, s1, s7
	v_lshlrev_b64 v[9:10], 3, v[9:10]
	s_lshl_b64 s[6:7], s[14:15], 8
	v_add_co_u32 v3, vcc_lo, v3, v5
	v_add_co_ci_u32_e32 v4, vcc_lo, v4, v6, vcc_lo
	s_delay_alu instid0(VALU_DEP_3)
	v_add_co_u32 v5, vcc_lo, v7, v9
	v_mov_b32_e32 v9, v0
	v_add_co_ci_u32_e32 v6, vcc_lo, v8, v10, vcc_lo
	v_add_co_u32 v3, vcc_lo, s8, v3
	v_add_co_ci_u32_e32 v4, vcc_lo, s9, v4, vcc_lo
	v_add_co_u32 v5, vcc_lo, s0, v5
	s_delay_alu instid0(VALU_DEP_4) | instskip(NEXT) | instid1(VALU_DEP_4)
	v_add_co_ci_u32_e32 v6, vcc_lo, s1, v6, vcc_lo
	v_add_co_u32 v3, vcc_lo, v3, 4
	s_delay_alu instid0(VALU_DEP_4) | instskip(NEXT) | instid1(VALU_DEP_4)
	v_add_co_ci_u32_e32 v4, vcc_lo, 0, v4, vcc_lo
	v_add_co_u32 v5, vcc_lo, v5, 4
	s_delay_alu instid0(VALU_DEP_4)
	v_add_co_ci_u32_e32 v6, vcc_lo, 0, v6, vcc_lo
	v_dual_mov_b32 v7, 0 :: v_dual_mov_b32 v8, 0
	s_mov_b32 s1, 0
	.p2align	6
.LBB118_3:                              ; =>This Inner Loop Header: Depth=1
	global_load_b64 v[10:11], v[5:6], off offset:-4
	global_load_b64 v[12:13], v[3:4], off offset:-4
	v_add_co_u32 v3, vcc_lo, v3, s4
	v_add_co_ci_u32_e32 v4, vcc_lo, s5, v4, vcc_lo
	v_add_co_u32 v5, vcc_lo, v5, s6
	v_add_co_ci_u32_e32 v6, vcc_lo, s7, v6, vcc_lo
	s_waitcnt vmcnt(0)
	v_mul_f32_e32 v14, v11, v13
	v_mul_f32_e32 v11, v11, v12
	s_delay_alu instid0(VALU_DEP_2) | instskip(NEXT) | instid1(VALU_DEP_2)
	v_dual_fmac_f32 v14, v10, v12 :: v_dual_add_nc_u32 v9, 32, v9
	v_fma_f32 v10, v10, v13, -v11
	s_delay_alu instid0(VALU_DEP_2) | instskip(NEXT) | instid1(VALU_DEP_3)
	v_cmp_le_i32_e64 s0, s16, v9
	v_add_f32_e32 v7, v7, v14
	s_delay_alu instid0(VALU_DEP_3) | instskip(NEXT) | instid1(VALU_DEP_3)
	v_add_f32_e32 v8, v8, v10
	s_or_b32 s1, s0, s1
	s_delay_alu instid0(SALU_CYCLE_1)
	s_and_not1_b32 exec_lo, exec_lo, s1
	s_cbranch_execnz .LBB118_3
; %bb.4:
	s_or_b32 exec_lo, exec_lo, s1
.LBB118_5:
	s_delay_alu instid0(SALU_CYCLE_1)
	s_or_b32 exec_lo, exec_lo, s17
	v_mbcnt_lo_u32_b32 v3, -1, 0
	s_barrier
	buffer_gl0_inv
	v_cmp_gt_u32_e32 vcc_lo, 16, v3
	v_cndmask_b32_e64 v4, 0, 1, vcc_lo
	v_cmp_gt_u32_e32 vcc_lo, 24, v3
	s_delay_alu instid0(VALU_DEP_2) | instskip(SKIP_2) | instid1(VALU_DEP_3)
	v_lshlrev_b32_e32 v4, 4, v4
	v_cndmask_b32_e64 v6, 0, 1, vcc_lo
	v_cmp_gt_u32_e32 vcc_lo, 28, v3
	v_add_lshl_u32 v4, v4, v3, 2
	ds_bpermute_b32 v5, v4, v7
	ds_bpermute_b32 v4, v4, v8
	s_waitcnt lgkmcnt(1)
	v_dual_add_f32 v5, v7, v5 :: v_dual_lshlrev_b32 v6, 3, v6
	s_delay_alu instid0(VALU_DEP_1)
	v_add_lshl_u32 v6, v6, v3, 2
	ds_bpermute_b32 v7, v6, v5
	s_waitcnt lgkmcnt(0)
	v_dual_add_f32 v5, v5, v7 :: v_dual_add_f32 v4, v8, v4
	v_cndmask_b32_e64 v8, 0, 1, vcc_lo
	v_cmp_gt_u32_e32 vcc_lo, 30, v3
	ds_bpermute_b32 v6, v6, v4
	v_lshlrev_b32_e32 v8, 2, v8
	s_delay_alu instid0(VALU_DEP_1)
	v_add_lshl_u32 v8, v8, v3, 2
	s_waitcnt lgkmcnt(0)
	v_add_f32_e32 v4, v4, v6
	ds_bpermute_b32 v6, v8, v5
	ds_bpermute_b32 v7, v8, v4
	v_cndmask_b32_e64 v8, 0, 1, vcc_lo
	v_cmp_ne_u32_e32 vcc_lo, 31, v3
	s_waitcnt lgkmcnt(0)
	v_dual_add_f32 v5, v5, v6 :: v_dual_add_f32 v4, v4, v7
	s_delay_alu instid0(VALU_DEP_3) | instskip(NEXT) | instid1(VALU_DEP_1)
	v_lshlrev_b32_e32 v8, 1, v8
	v_add_lshl_u32 v8, v8, v3, 2
	v_add_co_ci_u32_e32 v3, vcc_lo, 0, v3, vcc_lo
	v_cmp_eq_u32_e32 vcc_lo, 0, v0
	ds_bpermute_b32 v6, v8, v5
	ds_bpermute_b32 v7, v8, v4
	s_waitcnt lgkmcnt(1)
	v_dual_add_f32 v3, v5, v6 :: v_dual_lshlrev_b32 v8, 2, v3
	s_waitcnt lgkmcnt(0)
	v_add_f32_e32 v5, v4, v7
	ds_bpermute_b32 v4, v8, v3
	ds_bpermute_b32 v6, v8, v5
	s_and_b32 exec_lo, exec_lo, vcc_lo
	s_cbranch_execz .LBB118_7
; %bb.6:
	v_lshlrev_b64 v[0:1], 3, v[1:2]
	s_waitcnt lgkmcnt(0)
	v_add_f32_e32 v2, v5, v6
	s_delay_alu instid0(VALU_DEP_2) | instskip(NEXT) | instid1(VALU_DEP_3)
	v_add_co_u32 v5, vcc_lo, s2, v0
	v_add_co_ci_u32_e32 v6, vcc_lo, s3, v1, vcc_lo
	v_add_f32_e32 v1, v3, v4
	global_store_b64 v[5:6], v[1:2], off
.LBB118_7:
	s_nop 0
	s_sendmsg sendmsg(MSG_DEALLOC_VGPRS)
	s_endpgm
	.section	.rodata,"a",@progbits
	.p2align	6, 0x0
	.amdhsa_kernel _ZL28rocblas_dot_batched_4_kernelIlLi32ELi4ELb1E19rocblas_complex_numIfES1_PKS1_EviT5_lT_lS4_lS5_liPT4_
		.amdhsa_group_segment_fixed_size 0
		.amdhsa_private_segment_fixed_size 0
		.amdhsa_kernarg_size 88
		.amdhsa_user_sgpr_count 15
		.amdhsa_user_sgpr_dispatch_ptr 0
		.amdhsa_user_sgpr_queue_ptr 0
		.amdhsa_user_sgpr_kernarg_segment_ptr 1
		.amdhsa_user_sgpr_dispatch_id 0
		.amdhsa_user_sgpr_private_segment_size 0
		.amdhsa_wavefront_size32 1
		.amdhsa_uses_dynamic_stack 0
		.amdhsa_enable_private_segment 0
		.amdhsa_system_sgpr_workgroup_id_x 1
		.amdhsa_system_sgpr_workgroup_id_y 0
		.amdhsa_system_sgpr_workgroup_id_z 0
		.amdhsa_system_sgpr_workgroup_info 0
		.amdhsa_system_vgpr_workitem_id 1
		.amdhsa_next_free_vgpr 16
		.amdhsa_next_free_sgpr 20
		.amdhsa_reserve_vcc 1
		.amdhsa_float_round_mode_32 0
		.amdhsa_float_round_mode_16_64 0
		.amdhsa_float_denorm_mode_32 3
		.amdhsa_float_denorm_mode_16_64 3
		.amdhsa_dx10_clamp 1
		.amdhsa_ieee_mode 1
		.amdhsa_fp16_overflow 0
		.amdhsa_workgroup_processor_mode 1
		.amdhsa_memory_ordered 1
		.amdhsa_forward_progress 0
		.amdhsa_shared_vgpr_count 0
		.amdhsa_exception_fp_ieee_invalid_op 0
		.amdhsa_exception_fp_denorm_src 0
		.amdhsa_exception_fp_ieee_div_zero 0
		.amdhsa_exception_fp_ieee_overflow 0
		.amdhsa_exception_fp_ieee_underflow 0
		.amdhsa_exception_fp_ieee_inexact 0
		.amdhsa_exception_int_div_zero 0
	.end_amdhsa_kernel
	.section	.text._ZL28rocblas_dot_batched_4_kernelIlLi32ELi4ELb1E19rocblas_complex_numIfES1_PKS1_EviT5_lT_lS4_lS5_liPT4_,"axG",@progbits,_ZL28rocblas_dot_batched_4_kernelIlLi32ELi4ELb1E19rocblas_complex_numIfES1_PKS1_EviT5_lT_lS4_lS5_liPT4_,comdat
.Lfunc_end118:
	.size	_ZL28rocblas_dot_batched_4_kernelIlLi32ELi4ELb1E19rocblas_complex_numIfES1_PKS1_EviT5_lT_lS4_lS5_liPT4_, .Lfunc_end118-_ZL28rocblas_dot_batched_4_kernelIlLi32ELi4ELb1E19rocblas_complex_numIfES1_PKS1_EviT5_lT_lS4_lS5_liPT4_
                                        ; -- End function
	.section	.AMDGPU.csdata,"",@progbits
; Kernel info:
; codeLenInByte = 880
; NumSgprs: 22
; NumVgprs: 16
; ScratchSize: 0
; MemoryBound: 0
; FloatMode: 240
; IeeeMode: 1
; LDSByteSize: 0 bytes/workgroup (compile time only)
; SGPRBlocks: 2
; VGPRBlocks: 1
; NumSGPRsForWavesPerEU: 22
; NumVGPRsForWavesPerEU: 16
; Occupancy: 16
; WaveLimiterHint : 0
; COMPUTE_PGM_RSRC2:SCRATCH_EN: 0
; COMPUTE_PGM_RSRC2:USER_SGPR: 15
; COMPUTE_PGM_RSRC2:TRAP_HANDLER: 0
; COMPUTE_PGM_RSRC2:TGID_X_EN: 1
; COMPUTE_PGM_RSRC2:TGID_Y_EN: 0
; COMPUTE_PGM_RSRC2:TGID_Z_EN: 0
; COMPUTE_PGM_RSRC2:TIDIG_COMP_CNT: 1
	.section	.text._ZL28rocblas_dot_batched_4_kernelIlLi64ELi4ELb1E19rocblas_complex_numIfES1_PKS1_EviT5_lT_lS4_lS5_liPT4_,"axG",@progbits,_ZL28rocblas_dot_batched_4_kernelIlLi64ELi4ELb1E19rocblas_complex_numIfES1_PKS1_EviT5_lT_lS4_lS5_liPT4_,comdat
	.globl	_ZL28rocblas_dot_batched_4_kernelIlLi64ELi4ELb1E19rocblas_complex_numIfES1_PKS1_EviT5_lT_lS4_lS5_liPT4_ ; -- Begin function _ZL28rocblas_dot_batched_4_kernelIlLi64ELi4ELb1E19rocblas_complex_numIfES1_PKS1_EviT5_lT_lS4_lS5_liPT4_
	.p2align	8
	.type	_ZL28rocblas_dot_batched_4_kernelIlLi64ELi4ELb1E19rocblas_complex_numIfES1_PKS1_EviT5_lT_lS4_lS5_liPT4_,@function
_ZL28rocblas_dot_batched_4_kernelIlLi64ELi4ELb1E19rocblas_complex_numIfES1_PKS1_EviT5_lT_lS4_lS5_liPT4_: ; @_ZL28rocblas_dot_batched_4_kernelIlLi64ELi4ELb1E19rocblas_complex_numIfES1_PKS1_EviT5_lT_lS4_lS5_liPT4_
; %bb.0:
	s_load_b32 s2, s[0:1], 0x48
	v_bfe_u32 v1, v0, 10, 10
	s_delay_alu instid0(VALU_DEP_1) | instskip(SKIP_1) | instid1(VALU_DEP_1)
	v_lshl_add_u32 v1, s15, 2, v1
	s_waitcnt lgkmcnt(0)
	v_cmp_gt_u32_e32 vcc_lo, s2, v1
	s_and_saveexec_b32 s2, vcc_lo
	s_cbranch_execz .LBB119_7
; %bb.1:
	s_clause 0x1
	s_load_b32 s16, s[0:1], 0x0
	s_load_b64 s[2:3], s[0:1], 0x50
	v_mov_b32_e32 v2, 0
	v_and_b32_e32 v0, 0x3ff, v0
	s_mov_b32 s17, exec_lo
	s_delay_alu instid0(VALU_DEP_2)
	v_mov_b32_e32 v7, v2
	v_mov_b32_e32 v8, v2
	s_waitcnt lgkmcnt(0)
	v_cmpx_gt_i32_e64 s16, v0
	s_cbranch_execz .LBB119_5
; %bb.2:
	s_clause 0x3
	s_load_b256 s[4:11], s[0:1], 0x20
	s_load_b64 s[18:19], s[0:1], 0x40
	s_load_b128 s[12:15], s[0:1], 0x10
	s_load_b64 s[0:1], s[0:1], 0x8
	s_waitcnt lgkmcnt(0)
	v_mad_u64_u32 v[3:4], null, s10, v0, 0
	v_mad_u64_u32 v[5:6], null, s18, v1, 0
	;; [unrolled: 1-line block ×4, first 2 shown]
	s_lshl_b64 s[8:9], s[8:9], 3
	s_delay_alu instid0(VALU_DEP_3) | instskip(NEXT) | instid1(VALU_DEP_3)
	v_mad_u64_u32 v[11:12], null, s11, v0, v[4:5]
	v_mad_u64_u32 v[12:13], null, s19, v1, v[6:7]
	s_delay_alu instid0(VALU_DEP_3) | instskip(SKIP_2) | instid1(VALU_DEP_3)
	v_mad_u64_u32 v[13:14], null, s15, v0, v[8:9]
	s_add_u32 s8, s6, s8
	s_addc_u32 s9, s7, s9
	v_mad_u64_u32 v[14:15], null, s5, v1, v[10:11]
	v_mov_b32_e32 v4, v11
	s_delay_alu instid0(VALU_DEP_4) | instskip(NEXT) | instid1(VALU_DEP_4)
	v_mov_b32_e32 v6, v12
	v_mov_b32_e32 v8, v13
	s_lshl_b64 s[6:7], s[12:13], 3
	s_lshl_b64 s[4:5], s[10:11], 9
	v_lshlrev_b64 v[3:4], 3, v[3:4]
	v_mov_b32_e32 v10, v14
	v_lshlrev_b64 v[5:6], 3, v[5:6]
	v_lshlrev_b64 v[7:8], 3, v[7:8]
	s_add_u32 s0, s0, s6
	s_addc_u32 s1, s1, s7
	v_lshlrev_b64 v[9:10], 3, v[9:10]
	s_lshl_b64 s[6:7], s[14:15], 9
	v_add_co_u32 v3, vcc_lo, v3, v5
	v_add_co_ci_u32_e32 v4, vcc_lo, v4, v6, vcc_lo
	s_delay_alu instid0(VALU_DEP_3)
	v_add_co_u32 v5, vcc_lo, v7, v9
	v_mov_b32_e32 v9, v0
	v_add_co_ci_u32_e32 v6, vcc_lo, v8, v10, vcc_lo
	v_add_co_u32 v3, vcc_lo, s8, v3
	v_add_co_ci_u32_e32 v4, vcc_lo, s9, v4, vcc_lo
	v_add_co_u32 v5, vcc_lo, s0, v5
	s_delay_alu instid0(VALU_DEP_4) | instskip(NEXT) | instid1(VALU_DEP_4)
	v_add_co_ci_u32_e32 v6, vcc_lo, s1, v6, vcc_lo
	v_add_co_u32 v3, vcc_lo, v3, 4
	s_delay_alu instid0(VALU_DEP_4) | instskip(NEXT) | instid1(VALU_DEP_4)
	v_add_co_ci_u32_e32 v4, vcc_lo, 0, v4, vcc_lo
	v_add_co_u32 v5, vcc_lo, v5, 4
	s_delay_alu instid0(VALU_DEP_4)
	v_add_co_ci_u32_e32 v6, vcc_lo, 0, v6, vcc_lo
	v_dual_mov_b32 v7, 0 :: v_dual_mov_b32 v8, 0
	s_mov_b32 s1, 0
	.p2align	6
.LBB119_3:                              ; =>This Inner Loop Header: Depth=1
	global_load_b64 v[10:11], v[5:6], off offset:-4
	global_load_b64 v[12:13], v[3:4], off offset:-4
	v_add_co_u32 v3, vcc_lo, v3, s4
	v_add_co_ci_u32_e32 v4, vcc_lo, s5, v4, vcc_lo
	v_add_co_u32 v5, vcc_lo, v5, s6
	v_add_co_ci_u32_e32 v6, vcc_lo, s7, v6, vcc_lo
	s_waitcnt vmcnt(0)
	v_mul_f32_e32 v14, v11, v13
	v_mul_f32_e32 v11, v11, v12
	s_delay_alu instid0(VALU_DEP_2) | instskip(NEXT) | instid1(VALU_DEP_2)
	v_dual_fmac_f32 v14, v10, v12 :: v_dual_add_nc_u32 v9, 64, v9
	v_fma_f32 v10, v10, v13, -v11
	s_delay_alu instid0(VALU_DEP_2) | instskip(NEXT) | instid1(VALU_DEP_3)
	v_cmp_le_i32_e64 s0, s16, v9
	v_add_f32_e32 v7, v7, v14
	s_delay_alu instid0(VALU_DEP_3) | instskip(NEXT) | instid1(VALU_DEP_3)
	v_add_f32_e32 v8, v8, v10
	s_or_b32 s1, s0, s1
	s_delay_alu instid0(SALU_CYCLE_1)
	s_and_not1_b32 exec_lo, exec_lo, s1
	s_cbranch_execnz .LBB119_3
; %bb.4:
	s_or_b32 exec_lo, exec_lo, s1
.LBB119_5:
	s_delay_alu instid0(SALU_CYCLE_1)
	s_or_b32 exec_lo, exec_lo, s17
	v_mbcnt_lo_u32_b32 v3, -1, 0
	s_barrier
	buffer_gl0_inv
	v_lshlrev_b32_e32 v4, 2, v3
	v_cmp_gt_u32_e32 vcc_lo, 16, v3
	ds_bpermute_b32 v5, v4, v7
	v_cndmask_b32_e64 v6, 0, 1, vcc_lo
	v_cmp_gt_u32_e32 vcc_lo, 24, v3
	s_waitcnt lgkmcnt(0)
	s_delay_alu instid0(VALU_DEP_2)
	v_dual_add_f32 v5, v7, v5 :: v_dual_lshlrev_b32 v6, 4, v6
	ds_bpermute_b32 v4, v4, v8
	v_add_lshl_u32 v6, v6, v3, 2
	ds_bpermute_b32 v7, v6, v5
	s_waitcnt lgkmcnt(0)
	v_dual_add_f32 v5, v5, v7 :: v_dual_add_f32 v4, v8, v4
	v_cndmask_b32_e64 v8, 0, 1, vcc_lo
	v_cmp_gt_u32_e32 vcc_lo, 28, v3
	ds_bpermute_b32 v6, v6, v4
	v_lshlrev_b32_e32 v8, 3, v8
	s_delay_alu instid0(VALU_DEP_1)
	v_add_lshl_u32 v8, v8, v3, 2
	s_waitcnt lgkmcnt(0)
	v_add_f32_e32 v4, v4, v6
	ds_bpermute_b32 v6, v8, v5
	ds_bpermute_b32 v7, v8, v4
	v_cndmask_b32_e64 v8, 0, 1, vcc_lo
	v_cmp_gt_u32_e32 vcc_lo, 30, v3
	s_delay_alu instid0(VALU_DEP_2) | instskip(NEXT) | instid1(VALU_DEP_1)
	v_lshlrev_b32_e32 v8, 2, v8
	v_add_lshl_u32 v8, v8, v3, 2
	s_waitcnt lgkmcnt(0)
	v_dual_add_f32 v5, v5, v6 :: v_dual_add_f32 v4, v4, v7
	ds_bpermute_b32 v6, v8, v5
	ds_bpermute_b32 v7, v8, v4
	v_cndmask_b32_e64 v8, 0, 1, vcc_lo
	v_cmp_ne_u32_e32 vcc_lo, 31, v3
	s_waitcnt lgkmcnt(0)
	v_dual_add_f32 v5, v5, v6 :: v_dual_add_f32 v4, v4, v7
	s_delay_alu instid0(VALU_DEP_3) | instskip(NEXT) | instid1(VALU_DEP_1)
	v_lshlrev_b32_e32 v8, 1, v8
	v_add_lshl_u32 v8, v8, v3, 2
	v_add_co_ci_u32_e32 v3, vcc_lo, 0, v3, vcc_lo
	v_cmp_eq_u32_e32 vcc_lo, 0, v0
	ds_bpermute_b32 v6, v8, v5
	ds_bpermute_b32 v7, v8, v4
	s_waitcnt lgkmcnt(1)
	v_dual_add_f32 v3, v5, v6 :: v_dual_lshlrev_b32 v8, 2, v3
	s_waitcnt lgkmcnt(0)
	v_add_f32_e32 v5, v4, v7
	ds_bpermute_b32 v4, v8, v3
	ds_bpermute_b32 v6, v8, v5
	s_and_b32 exec_lo, exec_lo, vcc_lo
	s_cbranch_execz .LBB119_7
; %bb.6:
	v_lshlrev_b64 v[0:1], 3, v[1:2]
	s_waitcnt lgkmcnt(0)
	v_add_f32_e32 v2, v5, v6
	s_delay_alu instid0(VALU_DEP_2) | instskip(NEXT) | instid1(VALU_DEP_3)
	v_add_co_u32 v5, vcc_lo, s2, v0
	v_add_co_ci_u32_e32 v6, vcc_lo, s3, v1, vcc_lo
	v_add_f32_e32 v1, v3, v4
	global_store_b64 v[5:6], v[1:2], off
.LBB119_7:
	s_nop 0
	s_sendmsg sendmsg(MSG_DEALLOC_VGPRS)
	s_endpgm
	.section	.rodata,"a",@progbits
	.p2align	6, 0x0
	.amdhsa_kernel _ZL28rocblas_dot_batched_4_kernelIlLi64ELi4ELb1E19rocblas_complex_numIfES1_PKS1_EviT5_lT_lS4_lS5_liPT4_
		.amdhsa_group_segment_fixed_size 0
		.amdhsa_private_segment_fixed_size 0
		.amdhsa_kernarg_size 88
		.amdhsa_user_sgpr_count 15
		.amdhsa_user_sgpr_dispatch_ptr 0
		.amdhsa_user_sgpr_queue_ptr 0
		.amdhsa_user_sgpr_kernarg_segment_ptr 1
		.amdhsa_user_sgpr_dispatch_id 0
		.amdhsa_user_sgpr_private_segment_size 0
		.amdhsa_wavefront_size32 1
		.amdhsa_uses_dynamic_stack 0
		.amdhsa_enable_private_segment 0
		.amdhsa_system_sgpr_workgroup_id_x 1
		.amdhsa_system_sgpr_workgroup_id_y 0
		.amdhsa_system_sgpr_workgroup_id_z 0
		.amdhsa_system_sgpr_workgroup_info 0
		.amdhsa_system_vgpr_workitem_id 1
		.amdhsa_next_free_vgpr 16
		.amdhsa_next_free_sgpr 20
		.amdhsa_reserve_vcc 1
		.amdhsa_float_round_mode_32 0
		.amdhsa_float_round_mode_16_64 0
		.amdhsa_float_denorm_mode_32 3
		.amdhsa_float_denorm_mode_16_64 3
		.amdhsa_dx10_clamp 1
		.amdhsa_ieee_mode 1
		.amdhsa_fp16_overflow 0
		.amdhsa_workgroup_processor_mode 1
		.amdhsa_memory_ordered 1
		.amdhsa_forward_progress 0
		.amdhsa_shared_vgpr_count 0
		.amdhsa_exception_fp_ieee_invalid_op 0
		.amdhsa_exception_fp_denorm_src 0
		.amdhsa_exception_fp_ieee_div_zero 0
		.amdhsa_exception_fp_ieee_overflow 0
		.amdhsa_exception_fp_ieee_underflow 0
		.amdhsa_exception_fp_ieee_inexact 0
		.amdhsa_exception_int_div_zero 0
	.end_amdhsa_kernel
	.section	.text._ZL28rocblas_dot_batched_4_kernelIlLi64ELi4ELb1E19rocblas_complex_numIfES1_PKS1_EviT5_lT_lS4_lS5_liPT4_,"axG",@progbits,_ZL28rocblas_dot_batched_4_kernelIlLi64ELi4ELb1E19rocblas_complex_numIfES1_PKS1_EviT5_lT_lS4_lS5_liPT4_,comdat
.Lfunc_end119:
	.size	_ZL28rocblas_dot_batched_4_kernelIlLi64ELi4ELb1E19rocblas_complex_numIfES1_PKS1_EviT5_lT_lS4_lS5_liPT4_, .Lfunc_end119-_ZL28rocblas_dot_batched_4_kernelIlLi64ELi4ELb1E19rocblas_complex_numIfES1_PKS1_EviT5_lT_lS4_lS5_liPT4_
                                        ; -- End function
	.section	.AMDGPU.csdata,"",@progbits
; Kernel info:
; codeLenInByte = 912
; NumSgprs: 22
; NumVgprs: 16
; ScratchSize: 0
; MemoryBound: 0
; FloatMode: 240
; IeeeMode: 1
; LDSByteSize: 0 bytes/workgroup (compile time only)
; SGPRBlocks: 2
; VGPRBlocks: 1
; NumSGPRsForWavesPerEU: 22
; NumVGPRsForWavesPerEU: 16
; Occupancy: 16
; WaveLimiterHint : 0
; COMPUTE_PGM_RSRC2:SCRATCH_EN: 0
; COMPUTE_PGM_RSRC2:USER_SGPR: 15
; COMPUTE_PGM_RSRC2:TRAP_HANDLER: 0
; COMPUTE_PGM_RSRC2:TGID_X_EN: 1
; COMPUTE_PGM_RSRC2:TGID_Y_EN: 0
; COMPUTE_PGM_RSRC2:TGID_Z_EN: 0
; COMPUTE_PGM_RSRC2:TIDIG_COMP_CNT: 1
	.section	.text._ZL18rocblas_dot_kernelIlLb1ELi1024ELi32ELb1E19rocblas_complex_numIfEPKS1_S1_EviT5_lT_lS4_lS5_liPT6_PT4_,"axG",@progbits,_ZL18rocblas_dot_kernelIlLb1ELi1024ELi32ELb1E19rocblas_complex_numIfEPKS1_S1_EviT5_lT_lS4_lS5_liPT6_PT4_,comdat
	.globl	_ZL18rocblas_dot_kernelIlLb1ELi1024ELi32ELb1E19rocblas_complex_numIfEPKS1_S1_EviT5_lT_lS4_lS5_liPT6_PT4_ ; -- Begin function _ZL18rocblas_dot_kernelIlLb1ELi1024ELi32ELb1E19rocblas_complex_numIfEPKS1_S1_EviT5_lT_lS4_lS5_liPT6_PT4_
	.p2align	8
	.type	_ZL18rocblas_dot_kernelIlLb1ELi1024ELi32ELb1E19rocblas_complex_numIfEPKS1_S1_EviT5_lT_lS4_lS5_liPT6_PT4_,@function
_ZL18rocblas_dot_kernelIlLb1ELi1024ELi32ELb1E19rocblas_complex_numIfEPKS1_S1_EviT5_lT_lS4_lS5_liPT6_PT4_: ; @_ZL18rocblas_dot_kernelIlLb1ELi1024ELi32ELb1E19rocblas_complex_numIfEPKS1_S1_EviT5_lT_lS4_lS5_liPT6_PT4_
; %bb.0:
	s_clause 0x1
	s_load_b32 s18, s[0:1], 0x0
	s_load_b64 s[2:3], s[0:1], 0x58
	v_dual_mov_b32 v6, 0 :: v_dual_mov_b32 v7, 0
	s_mov_b32 s16, s15
	s_mov_b32 s17, 0
	s_mov_b32 s19, exec_lo
	s_waitcnt lgkmcnt(0)
	v_cmpx_gt_i32_e64 s18, v0
	s_cbranch_execz .LBB120_4
; %bb.1:
	s_clause 0x4
	s_load_b32 s24, s[0:1], 0x60
	s_load_b256 s[4:11], s[0:1], 0x20
	s_load_b128 s[12:15], s[0:1], 0x10
	s_load_b64 s[20:21], s[0:1], 0x40
	s_load_b64 s[22:23], s[0:1], 0x8
	s_waitcnt lgkmcnt(0)
	s_lshl_b32 s1, s24, 10
	v_mad_u64_u32 v[3:4], null, s10, v0, 0
	v_mad_u64_u32 v[1:2], null, s14, v0, 0
	v_or_b32_e32 v5, s1, v0
	s_mul_i32 s0, s5, s16
	s_mul_hi_u32 s5, s4, s16
	s_mul_i32 s4, s4, s16
	s_add_i32 s5, s5, s0
	s_lshl_b64 s[12:13], s[12:13], 3
	s_delay_alu instid0(VALU_DEP_2)
	v_mad_u64_u32 v[6:7], null, s15, v0, v[2:3]
	s_lshl_b64 s[4:5], s[4:5], 3
	s_add_u32 s12, s22, s12
	s_addc_u32 s13, s23, s13
	s_add_u32 s22, s12, s4
	s_addc_u32 s23, s13, s5
	s_ashr_i32 s4, s1, 31
	s_delay_alu instid0(VALU_DEP_1) | instskip(SKIP_3) | instid1(VALU_DEP_3)
	v_mov_b32_e32 v2, v6
	v_mad_u64_u32 v[6:7], null, s11, v0, v[4:5]
	v_mov_b32_e32 v7, 0
	s_mul_hi_u32 s0, s14, s1
	v_lshlrev_b64 v[1:2], 3, v[1:2]
	s_mul_i32 s5, s14, s4
	s_mul_i32 s21, s21, s16
	s_mul_hi_u32 s25, s20, s16
	s_delay_alu instid0(VALU_DEP_3)
	v_mov_b32_e32 v4, v6
	s_mul_i32 s26, s15, s1
	s_add_i32 s0, s0, s5
	v_add_co_u32 v1, vcc_lo, s22, v1
	s_mul_i32 s20, s20, s16
	s_mul_i32 s24, s14, s1
	s_add_i32 s21, s25, s21
	s_add_i32 s25, s0, s26
	s_lshl_b64 s[8:9], s[8:9], 3
	v_add_co_ci_u32_e32 v2, vcc_lo, s23, v2, vcc_lo
	v_lshlrev_b64 v[3:4], 3, v[3:4]
	s_lshl_b64 s[12:13], s[20:21], 3
	s_mul_i32 s0, s10, s4
	s_lshl_b64 s[4:5], s[24:25], 3
	s_add_u32 s6, s6, s8
	s_addc_u32 s7, s7, s9
	v_add_co_u32 v1, vcc_lo, v1, 4
	s_add_u32 s6, s6, s12
	s_mul_hi_u32 s27, s10, s1
	v_add_co_ci_u32_e32 v2, vcc_lo, 0, v2, vcc_lo
	s_addc_u32 s7, s7, s13
	v_add_co_u32 v3, vcc_lo, s6, v3
	s_add_i32 s0, s27, s0
	s_mul_i32 s8, s11, s1
	v_add_co_ci_u32_e32 v4, vcc_lo, s7, v4, vcc_lo
	v_mov_b32_e32 v6, 0
	s_add_i32 s7, s0, s8
	s_mul_i32 s6, s10, s1
	s_mov_b32 s8, s17
	s_lshl_b64 s[6:7], s[6:7], 3
	s_mov_b32 s9, s17
	.p2align	6
.LBB120_2:                              ; =>This Inner Loop Header: Depth=1
	global_load_b64 v[8:9], v[3:4], off
	global_load_b64 v[10:11], v[1:2], off offset:-4
	v_add_co_u32 v1, s0, v1, s4
	s_delay_alu instid0(VALU_DEP_1)
	v_add_co_ci_u32_e64 v2, s0, s5, v2, s0
	s_add_i32 s10, s9, 1
	v_cmp_le_i32_e32 vcc_lo, s18, v5
	v_add_co_u32 v3, s0, v3, s6
	s_cmp_gt_u32 s9, 30
	v_add_co_ci_u32_e64 v4, s0, s7, v4, s0
	s_cselect_b32 s0, -1, 0
	s_mov_b32 s9, s10
	s_or_b32 s0, s0, vcc_lo
	s_delay_alu instid0(SALU_CYCLE_1) | instskip(NEXT) | instid1(SALU_CYCLE_1)
	s_and_b32 s0, exec_lo, s0
	s_or_b32 s8, s0, s8
	s_waitcnt vmcnt(0)
	v_mul_f32_e32 v12, v11, v9
	v_mul_f32_e32 v11, v11, v8
	s_delay_alu instid0(VALU_DEP_2) | instskip(NEXT) | instid1(VALU_DEP_2)
	v_dual_fmac_f32 v12, v10, v8 :: v_dual_add_nc_u32 v5, s1, v5
	v_fma_f32 v8, v10, v9, -v11
	s_delay_alu instid0(VALU_DEP_2) | instskip(NEXT) | instid1(VALU_DEP_2)
	v_add_f32_e32 v7, v7, v12
	v_add_f32_e32 v6, v6, v8
	s_and_not1_b32 exec_lo, exec_lo, s8
	s_cbranch_execnz .LBB120_2
; %bb.3:
	s_or_b32 exec_lo, exec_lo, s8
.LBB120_4:
	s_delay_alu instid0(SALU_CYCLE_1) | instskip(SKIP_2) | instid1(VALU_DEP_2)
	s_or_b32 exec_lo, exec_lo, s19
	v_and_b32_e32 v1, 31, v0
	v_cmp_gt_u32_e32 vcc_lo, 32, v0
	v_lshlrev_b32_e32 v3, 3, v1
	s_and_saveexec_b32 s0, vcc_lo
	s_cbranch_execz .LBB120_6
; %bb.5:
	v_mov_b32_e32 v4, 0
	s_delay_alu instid0(VALU_DEP_1)
	v_mov_b32_e32 v5, v4
	ds_store_b64 v3, v[4:5]
.LBB120_6:
	s_or_b32 exec_lo, exec_lo, s0
	v_mbcnt_lo_u32_b32 v2, -1, 0
	s_mov_b32 s1, exec_lo
	s_waitcnt lgkmcnt(0)
	s_barrier
	buffer_gl0_inv
	v_cmp_gt_u32_e64 s0, 16, v2
	s_delay_alu instid0(VALU_DEP_1) | instskip(SKIP_1) | instid1(VALU_DEP_2)
	v_cndmask_b32_e64 v4, 0, 1, s0
	v_cmp_gt_u32_e64 s0, 24, v2
	v_lshlrev_b32_e32 v4, 4, v4
	s_delay_alu instid0(VALU_DEP_2) | instskip(SKIP_1) | instid1(VALU_DEP_3)
	v_cndmask_b32_e64 v5, 0, 1, s0
	v_cmp_gt_u32_e64 s0, 28, v2
	v_add_lshl_u32 v4, v4, v2, 2
	ds_bpermute_b32 v8, v4, v7
	ds_bpermute_b32 v9, v4, v6
	s_waitcnt lgkmcnt(0)
	v_dual_add_f32 v7, v7, v8 :: v_dual_add_f32 v8, v6, v9
	v_lshlrev_b32_e32 v5, 3, v5
	v_cndmask_b32_e64 v6, 0, 1, s0
	v_cmp_gt_u32_e64 s0, 30, v2
	s_delay_alu instid0(VALU_DEP_3) | instskip(NEXT) | instid1(VALU_DEP_3)
	v_add_lshl_u32 v5, v5, v2, 2
	v_lshlrev_b32_e32 v6, 2, v6
	ds_bpermute_b32 v9, v5, v7
	ds_bpermute_b32 v10, v5, v8
	v_add_lshl_u32 v6, v6, v2, 2
	s_waitcnt lgkmcnt(0)
	v_dual_add_f32 v9, v7, v9 :: v_dual_add_f32 v8, v8, v10
	v_cndmask_b32_e64 v7, 0, 1, s0
	v_cmp_ne_u32_e64 s0, 31, v2
	ds_bpermute_b32 v10, v6, v9
	ds_bpermute_b32 v11, v6, v8
	v_lshlrev_b32_e32 v7, 1, v7
	s_delay_alu instid0(VALU_DEP_1) | instskip(SKIP_3) | instid1(VALU_DEP_2)
	v_add_lshl_u32 v7, v7, v2, 2
	v_add_co_ci_u32_e64 v2, s0, 0, v2, s0
	s_waitcnt lgkmcnt(0)
	v_dual_add_f32 v9, v9, v10 :: v_dual_add_f32 v10, v8, v11
	v_lshlrev_b32_e32 v8, 2, v2
	ds_bpermute_b32 v11, v7, v9
	ds_bpermute_b32 v12, v7, v10
	s_waitcnt lgkmcnt(0)
	v_dual_add_f32 v2, v9, v11 :: v_dual_add_f32 v9, v10, v12
	ds_bpermute_b32 v10, v8, v2
	ds_bpermute_b32 v11, v8, v9
	v_cmpx_eq_u32_e32 0, v1
	s_cbranch_execz .LBB120_8
; %bb.7:
	v_lshrrev_b32_e32 v12, 2, v0
	s_waitcnt lgkmcnt(0)
	v_dual_add_f32 v1, v2, v10 :: v_dual_add_f32 v2, v9, v11
	s_delay_alu instid0(VALU_DEP_2)
	v_and_b32_e32 v9, 0xf8, v12
	ds_store_b64 v9, v[1:2]
.LBB120_8:
	s_or_b32 exec_lo, exec_lo, s1
	v_dual_mov_b32 v2, 0 :: v_dual_mov_b32 v1, 0
	s_waitcnt lgkmcnt(0)
	s_barrier
	buffer_gl0_inv
	s_and_saveexec_b32 s0, vcc_lo
	s_cbranch_execz .LBB120_10
; %bb.9:
	ds_load_b64 v[1:2], v3
.LBB120_10:
	s_or_b32 exec_lo, exec_lo, s0
	s_and_saveexec_b32 s0, vcc_lo
	s_cbranch_execz .LBB120_12
; %bb.11:
	s_waitcnt lgkmcnt(0)
	ds_bpermute_b32 v3, v4, v1
	ds_bpermute_b32 v4, v4, v2
	s_waitcnt lgkmcnt(0)
	v_dual_add_f32 v1, v1, v3 :: v_dual_add_f32 v2, v2, v4
	ds_bpermute_b32 v3, v5, v1
	ds_bpermute_b32 v4, v5, v2
	s_waitcnt lgkmcnt(0)
	v_dual_add_f32 v1, v1, v3 :: v_dual_add_f32 v2, v2, v4
	;; [unrolled: 4-line block ×5, first 2 shown]
.LBB120_12:
	s_or_b32 exec_lo, exec_lo, s0
	s_delay_alu instid0(SALU_CYCLE_1)
	s_mov_b32 s0, exec_lo
	v_cmpx_eq_u32_e32 0, v0
	s_cbranch_execz .LBB120_14
; %bb.13:
	s_lshl_b64 s[0:1], s[16:17], 3
	v_mov_b32_e32 v0, 0
	s_add_u32 s0, s2, s0
	s_addc_u32 s1, s3, s1
	s_waitcnt lgkmcnt(0)
	global_store_b64 v0, v[1:2], s[0:1]
.LBB120_14:
	s_nop 0
	s_sendmsg sendmsg(MSG_DEALLOC_VGPRS)
	s_endpgm
	.section	.rodata,"a",@progbits
	.p2align	6, 0x0
	.amdhsa_kernel _ZL18rocblas_dot_kernelIlLb1ELi1024ELi32ELb1E19rocblas_complex_numIfEPKS1_S1_EviT5_lT_lS4_lS5_liPT6_PT4_
		.amdhsa_group_segment_fixed_size 256
		.amdhsa_private_segment_fixed_size 0
		.amdhsa_kernarg_size 352
		.amdhsa_user_sgpr_count 14
		.amdhsa_user_sgpr_dispatch_ptr 0
		.amdhsa_user_sgpr_queue_ptr 0
		.amdhsa_user_sgpr_kernarg_segment_ptr 1
		.amdhsa_user_sgpr_dispatch_id 0
		.amdhsa_user_sgpr_private_segment_size 0
		.amdhsa_wavefront_size32 1
		.amdhsa_uses_dynamic_stack 0
		.amdhsa_enable_private_segment 0
		.amdhsa_system_sgpr_workgroup_id_x 1
		.amdhsa_system_sgpr_workgroup_id_y 0
		.amdhsa_system_sgpr_workgroup_id_z 1
		.amdhsa_system_sgpr_workgroup_info 0
		.amdhsa_system_vgpr_workitem_id 0
		.amdhsa_next_free_vgpr 13
		.amdhsa_next_free_sgpr 28
		.amdhsa_reserve_vcc 1
		.amdhsa_float_round_mode_32 0
		.amdhsa_float_round_mode_16_64 0
		.amdhsa_float_denorm_mode_32 3
		.amdhsa_float_denorm_mode_16_64 3
		.amdhsa_dx10_clamp 1
		.amdhsa_ieee_mode 1
		.amdhsa_fp16_overflow 0
		.amdhsa_workgroup_processor_mode 1
		.amdhsa_memory_ordered 1
		.amdhsa_forward_progress 0
		.amdhsa_shared_vgpr_count 0
		.amdhsa_exception_fp_ieee_invalid_op 0
		.amdhsa_exception_fp_denorm_src 0
		.amdhsa_exception_fp_ieee_div_zero 0
		.amdhsa_exception_fp_ieee_overflow 0
		.amdhsa_exception_fp_ieee_underflow 0
		.amdhsa_exception_fp_ieee_inexact 0
		.amdhsa_exception_int_div_zero 0
	.end_amdhsa_kernel
	.section	.text._ZL18rocblas_dot_kernelIlLb1ELi1024ELi32ELb1E19rocblas_complex_numIfEPKS1_S1_EviT5_lT_lS4_lS5_liPT6_PT4_,"axG",@progbits,_ZL18rocblas_dot_kernelIlLb1ELi1024ELi32ELb1E19rocblas_complex_numIfEPKS1_S1_EviT5_lT_lS4_lS5_liPT6_PT4_,comdat
.Lfunc_end120:
	.size	_ZL18rocblas_dot_kernelIlLb1ELi1024ELi32ELb1E19rocblas_complex_numIfEPKS1_S1_EviT5_lT_lS4_lS5_liPT6_PT4_, .Lfunc_end120-_ZL18rocblas_dot_kernelIlLb1ELi1024ELi32ELb1E19rocblas_complex_numIfEPKS1_S1_EviT5_lT_lS4_lS5_liPT6_PT4_
                                        ; -- End function
	.section	.AMDGPU.csdata,"",@progbits
; Kernel info:
; codeLenInByte = 1176
; NumSgprs: 30
; NumVgprs: 13
; ScratchSize: 0
; MemoryBound: 0
; FloatMode: 240
; IeeeMode: 1
; LDSByteSize: 256 bytes/workgroup (compile time only)
; SGPRBlocks: 3
; VGPRBlocks: 1
; NumSGPRsForWavesPerEU: 30
; NumVGPRsForWavesPerEU: 13
; Occupancy: 16
; WaveLimiterHint : 0
; COMPUTE_PGM_RSRC2:SCRATCH_EN: 0
; COMPUTE_PGM_RSRC2:USER_SGPR: 14
; COMPUTE_PGM_RSRC2:TRAP_HANDLER: 0
; COMPUTE_PGM_RSRC2:TGID_X_EN: 1
; COMPUTE_PGM_RSRC2:TGID_Y_EN: 0
; COMPUTE_PGM_RSRC2:TGID_Z_EN: 1
; COMPUTE_PGM_RSRC2:TIDIG_COMP_CNT: 0
	.section	.text._ZL24rocblas_dot_kernel_magsqIlLb1ELi1024ELi32ELb1E19rocblas_complex_numIfEPKS1_S1_EviT5_lT_liPT6_PT4_,"axG",@progbits,_ZL24rocblas_dot_kernel_magsqIlLb1ELi1024ELi32ELb1E19rocblas_complex_numIfEPKS1_S1_EviT5_lT_liPT6_PT4_,comdat
	.globl	_ZL24rocblas_dot_kernel_magsqIlLb1ELi1024ELi32ELb1E19rocblas_complex_numIfEPKS1_S1_EviT5_lT_liPT6_PT4_ ; -- Begin function _ZL24rocblas_dot_kernel_magsqIlLb1ELi1024ELi32ELb1E19rocblas_complex_numIfEPKS1_S1_EviT5_lT_liPT6_PT4_
	.p2align	8
	.type	_ZL24rocblas_dot_kernel_magsqIlLb1ELi1024ELi32ELb1E19rocblas_complex_numIfEPKS1_S1_EviT5_lT_liPT6_PT4_,@function
_ZL24rocblas_dot_kernel_magsqIlLb1ELi1024ELi32ELb1E19rocblas_complex_numIfEPKS1_S1_EviT5_lT_liPT6_PT4_: ; @_ZL24rocblas_dot_kernel_magsqIlLb1ELi1024ELi32ELb1E19rocblas_complex_numIfEPKS1_S1_EviT5_lT_liPT6_PT4_
; %bb.0:
	s_clause 0x1
	s_load_b32 s10, s[0:1], 0x0
	s_load_b64 s[2:3], s[0:1], 0x38
	v_dual_mov_b32 v3, 0 :: v_dual_mov_b32 v4, 0
	s_mov_b32 s8, s15
	s_mov_b32 s9, 0
	s_mov_b32 s11, exec_lo
	s_waitcnt lgkmcnt(0)
	v_cmpx_gt_i32_e64 s10, v0
	s_cbranch_execz .LBB121_4
; %bb.1:
	s_clause 0x3
	s_load_b128 s[4:7], s[0:1], 0x10
	s_load_b32 s16, s[0:1], 0x40
	s_load_b64 s[12:13], s[0:1], 0x20
	s_load_b64 s[14:15], s[0:1], 0x8
	v_mov_b32_e32 v3, 0
	s_waitcnt lgkmcnt(0)
	v_mad_u64_u32 v[1:2], null, s6, v0, 0
	s_mul_i32 s0, s13, s8
	s_mul_hi_u32 s13, s12, s8
	s_mul_i32 s12, s12, s8
	s_add_i32 s13, s13, s0
	s_lshl_b64 s[4:5], s[4:5], 3
	s_lshl_b32 s1, s16, 10
	s_delay_alu instid0(VALU_DEP_1)
	v_mad_u64_u32 v[4:5], null, s7, v0, v[2:3]
	s_lshl_b64 s[12:13], s[12:13], 3
	s_add_u32 s0, s14, s4
	s_addc_u32 s4, s15, s5
	s_add_u32 s0, s0, s12
	s_addc_u32 s12, s4, s13
	s_ashr_i32 s4, s1, 31
	s_delay_alu instid0(VALU_DEP_1)
	v_mov_b32_e32 v2, v4
	s_mul_hi_u32 s5, s6, s1
	s_mul_i32 s4, s6, s4
	s_mul_i32 s7, s7, s1
	s_add_i32 s5, s5, s4
	v_lshlrev_b64 v[1:2], 3, v[1:2]
	v_or_b32_e32 v5, s1, v0
	v_mov_b32_e32 v4, 0
	s_mul_i32 s4, s6, s1
	s_add_i32 s5, s5, s7
	s_mov_b32 s6, s9
	v_add_co_u32 v1, vcc_lo, s0, v1
	v_add_co_ci_u32_e32 v2, vcc_lo, s12, v2, vcc_lo
	s_lshl_b64 s[4:5], s[4:5], 3
	s_mov_b32 s7, s9
	.p2align	6
.LBB121_2:                              ; =>This Inner Loop Header: Depth=1
	global_load_b64 v[6:7], v[1:2], off
	v_cmp_le_i32_e32 vcc_lo, s10, v5
	v_add_nc_u32_e32 v5, s1, v5
	s_add_i32 s12, s7, 1
	v_add_co_u32 v1, s0, v1, s4
	s_cmp_gt_u32 s7, 30
	v_add_co_ci_u32_e64 v2, s0, s5, v2, s0
	s_cselect_b32 s0, -1, 0
	s_mov_b32 s7, s12
	s_or_b32 s0, s0, vcc_lo
	s_delay_alu instid0(SALU_CYCLE_1) | instskip(NEXT) | instid1(SALU_CYCLE_1)
	s_and_b32 s0, exec_lo, s0
	s_or_b32 s6, s0, s6
	s_waitcnt vmcnt(0)
	v_mul_f32_e32 v8, v7, v7
	s_delay_alu instid0(VALU_DEP_1) | instskip(NEXT) | instid1(VALU_DEP_1)
	v_fmac_f32_e32 v8, v6, v6
	v_dual_mul_f32 v9, v6, v7 :: v_dual_add_f32 v4, v4, v8
	s_delay_alu instid0(VALU_DEP_1) | instskip(NEXT) | instid1(VALU_DEP_1)
	v_fma_f32 v6, v6, v7, -v9
	v_add_f32_e32 v3, v3, v6
	s_and_not1_b32 exec_lo, exec_lo, s6
	s_cbranch_execnz .LBB121_2
; %bb.3:
	s_or_b32 exec_lo, exec_lo, s6
.LBB121_4:
	s_delay_alu instid0(SALU_CYCLE_1) | instskip(SKIP_2) | instid1(VALU_DEP_2)
	s_or_b32 exec_lo, exec_lo, s11
	v_and_b32_e32 v1, 31, v0
	v_cmp_gt_u32_e32 vcc_lo, 32, v0
	v_lshlrev_b32_e32 v5, 3, v1
	s_and_saveexec_b32 s0, vcc_lo
	s_cbranch_execz .LBB121_6
; %bb.5:
	v_mov_b32_e32 v6, 0
	s_delay_alu instid0(VALU_DEP_1)
	v_mov_b32_e32 v7, v6
	ds_store_b64 v5, v[6:7]
.LBB121_6:
	s_or_b32 exec_lo, exec_lo, s0
	v_mbcnt_lo_u32_b32 v2, -1, 0
	s_mov_b32 s1, exec_lo
	s_waitcnt lgkmcnt(0)
	s_barrier
	buffer_gl0_inv
	v_cmp_gt_u32_e64 s0, 16, v2
	s_delay_alu instid0(VALU_DEP_1) | instskip(SKIP_1) | instid1(VALU_DEP_2)
	v_cndmask_b32_e64 v6, 0, 1, s0
	v_cmp_gt_u32_e64 s0, 24, v2
	v_lshlrev_b32_e32 v6, 4, v6
	s_delay_alu instid0(VALU_DEP_2) | instskip(SKIP_1) | instid1(VALU_DEP_3)
	v_cndmask_b32_e64 v7, 0, 1, s0
	v_cmp_gt_u32_e64 s0, 28, v2
	v_add_lshl_u32 v6, v6, v2, 2
	ds_bpermute_b32 v8, v6, v4
	ds_bpermute_b32 v9, v6, v3
	s_waitcnt lgkmcnt(1)
	v_dual_add_f32 v4, v4, v8 :: v_dual_lshlrev_b32 v7, 3, v7
	s_delay_alu instid0(VALU_DEP_1)
	v_add_lshl_u32 v7, v7, v2, 2
	s_waitcnt lgkmcnt(0)
	v_add_f32_e32 v8, v3, v9
	v_cndmask_b32_e64 v3, 0, 1, s0
	v_cmp_gt_u32_e64 s0, 30, v2
	ds_bpermute_b32 v9, v7, v4
	v_lshlrev_b32_e32 v3, 2, v3
	ds_bpermute_b32 v10, v7, v8
	v_add_lshl_u32 v3, v3, v2, 2
	s_waitcnt lgkmcnt(1)
	v_add_f32_e32 v9, v4, v9
	v_cndmask_b32_e64 v4, 0, 1, s0
	v_cmp_ne_u32_e64 s0, 31, v2
	s_waitcnt lgkmcnt(0)
	v_add_f32_e32 v8, v8, v10
	ds_bpermute_b32 v10, v3, v9
	v_lshlrev_b32_e32 v4, 1, v4
	ds_bpermute_b32 v11, v3, v8
	s_waitcnt lgkmcnt(1)
	v_add_f32_e32 v9, v9, v10
	v_add_lshl_u32 v4, v4, v2, 2
	v_add_co_ci_u32_e64 v2, s0, 0, v2, s0
	s_waitcnt lgkmcnt(0)
	v_add_f32_e32 v10, v8, v11
	ds_bpermute_b32 v11, v4, v9
	v_lshlrev_b32_e32 v8, 2, v2
	ds_bpermute_b32 v12, v4, v10
	s_waitcnt lgkmcnt(0)
	v_dual_add_f32 v2, v9, v11 :: v_dual_add_f32 v9, v10, v12
	ds_bpermute_b32 v10, v8, v2
	ds_bpermute_b32 v11, v8, v9
	v_cmpx_eq_u32_e32 0, v1
	s_cbranch_execz .LBB121_8
; %bb.7:
	v_lshrrev_b32_e32 v12, 2, v0
	s_waitcnt lgkmcnt(0)
	v_dual_add_f32 v1, v2, v10 :: v_dual_add_f32 v2, v9, v11
	s_delay_alu instid0(VALU_DEP_2)
	v_and_b32_e32 v9, 0xf8, v12
	ds_store_b64 v9, v[1:2]
.LBB121_8:
	s_or_b32 exec_lo, exec_lo, s1
	v_dual_mov_b32 v2, 0 :: v_dual_mov_b32 v1, 0
	s_waitcnt lgkmcnt(0)
	s_barrier
	buffer_gl0_inv
	s_and_saveexec_b32 s0, vcc_lo
	s_cbranch_execz .LBB121_10
; %bb.9:
	ds_load_b64 v[1:2], v5
.LBB121_10:
	s_or_b32 exec_lo, exec_lo, s0
	s_and_saveexec_b32 s0, vcc_lo
	s_cbranch_execz .LBB121_12
; %bb.11:
	s_waitcnt lgkmcnt(0)
	ds_bpermute_b32 v5, v6, v1
	ds_bpermute_b32 v6, v6, v2
	s_waitcnt lgkmcnt(0)
	v_dual_add_f32 v1, v1, v5 :: v_dual_add_f32 v2, v2, v6
	ds_bpermute_b32 v5, v7, v1
	ds_bpermute_b32 v6, v7, v2
	s_waitcnt lgkmcnt(0)
	v_dual_add_f32 v1, v1, v5 :: v_dual_add_f32 v2, v2, v6
	;; [unrolled: 4-line block ×5, first 2 shown]
.LBB121_12:
	s_or_b32 exec_lo, exec_lo, s0
	s_delay_alu instid0(SALU_CYCLE_1)
	s_mov_b32 s0, exec_lo
	v_cmpx_eq_u32_e32 0, v0
	s_cbranch_execz .LBB121_14
; %bb.13:
	s_lshl_b64 s[0:1], s[8:9], 3
	v_mov_b32_e32 v0, 0
	s_add_u32 s0, s2, s0
	s_addc_u32 s1, s3, s1
	s_waitcnt lgkmcnt(0)
	global_store_b64 v0, v[1:2], s[0:1]
.LBB121_14:
	s_nop 0
	s_sendmsg sendmsg(MSG_DEALLOC_VGPRS)
	s_endpgm
	.section	.rodata,"a",@progbits
	.p2align	6, 0x0
	.amdhsa_kernel _ZL24rocblas_dot_kernel_magsqIlLb1ELi1024ELi32ELb1E19rocblas_complex_numIfEPKS1_S1_EviT5_lT_liPT6_PT4_
		.amdhsa_group_segment_fixed_size 256
		.amdhsa_private_segment_fixed_size 0
		.amdhsa_kernarg_size 320
		.amdhsa_user_sgpr_count 14
		.amdhsa_user_sgpr_dispatch_ptr 0
		.amdhsa_user_sgpr_queue_ptr 0
		.amdhsa_user_sgpr_kernarg_segment_ptr 1
		.amdhsa_user_sgpr_dispatch_id 0
		.amdhsa_user_sgpr_private_segment_size 0
		.amdhsa_wavefront_size32 1
		.amdhsa_uses_dynamic_stack 0
		.amdhsa_enable_private_segment 0
		.amdhsa_system_sgpr_workgroup_id_x 1
		.amdhsa_system_sgpr_workgroup_id_y 0
		.amdhsa_system_sgpr_workgroup_id_z 1
		.amdhsa_system_sgpr_workgroup_info 0
		.amdhsa_system_vgpr_workitem_id 0
		.amdhsa_next_free_vgpr 13
		.amdhsa_next_free_sgpr 17
		.amdhsa_reserve_vcc 1
		.amdhsa_float_round_mode_32 0
		.amdhsa_float_round_mode_16_64 0
		.amdhsa_float_denorm_mode_32 3
		.amdhsa_float_denorm_mode_16_64 3
		.amdhsa_dx10_clamp 1
		.amdhsa_ieee_mode 1
		.amdhsa_fp16_overflow 0
		.amdhsa_workgroup_processor_mode 1
		.amdhsa_memory_ordered 1
		.amdhsa_forward_progress 0
		.amdhsa_shared_vgpr_count 0
		.amdhsa_exception_fp_ieee_invalid_op 0
		.amdhsa_exception_fp_denorm_src 0
		.amdhsa_exception_fp_ieee_div_zero 0
		.amdhsa_exception_fp_ieee_overflow 0
		.amdhsa_exception_fp_ieee_underflow 0
		.amdhsa_exception_fp_ieee_inexact 0
		.amdhsa_exception_int_div_zero 0
	.end_amdhsa_kernel
	.section	.text._ZL24rocblas_dot_kernel_magsqIlLb1ELi1024ELi32ELb1E19rocblas_complex_numIfEPKS1_S1_EviT5_lT_liPT6_PT4_,"axG",@progbits,_ZL24rocblas_dot_kernel_magsqIlLb1ELi1024ELi32ELb1E19rocblas_complex_numIfEPKS1_S1_EviT5_lT_liPT6_PT4_,comdat
.Lfunc_end121:
	.size	_ZL24rocblas_dot_kernel_magsqIlLb1ELi1024ELi32ELb1E19rocblas_complex_numIfEPKS1_S1_EviT5_lT_liPT6_PT4_, .Lfunc_end121-_ZL24rocblas_dot_kernel_magsqIlLb1ELi1024ELi32ELb1E19rocblas_complex_numIfEPKS1_S1_EviT5_lT_liPT6_PT4_
                                        ; -- End function
	.section	.AMDGPU.csdata,"",@progbits
; Kernel info:
; codeLenInByte = 1024
; NumSgprs: 19
; NumVgprs: 13
; ScratchSize: 0
; MemoryBound: 0
; FloatMode: 240
; IeeeMode: 1
; LDSByteSize: 256 bytes/workgroup (compile time only)
; SGPRBlocks: 2
; VGPRBlocks: 1
; NumSGPRsForWavesPerEU: 19
; NumVGPRsForWavesPerEU: 13
; Occupancy: 16
; WaveLimiterHint : 0
; COMPUTE_PGM_RSRC2:SCRATCH_EN: 0
; COMPUTE_PGM_RSRC2:USER_SGPR: 14
; COMPUTE_PGM_RSRC2:TRAP_HANDLER: 0
; COMPUTE_PGM_RSRC2:TGID_X_EN: 1
; COMPUTE_PGM_RSRC2:TGID_Y_EN: 0
; COMPUTE_PGM_RSRC2:TGID_Z_EN: 1
; COMPUTE_PGM_RSRC2:TIDIG_COMP_CNT: 0
	.section	.text._ZL18rocblas_dot_kernelIlLb0ELi512ELi2ELb1E19rocblas_complex_numIfEPKS1_S1_EviT5_lT_lS4_lS5_liPT6_PT4_,"axG",@progbits,_ZL18rocblas_dot_kernelIlLb0ELi512ELi2ELb1E19rocblas_complex_numIfEPKS1_S1_EviT5_lT_lS4_lS5_liPT6_PT4_,comdat
	.globl	_ZL18rocblas_dot_kernelIlLb0ELi512ELi2ELb1E19rocblas_complex_numIfEPKS1_S1_EviT5_lT_lS4_lS5_liPT6_PT4_ ; -- Begin function _ZL18rocblas_dot_kernelIlLb0ELi512ELi2ELb1E19rocblas_complex_numIfEPKS1_S1_EviT5_lT_lS4_lS5_liPT6_PT4_
	.p2align	8
	.type	_ZL18rocblas_dot_kernelIlLb0ELi512ELi2ELb1E19rocblas_complex_numIfEPKS1_S1_EviT5_lT_lS4_lS5_liPT6_PT4_,@function
_ZL18rocblas_dot_kernelIlLb0ELi512ELi2ELb1E19rocblas_complex_numIfEPKS1_S1_EviT5_lT_lS4_lS5_liPT6_PT4_: ; @_ZL18rocblas_dot_kernelIlLb0ELi512ELi2ELb1E19rocblas_complex_numIfEPKS1_S1_EviT5_lT_lS4_lS5_liPT6_PT4_
; %bb.0:
	s_mov_b32 s12, s15
	s_clause 0x1
	s_load_b32 s15, s[0:1], 0x0
	s_load_b32 s3, s[0:1], 0x60
	v_lshl_or_b32 v3, s14, 9, v0
	v_dual_mov_b32 v1, 0 :: v_dual_mov_b32 v2, 0
	s_mov_b32 s13, 0
	s_mov_b32 s2, exec_lo
	s_waitcnt lgkmcnt(0)
	v_cmpx_gt_i32_e64 s15, v3
	s_cbranch_execz .LBB122_4
; %bb.1:
	s_clause 0x3
	s_load_b256 s[4:11], s[0:1], 0x20
	s_load_b64 s[20:21], s[0:1], 0x40
	s_load_b128 s[16:19], s[0:1], 0x10
	s_load_b64 s[22:23], s[0:1], 0x8
	v_ashrrev_i32_e32 v4, 31, v3
	s_waitcnt lgkmcnt(0)
	s_mul_i32 s5, s12, s5
	s_mul_hi_u32 s24, s12, s4
	v_mul_lo_u32 v7, v3, s19
	v_mul_lo_u32 v8, v4, s18
	v_mad_u64_u32 v[1:2], null, v3, s18, 0
	v_mul_lo_u32 v6, v3, s11
	v_mul_lo_u32 v9, v4, s10
	v_mad_u64_u32 v[4:5], null, v3, s10, 0
	s_mul_i32 s4, s12, s4
	s_add_i32 s5, s24, s5
	s_delay_alu instid0(VALU_DEP_4)
	v_add3_u32 v2, v2, v7, v8
	s_lshl_b64 s[4:5], s[4:5], 3
	s_mul_i32 s21, s12, s21
	s_add_u32 s22, s22, s4
	s_addc_u32 s23, s23, s5
	s_lshl_b64 s[4:5], s[16:17], 3
	s_mul_hi_u32 s25, s12, s20
	v_add3_u32 v5, v5, v6, v9
	s_add_u32 s4, s22, s4
	s_mul_i32 s20, s12, s20
	s_addc_u32 s5, s23, s5
	s_add_i32 s21, s25, s21
	v_lshlrev_b64 v[1:2], 3, v[1:2]
	s_lshl_b64 s[16:17], s[20:21], 3
	v_lshlrev_b64 v[3:4], 3, v[4:5]
	s_add_u32 s16, s6, s16
	s_addc_u32 s17, s7, s17
	s_lshl_b64 s[6:7], s[8:9], 3
	v_add_co_u32 v1, vcc_lo, s4, v1
	s_add_u32 s6, s16, s6
	v_add_co_ci_u32_e32 v2, vcc_lo, s5, v2, vcc_lo
	s_addc_u32 s7, s17, s7
	v_add_co_u32 v3, vcc_lo, s6, v3
	v_add_co_ci_u32_e32 v4, vcc_lo, s7, v4, vcc_lo
	global_load_b64 v[1:2], v[1:2], off
	global_load_b64 v[3:4], v[3:4], off
	s_add_i32 s8, s14, s3
	s_waitcnt vmcnt(0)
	v_mul_f32_e32 v5, v2, v4
	v_mul_f32_e32 v2, v2, v3
	s_delay_alu instid0(VALU_DEP_1) | instskip(NEXT) | instid1(VALU_DEP_1)
	v_fma_f32 v2, v1, v4, -v2
	v_dual_add_f32 v2, 0, v2 :: v_dual_fmac_f32 v5, v1, v3
	v_lshl_or_b32 v3, s8, 9, v0
	s_mov_b32 s8, exec_lo
	s_delay_alu instid0(VALU_DEP_2) | instskip(NEXT) | instid1(VALU_DEP_2)
	v_add_f32_e32 v1, 0, v5
	v_cmpx_gt_i32_e64 s15, v3
	s_cbranch_execz .LBB122_3
; %bb.2:
	v_ashrrev_i32_e32 v8, 31, v3
	v_mul_lo_u32 v9, v3, s19
	v_mad_u64_u32 v[4:5], null, v3, s18, 0
	v_mul_lo_u32 v11, v3, s11
	s_delay_alu instid0(VALU_DEP_4) | instskip(SKIP_2) | instid1(VALU_DEP_3)
	v_mul_lo_u32 v10, v8, s18
	v_mad_u64_u32 v[6:7], null, v3, s10, 0
	v_mul_lo_u32 v3, v8, s10
	v_add3_u32 v5, v5, v9, v10
	s_delay_alu instid0(VALU_DEP_2) | instskip(NEXT) | instid1(VALU_DEP_2)
	v_add3_u32 v7, v7, v11, v3
	v_lshlrev_b64 v[3:4], 3, v[4:5]
	s_delay_alu instid0(VALU_DEP_2) | instskip(NEXT) | instid1(VALU_DEP_2)
	v_lshlrev_b64 v[5:6], 3, v[6:7]
	v_add_co_u32 v3, vcc_lo, s4, v3
	s_delay_alu instid0(VALU_DEP_3) | instskip(NEXT) | instid1(VALU_DEP_3)
	v_add_co_ci_u32_e32 v4, vcc_lo, s5, v4, vcc_lo
	v_add_co_u32 v5, vcc_lo, s6, v5
	s_delay_alu instid0(VALU_DEP_4)
	v_add_co_ci_u32_e32 v6, vcc_lo, s7, v6, vcc_lo
	global_load_b64 v[3:4], v[3:4], off
	global_load_b64 v[5:6], v[5:6], off
	s_waitcnt vmcnt(0)
	v_mul_f32_e32 v7, v4, v5
	v_mul_f32_e32 v4, v4, v6
	s_delay_alu instid0(VALU_DEP_2) | instskip(NEXT) | instid1(VALU_DEP_2)
	v_fma_f32 v6, v3, v6, -v7
	v_fmac_f32_e32 v4, v3, v5
	s_delay_alu instid0(VALU_DEP_1)
	v_dual_add_f32 v2, v2, v6 :: v_dual_add_f32 v1, v1, v4
.LBB122_3:
	s_or_b32 exec_lo, exec_lo, s8
.LBB122_4:
	s_delay_alu instid0(SALU_CYCLE_1) | instskip(SKIP_2) | instid1(VALU_DEP_2)
	s_or_b32 exec_lo, exec_lo, s2
	v_and_b32_e32 v8, 31, v0
	v_cmp_gt_u32_e32 vcc_lo, 32, v0
	v_lshlrev_b32_e32 v3, 3, v8
	s_and_saveexec_b32 s2, vcc_lo
	s_cbranch_execz .LBB122_6
; %bb.5:
	v_mov_b32_e32 v4, 0
	s_delay_alu instid0(VALU_DEP_1)
	v_mov_b32_e32 v5, v4
	ds_store_b64 v3, v[4:5]
.LBB122_6:
	s_or_b32 exec_lo, exec_lo, s2
	v_mbcnt_lo_u32_b32 v7, -1, 0
	s_mov_b32 s4, exec_lo
	s_waitcnt lgkmcnt(0)
	s_barrier
	buffer_gl0_inv
	v_cmp_gt_u32_e64 s2, 16, v7
	s_delay_alu instid0(VALU_DEP_1) | instskip(SKIP_1) | instid1(VALU_DEP_2)
	v_cndmask_b32_e64 v4, 0, 1, s2
	v_cmp_gt_u32_e64 s2, 24, v7
	v_lshlrev_b32_e32 v4, 4, v4
	s_delay_alu instid0(VALU_DEP_1)
	v_add_lshl_u32 v4, v4, v7, 2
	ds_bpermute_b32 v5, v4, v1
	ds_bpermute_b32 v6, v4, v2
	v_cndmask_b32_e64 v4, 0, 1, s2
	v_cmp_gt_u32_e64 s2, 28, v7
	s_waitcnt lgkmcnt(1)
	s_delay_alu instid0(VALU_DEP_2) | instskip(NEXT) | instid1(VALU_DEP_2)
	v_dual_add_f32 v1, v1, v5 :: v_dual_lshlrev_b32 v4, 3, v4
	v_cndmask_b32_e64 v5, 0, 1, s2
	s_waitcnt lgkmcnt(0)
	v_add_f32_e32 v2, v2, v6
	v_cmp_gt_u32_e64 s2, 30, v7
	v_add_lshl_u32 v4, v4, v7, 2
	v_lshlrev_b32_e32 v5, 2, v5
	ds_bpermute_b32 v6, v4, v1
	ds_bpermute_b32 v9, v4, v2
	v_add_lshl_u32 v5, v5, v7, 2
	s_waitcnt lgkmcnt(1)
	v_add_f32_e32 v1, v1, v6
	v_cndmask_b32_e64 v6, 0, 1, s2
	v_cmp_ne_u32_e64 s2, 31, v7
	s_delay_alu instid0(VALU_DEP_2) | instskip(NEXT) | instid1(VALU_DEP_1)
	v_lshlrev_b32_e32 v6, 1, v6
	v_add_lshl_u32 v6, v6, v7, 2
	s_delay_alu instid0(VALU_DEP_3)
	v_add_co_ci_u32_e64 v7, s2, 0, v7, s2
	s_waitcnt lgkmcnt(0)
	v_add_f32_e32 v2, v2, v9
	ds_bpermute_b32 v9, v5, v1
	v_lshlrev_b32_e32 v7, 2, v7
	ds_bpermute_b32 v10, v5, v2
	s_waitcnt lgkmcnt(1)
	v_add_f32_e32 v1, v1, v9
	ds_bpermute_b32 v9, v6, v1
	s_waitcnt lgkmcnt(0)
	v_dual_add_f32 v2, v2, v10 :: v_dual_add_f32 v1, v1, v9
	ds_bpermute_b32 v10, v6, v2
	ds_bpermute_b32 v9, v7, v1
	s_waitcnt lgkmcnt(1)
	v_add_f32_e32 v2, v2, v10
	ds_bpermute_b32 v10, v7, v2
	v_cmpx_eq_u32_e32 0, v8
	s_cbranch_execz .LBB122_8
; %bb.7:
	v_lshrrev_b32_e32 v8, 2, v0
	s_waitcnt lgkmcnt(0)
	v_dual_add_f32 v1, v1, v9 :: v_dual_add_f32 v2, v2, v10
	s_delay_alu instid0(VALU_DEP_2)
	v_and_b32_e32 v8, 0x78, v8
	ds_store_b64 v8, v[1:2]
.LBB122_8:
	s_or_b32 exec_lo, exec_lo, s4
	v_dual_mov_b32 v2, 0 :: v_dual_mov_b32 v1, 0
	s_mov_b32 s4, exec_lo
	s_waitcnt lgkmcnt(0)
	s_barrier
	buffer_gl0_inv
	v_cmpx_gt_u32_e32 16, v0
	s_cbranch_execz .LBB122_10
; %bb.9:
	ds_load_b64 v[1:2], v3
.LBB122_10:
	s_or_b32 exec_lo, exec_lo, s4
	s_and_saveexec_b32 s2, vcc_lo
	s_cbranch_execz .LBB122_12
; %bb.11:
	s_waitcnt lgkmcnt(0)
	ds_bpermute_b32 v3, v4, v1
	ds_bpermute_b32 v4, v4, v2
	s_waitcnt lgkmcnt(0)
	v_dual_add_f32 v1, v1, v3 :: v_dual_add_f32 v2, v2, v4
	ds_bpermute_b32 v3, v5, v1
	ds_bpermute_b32 v4, v5, v2
	s_waitcnt lgkmcnt(0)
	v_dual_add_f32 v1, v1, v3 :: v_dual_add_f32 v2, v2, v4
	;; [unrolled: 4-line block ×4, first 2 shown]
.LBB122_12:
	s_or_b32 exec_lo, exec_lo, s2
	s_delay_alu instid0(SALU_CYCLE_1)
	s_mov_b32 s2, exec_lo
	v_cmpx_eq_u32_e32 0, v0
	s_cbranch_execz .LBB122_18
; %bb.13:
	s_cmp_lg_u32 s3, 1
	s_cbranch_scc0 .LBB122_15
; %bb.14:
	s_load_b64 s[4:5], s[0:1], 0x50
	s_mul_hi_u32 s7, s3, s12
	s_mul_i32 s6, s3, s12
	s_mov_b32 s15, 0
	s_lshl_b64 s[2:3], s[6:7], 3
	s_waitcnt lgkmcnt(0)
	s_add_u32 s4, s4, s2
	s_addc_u32 s5, s5, s3
	s_lshl_b64 s[2:3], s[14:15], 3
	s_delay_alu instid0(SALU_CYCLE_1)
	s_add_u32 s2, s4, s2
	s_addc_u32 s3, s5, s3
	s_cbranch_execz .LBB122_16
	s_branch .LBB122_17
.LBB122_15:
                                        ; implicit-def: $sgpr2_sgpr3
.LBB122_16:
	s_load_b64 s[0:1], s[0:1], 0x58
	s_lshl_b64 s[2:3], s[12:13], 3
	s_waitcnt lgkmcnt(0)
	s_add_u32 s2, s0, s2
	s_addc_u32 s3, s1, s3
.LBB122_17:
	v_mov_b32_e32 v0, 0
	s_waitcnt lgkmcnt(0)
	global_store_b64 v0, v[1:2], s[2:3]
.LBB122_18:
	s_nop 0
	s_sendmsg sendmsg(MSG_DEALLOC_VGPRS)
	s_endpgm
	.section	.rodata,"a",@progbits
	.p2align	6, 0x0
	.amdhsa_kernel _ZL18rocblas_dot_kernelIlLb0ELi512ELi2ELb1E19rocblas_complex_numIfEPKS1_S1_EviT5_lT_lS4_lS5_liPT6_PT4_
		.amdhsa_group_segment_fixed_size 256
		.amdhsa_private_segment_fixed_size 0
		.amdhsa_kernarg_size 352
		.amdhsa_user_sgpr_count 14
		.amdhsa_user_sgpr_dispatch_ptr 0
		.amdhsa_user_sgpr_queue_ptr 0
		.amdhsa_user_sgpr_kernarg_segment_ptr 1
		.amdhsa_user_sgpr_dispatch_id 0
		.amdhsa_user_sgpr_private_segment_size 0
		.amdhsa_wavefront_size32 1
		.amdhsa_uses_dynamic_stack 0
		.amdhsa_enable_private_segment 0
		.amdhsa_system_sgpr_workgroup_id_x 1
		.amdhsa_system_sgpr_workgroup_id_y 0
		.amdhsa_system_sgpr_workgroup_id_z 1
		.amdhsa_system_sgpr_workgroup_info 0
		.amdhsa_system_vgpr_workitem_id 0
		.amdhsa_next_free_vgpr 12
		.amdhsa_next_free_sgpr 26
		.amdhsa_reserve_vcc 1
		.amdhsa_float_round_mode_32 0
		.amdhsa_float_round_mode_16_64 0
		.amdhsa_float_denorm_mode_32 3
		.amdhsa_float_denorm_mode_16_64 3
		.amdhsa_dx10_clamp 1
		.amdhsa_ieee_mode 1
		.amdhsa_fp16_overflow 0
		.amdhsa_workgroup_processor_mode 1
		.amdhsa_memory_ordered 1
		.amdhsa_forward_progress 0
		.amdhsa_shared_vgpr_count 0
		.amdhsa_exception_fp_ieee_invalid_op 0
		.amdhsa_exception_fp_denorm_src 0
		.amdhsa_exception_fp_ieee_div_zero 0
		.amdhsa_exception_fp_ieee_overflow 0
		.amdhsa_exception_fp_ieee_underflow 0
		.amdhsa_exception_fp_ieee_inexact 0
		.amdhsa_exception_int_div_zero 0
	.end_amdhsa_kernel
	.section	.text._ZL18rocblas_dot_kernelIlLb0ELi512ELi2ELb1E19rocblas_complex_numIfEPKS1_S1_EviT5_lT_lS4_lS5_liPT6_PT4_,"axG",@progbits,_ZL18rocblas_dot_kernelIlLb0ELi512ELi2ELb1E19rocblas_complex_numIfEPKS1_S1_EviT5_lT_lS4_lS5_liPT6_PT4_,comdat
.Lfunc_end122:
	.size	_ZL18rocblas_dot_kernelIlLb0ELi512ELi2ELb1E19rocblas_complex_numIfEPKS1_S1_EviT5_lT_lS4_lS5_liPT6_PT4_, .Lfunc_end122-_ZL18rocblas_dot_kernelIlLb0ELi512ELi2ELb1E19rocblas_complex_numIfEPKS1_S1_EviT5_lT_lS4_lS5_liPT6_PT4_
                                        ; -- End function
	.section	.AMDGPU.csdata,"",@progbits
; Kernel info:
; codeLenInByte = 1300
; NumSgprs: 28
; NumVgprs: 12
; ScratchSize: 0
; MemoryBound: 0
; FloatMode: 240
; IeeeMode: 1
; LDSByteSize: 256 bytes/workgroup (compile time only)
; SGPRBlocks: 3
; VGPRBlocks: 1
; NumSGPRsForWavesPerEU: 28
; NumVGPRsForWavesPerEU: 12
; Occupancy: 16
; WaveLimiterHint : 0
; COMPUTE_PGM_RSRC2:SCRATCH_EN: 0
; COMPUTE_PGM_RSRC2:USER_SGPR: 14
; COMPUTE_PGM_RSRC2:TRAP_HANDLER: 0
; COMPUTE_PGM_RSRC2:TGID_X_EN: 1
; COMPUTE_PGM_RSRC2:TGID_Y_EN: 0
; COMPUTE_PGM_RSRC2:TGID_Z_EN: 1
; COMPUTE_PGM_RSRC2:TIDIG_COMP_CNT: 0
	.section	.text._ZL24rocblas_dot_kernel_magsqIlLb0ELi512ELi2ELb1E19rocblas_complex_numIfEPKS1_S1_EviT5_lT_liPT6_PT4_,"axG",@progbits,_ZL24rocblas_dot_kernel_magsqIlLb0ELi512ELi2ELb1E19rocblas_complex_numIfEPKS1_S1_EviT5_lT_liPT6_PT4_,comdat
	.globl	_ZL24rocblas_dot_kernel_magsqIlLb0ELi512ELi2ELb1E19rocblas_complex_numIfEPKS1_S1_EviT5_lT_liPT6_PT4_ ; -- Begin function _ZL24rocblas_dot_kernel_magsqIlLb0ELi512ELi2ELb1E19rocblas_complex_numIfEPKS1_S1_EviT5_lT_liPT6_PT4_
	.p2align	8
	.type	_ZL24rocblas_dot_kernel_magsqIlLb0ELi512ELi2ELb1E19rocblas_complex_numIfEPKS1_S1_EviT5_lT_liPT6_PT4_,@function
_ZL24rocblas_dot_kernel_magsqIlLb0ELi512ELi2ELb1E19rocblas_complex_numIfEPKS1_S1_EviT5_lT_liPT6_PT4_: ; @_ZL24rocblas_dot_kernel_magsqIlLb0ELi512ELi2ELb1E19rocblas_complex_numIfEPKS1_S1_EviT5_lT_liPT6_PT4_
; %bb.0:
	s_clause 0x1
	s_load_b32 s10, s[0:1], 0x0
	s_load_b32 s3, s[0:1], 0x40
	v_lshl_or_b32 v3, s14, 9, v0
	v_dual_mov_b32 v1, 0 :: v_dual_mov_b32 v2, 0
	s_mov_b32 s8, s15
	s_mov_b32 s9, 0
	s_mov_b32 s2, exec_lo
	s_waitcnt lgkmcnt(0)
	v_cmpx_gt_i32_e64 s10, v3
	s_cbranch_execz .LBB123_4
; %bb.1:
	s_clause 0x2
	s_load_b128 s[4:7], s[0:1], 0x10
	s_load_b64 s[12:13], s[0:1], 0x20
	s_load_b64 s[16:17], s[0:1], 0x8
	v_ashrrev_i32_e32 v1, 31, v3
	s_waitcnt lgkmcnt(0)
	v_mul_lo_u32 v4, v3, s7
	s_delay_alu instid0(VALU_DEP_2)
	v_mul_lo_u32 v5, v1, s6
	v_mad_u64_u32 v[1:2], null, v3, s6, 0
	s_mul_i32 s11, s8, s13
	s_mul_hi_u32 s13, s8, s12
	s_mul_i32 s12, s8, s12
	s_add_i32 s13, s13, s11
	s_delay_alu instid0(SALU_CYCLE_1) | instskip(NEXT) | instid1(VALU_DEP_1)
	s_lshl_b64 s[12:13], s[12:13], 3
	v_add3_u32 v2, v2, v4, v5
	s_add_u32 s11, s16, s12
	s_addc_u32 s12, s17, s13
	s_lshl_b64 s[4:5], s[4:5], 3
	s_delay_alu instid0(VALU_DEP_1) | instskip(SKIP_3) | instid1(VALU_DEP_1)
	v_lshlrev_b64 v[1:2], 3, v[1:2]
	s_add_u32 s4, s11, s4
	s_addc_u32 s5, s12, s5
	s_add_i32 s11, s14, s3
	v_add_co_u32 v1, vcc_lo, s4, v1
	s_delay_alu instid0(VALU_DEP_2) | instskip(SKIP_3) | instid1(VALU_DEP_1)
	v_add_co_ci_u32_e32 v2, vcc_lo, s5, v2, vcc_lo
	global_load_b64 v[2:3], v[1:2], off
	s_waitcnt vmcnt(0)
	v_mul_f32_e32 v4, v2, v3
	v_fma_f32 v4, v2, v3, -v4
	v_mul_f32_e32 v1, v3, v3
	v_lshl_or_b32 v3, s11, 9, v0
	s_delay_alu instid0(VALU_DEP_2) | instskip(NEXT) | instid1(VALU_DEP_2)
	v_dual_fmac_f32 v1, v2, v2 :: v_dual_add_f32 v2, 0, v4
	v_cmp_gt_i32_e32 vcc_lo, s10, v3
	s_and_saveexec_b32 s10, vcc_lo
	s_cbranch_execz .LBB123_3
; %bb.2:
	v_ashrrev_i32_e32 v6, 31, v3
	v_mul_lo_u32 v7, v3, s7
	v_mad_u64_u32 v[4:5], null, v3, s6, 0
	s_delay_alu instid0(VALU_DEP_3) | instskip(NEXT) | instid1(VALU_DEP_1)
	v_mul_lo_u32 v3, v6, s6
	v_add3_u32 v5, v5, v7, v3
	s_delay_alu instid0(VALU_DEP_1) | instskip(NEXT) | instid1(VALU_DEP_1)
	v_lshlrev_b64 v[3:4], 3, v[4:5]
	v_add_co_u32 v3, vcc_lo, s4, v3
	s_delay_alu instid0(VALU_DEP_2) | instskip(SKIP_4) | instid1(VALU_DEP_2)
	v_add_co_ci_u32_e32 v4, vcc_lo, s5, v4, vcc_lo
	global_load_b64 v[3:4], v[3:4], off
	s_waitcnt vmcnt(0)
	v_mul_f32_e32 v5, v3, v4
	v_mul_f32_e32 v6, v4, v4
	v_fma_f32 v4, v3, v4, -v5
	s_delay_alu instid0(VALU_DEP_2) | instskip(NEXT) | instid1(VALU_DEP_1)
	v_fmac_f32_e32 v6, v3, v3
	v_dual_add_f32 v2, v2, v4 :: v_dual_add_f32 v1, v1, v6
.LBB123_3:
	s_or_b32 exec_lo, exec_lo, s10
.LBB123_4:
	s_delay_alu instid0(SALU_CYCLE_1) | instskip(SKIP_2) | instid1(VALU_DEP_2)
	s_or_b32 exec_lo, exec_lo, s2
	v_and_b32_e32 v8, 31, v0
	v_cmp_gt_u32_e32 vcc_lo, 32, v0
	v_lshlrev_b32_e32 v3, 3, v8
	s_and_saveexec_b32 s2, vcc_lo
	s_cbranch_execz .LBB123_6
; %bb.5:
	v_mov_b32_e32 v4, 0
	s_delay_alu instid0(VALU_DEP_1)
	v_mov_b32_e32 v5, v4
	ds_store_b64 v3, v[4:5]
.LBB123_6:
	s_or_b32 exec_lo, exec_lo, s2
	v_mbcnt_lo_u32_b32 v7, -1, 0
	s_mov_b32 s4, exec_lo
	s_waitcnt lgkmcnt(0)
	s_barrier
	buffer_gl0_inv
	v_cmp_gt_u32_e64 s2, 16, v7
	s_delay_alu instid0(VALU_DEP_1) | instskip(SKIP_1) | instid1(VALU_DEP_2)
	v_cndmask_b32_e64 v4, 0, 1, s2
	v_cmp_gt_u32_e64 s2, 24, v7
	v_lshlrev_b32_e32 v4, 4, v4
	s_delay_alu instid0(VALU_DEP_1)
	v_add_lshl_u32 v4, v4, v7, 2
	ds_bpermute_b32 v5, v4, v1
	ds_bpermute_b32 v6, v4, v2
	v_cndmask_b32_e64 v4, 0, 1, s2
	v_cmp_gt_u32_e64 s2, 28, v7
	s_waitcnt lgkmcnt(1)
	s_delay_alu instid0(VALU_DEP_2) | instskip(NEXT) | instid1(VALU_DEP_2)
	v_dual_add_f32 v1, v1, v5 :: v_dual_lshlrev_b32 v4, 3, v4
	v_cndmask_b32_e64 v5, 0, 1, s2
	s_waitcnt lgkmcnt(0)
	v_add_f32_e32 v2, v2, v6
	v_cmp_gt_u32_e64 s2, 30, v7
	v_add_lshl_u32 v4, v4, v7, 2
	v_lshlrev_b32_e32 v5, 2, v5
	ds_bpermute_b32 v6, v4, v1
	ds_bpermute_b32 v9, v4, v2
	v_add_lshl_u32 v5, v5, v7, 2
	s_waitcnt lgkmcnt(1)
	v_add_f32_e32 v1, v1, v6
	v_cndmask_b32_e64 v6, 0, 1, s2
	v_cmp_ne_u32_e64 s2, 31, v7
	s_delay_alu instid0(VALU_DEP_2) | instskip(NEXT) | instid1(VALU_DEP_1)
	v_lshlrev_b32_e32 v6, 1, v6
	v_add_lshl_u32 v6, v6, v7, 2
	s_delay_alu instid0(VALU_DEP_3)
	v_add_co_ci_u32_e64 v7, s2, 0, v7, s2
	s_waitcnt lgkmcnt(0)
	v_add_f32_e32 v2, v2, v9
	ds_bpermute_b32 v9, v5, v1
	v_lshlrev_b32_e32 v7, 2, v7
	ds_bpermute_b32 v10, v5, v2
	s_waitcnt lgkmcnt(1)
	v_add_f32_e32 v1, v1, v9
	ds_bpermute_b32 v9, v6, v1
	s_waitcnt lgkmcnt(0)
	v_dual_add_f32 v2, v2, v10 :: v_dual_add_f32 v1, v1, v9
	ds_bpermute_b32 v10, v6, v2
	ds_bpermute_b32 v9, v7, v1
	s_waitcnt lgkmcnt(1)
	v_add_f32_e32 v2, v2, v10
	ds_bpermute_b32 v10, v7, v2
	v_cmpx_eq_u32_e32 0, v8
	s_cbranch_execz .LBB123_8
; %bb.7:
	v_lshrrev_b32_e32 v8, 2, v0
	s_waitcnt lgkmcnt(0)
	v_dual_add_f32 v1, v1, v9 :: v_dual_add_f32 v2, v2, v10
	s_delay_alu instid0(VALU_DEP_2)
	v_and_b32_e32 v8, 0x78, v8
	ds_store_b64 v8, v[1:2]
.LBB123_8:
	s_or_b32 exec_lo, exec_lo, s4
	v_dual_mov_b32 v2, 0 :: v_dual_mov_b32 v1, 0
	s_mov_b32 s4, exec_lo
	s_waitcnt lgkmcnt(0)
	s_barrier
	buffer_gl0_inv
	v_cmpx_gt_u32_e32 16, v0
	s_cbranch_execz .LBB123_10
; %bb.9:
	ds_load_b64 v[1:2], v3
.LBB123_10:
	s_or_b32 exec_lo, exec_lo, s4
	s_and_saveexec_b32 s2, vcc_lo
	s_cbranch_execz .LBB123_12
; %bb.11:
	s_waitcnt lgkmcnt(0)
	ds_bpermute_b32 v3, v4, v1
	ds_bpermute_b32 v4, v4, v2
	s_waitcnt lgkmcnt(0)
	v_dual_add_f32 v1, v1, v3 :: v_dual_add_f32 v2, v2, v4
	ds_bpermute_b32 v3, v5, v1
	ds_bpermute_b32 v4, v5, v2
	s_waitcnt lgkmcnt(0)
	v_dual_add_f32 v1, v1, v3 :: v_dual_add_f32 v2, v2, v4
	;; [unrolled: 4-line block ×4, first 2 shown]
.LBB123_12:
	s_or_b32 exec_lo, exec_lo, s2
	s_delay_alu instid0(SALU_CYCLE_1)
	s_mov_b32 s2, exec_lo
	v_cmpx_eq_u32_e32 0, v0
	s_cbranch_execz .LBB123_18
; %bb.13:
	s_cmp_lg_u32 s3, 1
	s_cbranch_scc0 .LBB123_15
; %bb.14:
	s_load_b64 s[4:5], s[0:1], 0x30
	s_mul_hi_u32 s7, s3, s8
	s_mul_i32 s6, s3, s8
	s_mov_b32 s15, 0
	s_lshl_b64 s[2:3], s[6:7], 3
	s_waitcnt lgkmcnt(0)
	s_add_u32 s4, s4, s2
	s_addc_u32 s5, s5, s3
	s_lshl_b64 s[2:3], s[14:15], 3
	s_delay_alu instid0(SALU_CYCLE_1)
	s_add_u32 s2, s4, s2
	s_addc_u32 s3, s5, s3
	s_cbranch_execz .LBB123_16
	s_branch .LBB123_17
.LBB123_15:
                                        ; implicit-def: $sgpr2_sgpr3
.LBB123_16:
	s_load_b64 s[0:1], s[0:1], 0x38
	s_lshl_b64 s[2:3], s[8:9], 3
	s_waitcnt lgkmcnt(0)
	s_add_u32 s2, s0, s2
	s_addc_u32 s3, s1, s3
.LBB123_17:
	v_mov_b32_e32 v0, 0
	s_waitcnt lgkmcnt(0)
	global_store_b64 v0, v[1:2], s[2:3]
.LBB123_18:
	s_nop 0
	s_sendmsg sendmsg(MSG_DEALLOC_VGPRS)
	s_endpgm
	.section	.rodata,"a",@progbits
	.p2align	6, 0x0
	.amdhsa_kernel _ZL24rocblas_dot_kernel_magsqIlLb0ELi512ELi2ELb1E19rocblas_complex_numIfEPKS1_S1_EviT5_lT_liPT6_PT4_
		.amdhsa_group_segment_fixed_size 256
		.amdhsa_private_segment_fixed_size 0
		.amdhsa_kernarg_size 320
		.amdhsa_user_sgpr_count 14
		.amdhsa_user_sgpr_dispatch_ptr 0
		.amdhsa_user_sgpr_queue_ptr 0
		.amdhsa_user_sgpr_kernarg_segment_ptr 1
		.amdhsa_user_sgpr_dispatch_id 0
		.amdhsa_user_sgpr_private_segment_size 0
		.amdhsa_wavefront_size32 1
		.amdhsa_uses_dynamic_stack 0
		.amdhsa_enable_private_segment 0
		.amdhsa_system_sgpr_workgroup_id_x 1
		.amdhsa_system_sgpr_workgroup_id_y 0
		.amdhsa_system_sgpr_workgroup_id_z 1
		.amdhsa_system_sgpr_workgroup_info 0
		.amdhsa_system_vgpr_workitem_id 0
		.amdhsa_next_free_vgpr 11
		.amdhsa_next_free_sgpr 18
		.amdhsa_reserve_vcc 1
		.amdhsa_float_round_mode_32 0
		.amdhsa_float_round_mode_16_64 0
		.amdhsa_float_denorm_mode_32 3
		.amdhsa_float_denorm_mode_16_64 3
		.amdhsa_dx10_clamp 1
		.amdhsa_ieee_mode 1
		.amdhsa_fp16_overflow 0
		.amdhsa_workgroup_processor_mode 1
		.amdhsa_memory_ordered 1
		.amdhsa_forward_progress 0
		.amdhsa_shared_vgpr_count 0
		.amdhsa_exception_fp_ieee_invalid_op 0
		.amdhsa_exception_fp_denorm_src 0
		.amdhsa_exception_fp_ieee_div_zero 0
		.amdhsa_exception_fp_ieee_overflow 0
		.amdhsa_exception_fp_ieee_underflow 0
		.amdhsa_exception_fp_ieee_inexact 0
		.amdhsa_exception_int_div_zero 0
	.end_amdhsa_kernel
	.section	.text._ZL24rocblas_dot_kernel_magsqIlLb0ELi512ELi2ELb1E19rocblas_complex_numIfEPKS1_S1_EviT5_lT_liPT6_PT4_,"axG",@progbits,_ZL24rocblas_dot_kernel_magsqIlLb0ELi512ELi2ELb1E19rocblas_complex_numIfEPKS1_S1_EviT5_lT_liPT6_PT4_,comdat
.Lfunc_end123:
	.size	_ZL24rocblas_dot_kernel_magsqIlLb0ELi512ELi2ELb1E19rocblas_complex_numIfEPKS1_S1_EviT5_lT_liPT6_PT4_, .Lfunc_end123-_ZL24rocblas_dot_kernel_magsqIlLb0ELi512ELi2ELb1E19rocblas_complex_numIfEPKS1_S1_EviT5_lT_liPT6_PT4_
                                        ; -- End function
	.section	.AMDGPU.csdata,"",@progbits
; Kernel info:
; codeLenInByte = 1120
; NumSgprs: 20
; NumVgprs: 11
; ScratchSize: 0
; MemoryBound: 0
; FloatMode: 240
; IeeeMode: 1
; LDSByteSize: 256 bytes/workgroup (compile time only)
; SGPRBlocks: 2
; VGPRBlocks: 1
; NumSGPRsForWavesPerEU: 20
; NumVGPRsForWavesPerEU: 11
; Occupancy: 16
; WaveLimiterHint : 0
; COMPUTE_PGM_RSRC2:SCRATCH_EN: 0
; COMPUTE_PGM_RSRC2:USER_SGPR: 14
; COMPUTE_PGM_RSRC2:TRAP_HANDLER: 0
; COMPUTE_PGM_RSRC2:TGID_X_EN: 1
; COMPUTE_PGM_RSRC2:TGID_Y_EN: 0
; COMPUTE_PGM_RSRC2:TGID_Z_EN: 1
; COMPUTE_PGM_RSRC2:TIDIG_COMP_CNT: 0
	.section	.text._ZL28rocblas_dot_batched_4_kernelIiLi32ELi4ELb1E19rocblas_complex_numIdES1_PKS1_EviT5_lT_lS4_lS5_liPT4_,"axG",@progbits,_ZL28rocblas_dot_batched_4_kernelIiLi32ELi4ELb1E19rocblas_complex_numIdES1_PKS1_EviT5_lT_lS4_lS5_liPT4_,comdat
	.globl	_ZL28rocblas_dot_batched_4_kernelIiLi32ELi4ELb1E19rocblas_complex_numIdES1_PKS1_EviT5_lT_lS4_lS5_liPT4_ ; -- Begin function _ZL28rocblas_dot_batched_4_kernelIiLi32ELi4ELb1E19rocblas_complex_numIdES1_PKS1_EviT5_lT_lS4_lS5_liPT4_
	.p2align	8
	.type	_ZL28rocblas_dot_batched_4_kernelIiLi32ELi4ELb1E19rocblas_complex_numIdES1_PKS1_EviT5_lT_lS4_lS5_liPT4_,@function
_ZL28rocblas_dot_batched_4_kernelIiLi32ELi4ELb1E19rocblas_complex_numIdES1_PKS1_EviT5_lT_lS4_lS5_liPT4_: ; @_ZL28rocblas_dot_batched_4_kernelIiLi32ELi4ELb1E19rocblas_complex_numIdES1_PKS1_EviT5_lT_lS4_lS5_liPT4_
; %bb.0:
	s_load_b32 s2, s[0:1], 0x48
	v_bfe_u32 v1, v0, 10, 10
	s_delay_alu instid0(VALU_DEP_1) | instskip(SKIP_1) | instid1(VALU_DEP_1)
	v_lshl_add_u32 v1, s15, 2, v1
	s_waitcnt lgkmcnt(0)
	v_cmp_gt_u32_e32 vcc_lo, s2, v1
	s_and_saveexec_b32 s2, vcc_lo
	s_cbranch_execz .LBB124_7
; %bb.1:
	s_clause 0x1
	s_load_b32 s10, s[0:1], 0x0
	s_load_b64 s[8:9], s[0:1], 0x50
	v_dual_mov_b32 v3, 0 :: v_dual_and_b32 v0, 0x3ff, v0
	v_mov_b32_e32 v4, 0
	v_mov_b32_e32 v2, 0
	s_mov_b32 s11, exec_lo
	s_delay_alu instid0(VALU_DEP_2)
	v_dual_mov_b32 v6, v4 :: v_dual_mov_b32 v5, v3
	s_waitcnt lgkmcnt(0)
	v_cmpx_gt_i32_e64 s10, v0
	s_cbranch_execz .LBB124_5
; %bb.2:
	s_clause 0x5
	s_load_b64 s[12:13], s[0:1], 0x40
	s_load_b128 s[4:7], s[0:1], 0x20
	s_load_b32 s14, s[0:1], 0x18
	s_load_b32 s16, s[0:1], 0x38
	s_load_b64 s[18:19], s[0:1], 0x30
	s_load_b128 s[0:3], s[0:1], 0x8
	v_mov_b32_e32 v11, v0
	s_waitcnt lgkmcnt(0)
	v_mad_u64_u32 v[5:6], null, s12, v1, 0
	v_mad_u64_u32 v[7:8], null, s4, v1, 0
	v_mad_i64_i32 v[9:10], null, s16, v0, 0
	s_ashr_i32 s15, s14, 31
	s_ashr_i32 s17, s16, 31
	s_delay_alu instid0(VALU_DEP_2) | instskip(NEXT) | instid1(VALU_DEP_2)
	v_mad_u64_u32 v[12:13], null, s13, v1, v[6:7]
	v_mad_u64_u32 v[13:14], null, s5, v1, v[8:9]
	v_mov_b32_e32 v3, 0
	v_mad_i64_i32 v[14:15], null, s14, v0, 0
	v_mov_b32_e32 v4, 0
	v_mov_b32_e32 v6, v12
	v_lshlrev_b64 v[9:10], 4, v[9:10]
	v_mov_b32_e32 v8, v13
	s_lshl_b64 s[12:13], s[18:19], 4
	s_delay_alu instid0(VALU_DEP_3) | instskip(SKIP_1) | instid1(VALU_DEP_3)
	v_lshlrev_b64 v[5:6], 4, v[5:6]
	v_lshlrev_b64 v[12:13], 4, v[14:15]
	;; [unrolled: 1-line block ×3, first 2 shown]
	s_add_u32 s6, s6, s12
	s_addc_u32 s7, s7, s13
	s_lshl_b64 s[2:3], s[2:3], 4
	v_add_co_u32 v5, vcc_lo, v9, v5
	v_add_co_ci_u32_e32 v6, vcc_lo, v10, v6, vcc_lo
	v_add_co_u32 v7, vcc_lo, v12, v7
	v_add_co_ci_u32_e32 v8, vcc_lo, v13, v8, vcc_lo
	s_lshl_b64 s[4:5], s[16:17], 9
	v_add_co_u32 v5, vcc_lo, s6, v5
	s_add_u32 s0, s0, s2
	v_add_co_ci_u32_e32 v6, vcc_lo, s7, v6, vcc_lo
	s_addc_u32 s1, s1, s3
	v_add_co_u32 v9, vcc_lo, s0, v7
	v_add_co_ci_u32_e32 v10, vcc_lo, s1, v8, vcc_lo
	v_add_co_u32 v7, vcc_lo, v5, 8
	v_add_co_ci_u32_e32 v8, vcc_lo, 0, v6, vcc_lo
	s_delay_alu instid0(VALU_DEP_4)
	v_add_co_u32 v9, vcc_lo, v9, 8
	v_dual_mov_b32 v6, v4 :: v_dual_mov_b32 v5, v3
	v_add_co_ci_u32_e32 v10, vcc_lo, 0, v10, vcc_lo
	s_lshl_b64 s[2:3], s[14:15], 9
	s_mov_b32 s1, 0
	.p2align	6
.LBB124_3:                              ; =>This Inner Loop Header: Depth=1
	global_load_b128 v[12:15], v[9:10], off offset:-8
	global_load_b128 v[16:19], v[7:8], off offset:-8
	v_add_nc_u32_e32 v11, 32, v11
	v_add_co_u32 v7, vcc_lo, v7, s4
	v_add_co_ci_u32_e32 v8, vcc_lo, s5, v8, vcc_lo
	s_delay_alu instid0(VALU_DEP_3) | instskip(SKIP_1) | instid1(VALU_DEP_1)
	v_cmp_le_i32_e32 vcc_lo, s10, v11
	v_add_co_u32 v9, s0, v9, s2
	v_add_co_ci_u32_e64 v10, s0, s3, v10, s0
	s_or_b32 s1, vcc_lo, s1
	s_waitcnt vmcnt(0)
	v_mul_f64 v[20:21], v[14:15], v[18:19]
	v_mul_f64 v[14:15], v[14:15], v[16:17]
	s_delay_alu instid0(VALU_DEP_2) | instskip(NEXT) | instid1(VALU_DEP_2)
	v_fma_f64 v[16:17], v[12:13], v[16:17], v[20:21]
	v_fma_f64 v[12:13], v[12:13], v[18:19], -v[14:15]
	s_delay_alu instid0(VALU_DEP_2) | instskip(NEXT) | instid1(VALU_DEP_2)
	v_add_f64 v[3:4], v[3:4], v[16:17]
	v_add_f64 v[5:6], v[5:6], v[12:13]
	s_and_not1_b32 exec_lo, exec_lo, s1
	s_cbranch_execnz .LBB124_3
; %bb.4:
	s_or_b32 exec_lo, exec_lo, s1
.LBB124_5:
	s_delay_alu instid0(SALU_CYCLE_1)
	s_or_b32 exec_lo, exec_lo, s11
	v_mbcnt_lo_u32_b32 v11, -1, 0
	s_barrier
	buffer_gl0_inv
	v_cmp_gt_u32_e32 vcc_lo, 16, v11
	v_cndmask_b32_e64 v7, 0, 1, vcc_lo
	v_cmp_gt_u32_e32 vcc_lo, 24, v11
	s_delay_alu instid0(VALU_DEP_2) | instskip(NEXT) | instid1(VALU_DEP_1)
	v_lshlrev_b32_e32 v7, 4, v7
	v_add_lshl_u32 v10, v7, v11, 2
	ds_bpermute_b32 v7, v10, v3
	ds_bpermute_b32 v8, v10, v4
	;; [unrolled: 1-line block ×4, first 2 shown]
	s_waitcnt lgkmcnt(2)
	v_add_f64 v[3:4], v[3:4], v[7:8]
	v_cndmask_b32_e64 v7, 0, 1, vcc_lo
	s_waitcnt lgkmcnt(0)
	v_add_f64 v[5:6], v[5:6], v[9:10]
	v_cmp_gt_u32_e32 vcc_lo, 28, v11
	s_delay_alu instid0(VALU_DEP_3) | instskip(NEXT) | instid1(VALU_DEP_1)
	v_lshlrev_b32_e32 v7, 3, v7
	v_add_lshl_u32 v10, v7, v11, 2
	ds_bpermute_b32 v7, v10, v3
	ds_bpermute_b32 v8, v10, v4
	;; [unrolled: 1-line block ×4, first 2 shown]
	s_waitcnt lgkmcnt(2)
	v_add_f64 v[3:4], v[3:4], v[7:8]
	v_cndmask_b32_e64 v7, 0, 1, vcc_lo
	s_waitcnt lgkmcnt(0)
	v_add_f64 v[5:6], v[5:6], v[9:10]
	v_cmp_gt_u32_e32 vcc_lo, 30, v11
	s_delay_alu instid0(VALU_DEP_3) | instskip(NEXT) | instid1(VALU_DEP_1)
	v_lshlrev_b32_e32 v7, 2, v7
	v_add_lshl_u32 v10, v7, v11, 2
	ds_bpermute_b32 v7, v10, v3
	ds_bpermute_b32 v8, v10, v4
	;; [unrolled: 1-line block ×4, first 2 shown]
	s_waitcnt lgkmcnt(2)
	v_add_f64 v[3:4], v[3:4], v[7:8]
	v_cndmask_b32_e64 v7, 0, 1, vcc_lo
	s_waitcnt lgkmcnt(0)
	v_add_f64 v[5:6], v[5:6], v[9:10]
	v_cmp_ne_u32_e32 vcc_lo, 31, v11
	s_delay_alu instid0(VALU_DEP_3) | instskip(NEXT) | instid1(VALU_DEP_1)
	v_lshlrev_b32_e32 v7, 1, v7
	v_add_lshl_u32 v10, v7, v11, 2
	ds_bpermute_b32 v7, v10, v3
	ds_bpermute_b32 v8, v10, v4
	;; [unrolled: 1-line block ×4, first 2 shown]
	s_waitcnt lgkmcnt(2)
	v_add_f64 v[3:4], v[3:4], v[7:8]
	s_waitcnt lgkmcnt(0)
	v_add_f64 v[7:8], v[5:6], v[9:10]
	v_add_co_ci_u32_e32 v5, vcc_lo, 0, v11, vcc_lo
	v_cmp_eq_u32_e32 vcc_lo, 0, v0
	s_delay_alu instid0(VALU_DEP_2)
	v_lshlrev_b32_e32 v10, 2, v5
	ds_bpermute_b32 v5, v10, v3
	ds_bpermute_b32 v6, v10, v4
	;; [unrolled: 1-line block ×4, first 2 shown]
	s_and_b32 exec_lo, exec_lo, vcc_lo
	s_cbranch_execz .LBB124_7
; %bb.6:
	s_waitcnt lgkmcnt(0)
	v_add_f64 v[7:8], v[7:8], v[9:10]
	v_add_f64 v[5:6], v[3:4], v[5:6]
	v_lshlrev_b64 v[0:1], 4, v[1:2]
	s_delay_alu instid0(VALU_DEP_1) | instskip(NEXT) | instid1(VALU_DEP_2)
	v_add_co_u32 v0, vcc_lo, s8, v0
	v_add_co_ci_u32_e32 v1, vcc_lo, s9, v1, vcc_lo
	global_store_b128 v[0:1], v[5:8], off
.LBB124_7:
	s_nop 0
	s_sendmsg sendmsg(MSG_DEALLOC_VGPRS)
	s_endpgm
	.section	.rodata,"a",@progbits
	.p2align	6, 0x0
	.amdhsa_kernel _ZL28rocblas_dot_batched_4_kernelIiLi32ELi4ELb1E19rocblas_complex_numIdES1_PKS1_EviT5_lT_lS4_lS5_liPT4_
		.amdhsa_group_segment_fixed_size 0
		.amdhsa_private_segment_fixed_size 0
		.amdhsa_kernarg_size 88
		.amdhsa_user_sgpr_count 15
		.amdhsa_user_sgpr_dispatch_ptr 0
		.amdhsa_user_sgpr_queue_ptr 0
		.amdhsa_user_sgpr_kernarg_segment_ptr 1
		.amdhsa_user_sgpr_dispatch_id 0
		.amdhsa_user_sgpr_private_segment_size 0
		.amdhsa_wavefront_size32 1
		.amdhsa_uses_dynamic_stack 0
		.amdhsa_enable_private_segment 0
		.amdhsa_system_sgpr_workgroup_id_x 1
		.amdhsa_system_sgpr_workgroup_id_y 0
		.amdhsa_system_sgpr_workgroup_id_z 0
		.amdhsa_system_sgpr_workgroup_info 0
		.amdhsa_system_vgpr_workitem_id 1
		.amdhsa_next_free_vgpr 22
		.amdhsa_next_free_sgpr 20
		.amdhsa_reserve_vcc 1
		.amdhsa_float_round_mode_32 0
		.amdhsa_float_round_mode_16_64 0
		.amdhsa_float_denorm_mode_32 3
		.amdhsa_float_denorm_mode_16_64 3
		.amdhsa_dx10_clamp 1
		.amdhsa_ieee_mode 1
		.amdhsa_fp16_overflow 0
		.amdhsa_workgroup_processor_mode 1
		.amdhsa_memory_ordered 1
		.amdhsa_forward_progress 0
		.amdhsa_shared_vgpr_count 0
		.amdhsa_exception_fp_ieee_invalid_op 0
		.amdhsa_exception_fp_denorm_src 0
		.amdhsa_exception_fp_ieee_div_zero 0
		.amdhsa_exception_fp_ieee_overflow 0
		.amdhsa_exception_fp_ieee_underflow 0
		.amdhsa_exception_fp_ieee_inexact 0
		.amdhsa_exception_int_div_zero 0
	.end_amdhsa_kernel
	.section	.text._ZL28rocblas_dot_batched_4_kernelIiLi32ELi4ELb1E19rocblas_complex_numIdES1_PKS1_EviT5_lT_lS4_lS5_liPT4_,"axG",@progbits,_ZL28rocblas_dot_batched_4_kernelIiLi32ELi4ELb1E19rocblas_complex_numIdES1_PKS1_EviT5_lT_lS4_lS5_liPT4_,comdat
.Lfunc_end124:
	.size	_ZL28rocblas_dot_batched_4_kernelIiLi32ELi4ELb1E19rocblas_complex_numIdES1_PKS1_EviT5_lT_lS4_lS5_liPT4_, .Lfunc_end124-_ZL28rocblas_dot_batched_4_kernelIiLi32ELi4ELb1E19rocblas_complex_numIdES1_PKS1_EviT5_lT_lS4_lS5_liPT4_
                                        ; -- End function
	.section	.AMDGPU.csdata,"",@progbits
; Kernel info:
; codeLenInByte = 1028
; NumSgprs: 22
; NumVgprs: 22
; ScratchSize: 0
; MemoryBound: 0
; FloatMode: 240
; IeeeMode: 1
; LDSByteSize: 0 bytes/workgroup (compile time only)
; SGPRBlocks: 2
; VGPRBlocks: 2
; NumSGPRsForWavesPerEU: 22
; NumVGPRsForWavesPerEU: 22
; Occupancy: 16
; WaveLimiterHint : 0
; COMPUTE_PGM_RSRC2:SCRATCH_EN: 0
; COMPUTE_PGM_RSRC2:USER_SGPR: 15
; COMPUTE_PGM_RSRC2:TRAP_HANDLER: 0
; COMPUTE_PGM_RSRC2:TGID_X_EN: 1
; COMPUTE_PGM_RSRC2:TGID_Y_EN: 0
; COMPUTE_PGM_RSRC2:TGID_Z_EN: 0
; COMPUTE_PGM_RSRC2:TIDIG_COMP_CNT: 1
	.section	.text._ZL28rocblas_dot_batched_4_kernelIiLi64ELi4ELb1E19rocblas_complex_numIdES1_PKS1_EviT5_lT_lS4_lS5_liPT4_,"axG",@progbits,_ZL28rocblas_dot_batched_4_kernelIiLi64ELi4ELb1E19rocblas_complex_numIdES1_PKS1_EviT5_lT_lS4_lS5_liPT4_,comdat
	.globl	_ZL28rocblas_dot_batched_4_kernelIiLi64ELi4ELb1E19rocblas_complex_numIdES1_PKS1_EviT5_lT_lS4_lS5_liPT4_ ; -- Begin function _ZL28rocblas_dot_batched_4_kernelIiLi64ELi4ELb1E19rocblas_complex_numIdES1_PKS1_EviT5_lT_lS4_lS5_liPT4_
	.p2align	8
	.type	_ZL28rocblas_dot_batched_4_kernelIiLi64ELi4ELb1E19rocblas_complex_numIdES1_PKS1_EviT5_lT_lS4_lS5_liPT4_,@function
_ZL28rocblas_dot_batched_4_kernelIiLi64ELi4ELb1E19rocblas_complex_numIdES1_PKS1_EviT5_lT_lS4_lS5_liPT4_: ; @_ZL28rocblas_dot_batched_4_kernelIiLi64ELi4ELb1E19rocblas_complex_numIdES1_PKS1_EviT5_lT_lS4_lS5_liPT4_
; %bb.0:
	s_load_b32 s2, s[0:1], 0x48
	v_bfe_u32 v1, v0, 10, 10
	s_delay_alu instid0(VALU_DEP_1) | instskip(SKIP_1) | instid1(VALU_DEP_1)
	v_lshl_add_u32 v1, s15, 2, v1
	s_waitcnt lgkmcnt(0)
	v_cmp_gt_u32_e32 vcc_lo, s2, v1
	s_and_saveexec_b32 s2, vcc_lo
	s_cbranch_execz .LBB125_7
; %bb.1:
	s_clause 0x1
	s_load_b32 s10, s[0:1], 0x0
	s_load_b64 s[8:9], s[0:1], 0x50
	v_dual_mov_b32 v3, 0 :: v_dual_and_b32 v0, 0x3ff, v0
	v_mov_b32_e32 v4, 0
	v_mov_b32_e32 v2, 0
	s_mov_b32 s11, exec_lo
	s_delay_alu instid0(VALU_DEP_2)
	v_dual_mov_b32 v6, v4 :: v_dual_mov_b32 v5, v3
	s_waitcnt lgkmcnt(0)
	v_cmpx_gt_i32_e64 s10, v0
	s_cbranch_execz .LBB125_5
; %bb.2:
	s_clause 0x5
	s_load_b64 s[12:13], s[0:1], 0x40
	s_load_b128 s[4:7], s[0:1], 0x20
	s_load_b32 s14, s[0:1], 0x18
	s_load_b32 s16, s[0:1], 0x38
	s_load_b64 s[18:19], s[0:1], 0x30
	s_load_b128 s[0:3], s[0:1], 0x8
	v_mov_b32_e32 v11, v0
	s_waitcnt lgkmcnt(0)
	v_mad_u64_u32 v[5:6], null, s12, v1, 0
	v_mad_u64_u32 v[7:8], null, s4, v1, 0
	v_mad_i64_i32 v[9:10], null, s16, v0, 0
	s_ashr_i32 s15, s14, 31
	s_ashr_i32 s17, s16, 31
	s_delay_alu instid0(VALU_DEP_2) | instskip(NEXT) | instid1(VALU_DEP_2)
	v_mad_u64_u32 v[12:13], null, s13, v1, v[6:7]
	v_mad_u64_u32 v[13:14], null, s5, v1, v[8:9]
	v_mov_b32_e32 v3, 0
	v_mad_i64_i32 v[14:15], null, s14, v0, 0
	v_mov_b32_e32 v4, 0
	v_mov_b32_e32 v6, v12
	v_lshlrev_b64 v[9:10], 4, v[9:10]
	v_mov_b32_e32 v8, v13
	s_lshl_b64 s[12:13], s[18:19], 4
	s_delay_alu instid0(VALU_DEP_3) | instskip(SKIP_1) | instid1(VALU_DEP_3)
	v_lshlrev_b64 v[5:6], 4, v[5:6]
	v_lshlrev_b64 v[12:13], 4, v[14:15]
	;; [unrolled: 1-line block ×3, first 2 shown]
	s_add_u32 s6, s6, s12
	s_addc_u32 s7, s7, s13
	s_lshl_b64 s[2:3], s[2:3], 4
	v_add_co_u32 v5, vcc_lo, v9, v5
	v_add_co_ci_u32_e32 v6, vcc_lo, v10, v6, vcc_lo
	v_add_co_u32 v7, vcc_lo, v12, v7
	v_add_co_ci_u32_e32 v8, vcc_lo, v13, v8, vcc_lo
	s_lshl_b64 s[4:5], s[16:17], 10
	v_add_co_u32 v5, vcc_lo, s6, v5
	s_add_u32 s0, s0, s2
	v_add_co_ci_u32_e32 v6, vcc_lo, s7, v6, vcc_lo
	s_addc_u32 s1, s1, s3
	v_add_co_u32 v9, vcc_lo, s0, v7
	v_add_co_ci_u32_e32 v10, vcc_lo, s1, v8, vcc_lo
	v_add_co_u32 v7, vcc_lo, v5, 8
	v_add_co_ci_u32_e32 v8, vcc_lo, 0, v6, vcc_lo
	s_delay_alu instid0(VALU_DEP_4)
	v_add_co_u32 v9, vcc_lo, v9, 8
	v_dual_mov_b32 v6, v4 :: v_dual_mov_b32 v5, v3
	v_add_co_ci_u32_e32 v10, vcc_lo, 0, v10, vcc_lo
	s_lshl_b64 s[2:3], s[14:15], 10
	s_mov_b32 s1, 0
	.p2align	6
.LBB125_3:                              ; =>This Inner Loop Header: Depth=1
	global_load_b128 v[12:15], v[9:10], off offset:-8
	global_load_b128 v[16:19], v[7:8], off offset:-8
	v_add_nc_u32_e32 v11, 64, v11
	v_add_co_u32 v7, vcc_lo, v7, s4
	v_add_co_ci_u32_e32 v8, vcc_lo, s5, v8, vcc_lo
	s_delay_alu instid0(VALU_DEP_3) | instskip(SKIP_1) | instid1(VALU_DEP_1)
	v_cmp_le_i32_e32 vcc_lo, s10, v11
	v_add_co_u32 v9, s0, v9, s2
	v_add_co_ci_u32_e64 v10, s0, s3, v10, s0
	s_or_b32 s1, vcc_lo, s1
	s_waitcnt vmcnt(0)
	v_mul_f64 v[20:21], v[14:15], v[18:19]
	v_mul_f64 v[14:15], v[14:15], v[16:17]
	s_delay_alu instid0(VALU_DEP_2) | instskip(NEXT) | instid1(VALU_DEP_2)
	v_fma_f64 v[16:17], v[12:13], v[16:17], v[20:21]
	v_fma_f64 v[12:13], v[12:13], v[18:19], -v[14:15]
	s_delay_alu instid0(VALU_DEP_2) | instskip(NEXT) | instid1(VALU_DEP_2)
	v_add_f64 v[3:4], v[3:4], v[16:17]
	v_add_f64 v[5:6], v[5:6], v[12:13]
	s_and_not1_b32 exec_lo, exec_lo, s1
	s_cbranch_execnz .LBB125_3
; %bb.4:
	s_or_b32 exec_lo, exec_lo, s1
.LBB125_5:
	s_delay_alu instid0(SALU_CYCLE_1)
	s_or_b32 exec_lo, exec_lo, s11
	v_mbcnt_lo_u32_b32 v11, -1, 0
	s_barrier
	buffer_gl0_inv
	v_lshlrev_b32_e32 v10, 2, v11
	v_cmp_gt_u32_e32 vcc_lo, 16, v11
	ds_bpermute_b32 v7, v10, v3
	ds_bpermute_b32 v8, v10, v4
	ds_bpermute_b32 v9, v10, v5
	ds_bpermute_b32 v10, v10, v6
	s_waitcnt lgkmcnt(2)
	v_add_f64 v[3:4], v[3:4], v[7:8]
	v_cndmask_b32_e64 v7, 0, 1, vcc_lo
	s_waitcnt lgkmcnt(0)
	v_add_f64 v[5:6], v[5:6], v[9:10]
	v_cmp_gt_u32_e32 vcc_lo, 24, v11
	s_delay_alu instid0(VALU_DEP_3) | instskip(NEXT) | instid1(VALU_DEP_1)
	v_lshlrev_b32_e32 v7, 4, v7
	v_add_lshl_u32 v10, v7, v11, 2
	ds_bpermute_b32 v7, v10, v3
	ds_bpermute_b32 v8, v10, v4
	ds_bpermute_b32 v9, v10, v5
	ds_bpermute_b32 v10, v10, v6
	s_waitcnt lgkmcnt(2)
	v_add_f64 v[3:4], v[3:4], v[7:8]
	v_cndmask_b32_e64 v7, 0, 1, vcc_lo
	s_waitcnt lgkmcnt(0)
	v_add_f64 v[5:6], v[5:6], v[9:10]
	v_cmp_gt_u32_e32 vcc_lo, 28, v11
	s_delay_alu instid0(VALU_DEP_3) | instskip(NEXT) | instid1(VALU_DEP_1)
	v_lshlrev_b32_e32 v7, 3, v7
	v_add_lshl_u32 v10, v7, v11, 2
	;; [unrolled: 13-line block ×3, first 2 shown]
	ds_bpermute_b32 v7, v10, v3
	ds_bpermute_b32 v8, v10, v4
	;; [unrolled: 1-line block ×4, first 2 shown]
	s_waitcnt lgkmcnt(2)
	v_add_f64 v[3:4], v[3:4], v[7:8]
	v_cndmask_b32_e64 v7, 0, 1, vcc_lo
	s_waitcnt lgkmcnt(0)
	v_add_f64 v[5:6], v[5:6], v[9:10]
	v_cmp_ne_u32_e32 vcc_lo, 31, v11
	s_delay_alu instid0(VALU_DEP_3) | instskip(NEXT) | instid1(VALU_DEP_1)
	v_lshlrev_b32_e32 v7, 1, v7
	v_add_lshl_u32 v10, v7, v11, 2
	ds_bpermute_b32 v7, v10, v3
	ds_bpermute_b32 v8, v10, v4
	;; [unrolled: 1-line block ×4, first 2 shown]
	s_waitcnt lgkmcnt(2)
	v_add_f64 v[3:4], v[3:4], v[7:8]
	s_waitcnt lgkmcnt(0)
	v_add_f64 v[7:8], v[5:6], v[9:10]
	v_add_co_ci_u32_e32 v5, vcc_lo, 0, v11, vcc_lo
	v_cmp_eq_u32_e32 vcc_lo, 0, v0
	s_delay_alu instid0(VALU_DEP_2)
	v_lshlrev_b32_e32 v10, 2, v5
	ds_bpermute_b32 v5, v10, v3
	ds_bpermute_b32 v6, v10, v4
	;; [unrolled: 1-line block ×4, first 2 shown]
	s_and_b32 exec_lo, exec_lo, vcc_lo
	s_cbranch_execz .LBB125_7
; %bb.6:
	s_waitcnt lgkmcnt(0)
	v_add_f64 v[7:8], v[7:8], v[9:10]
	v_add_f64 v[5:6], v[3:4], v[5:6]
	v_lshlrev_b64 v[0:1], 4, v[1:2]
	s_delay_alu instid0(VALU_DEP_1) | instskip(NEXT) | instid1(VALU_DEP_2)
	v_add_co_u32 v0, vcc_lo, s8, v0
	v_add_co_ci_u32_e32 v1, vcc_lo, s9, v1, vcc_lo
	global_store_b128 v[0:1], v[5:8], off
.LBB125_7:
	s_nop 0
	s_sendmsg sendmsg(MSG_DEALLOC_VGPRS)
	s_endpgm
	.section	.rodata,"a",@progbits
	.p2align	6, 0x0
	.amdhsa_kernel _ZL28rocblas_dot_batched_4_kernelIiLi64ELi4ELb1E19rocblas_complex_numIdES1_PKS1_EviT5_lT_lS4_lS5_liPT4_
		.amdhsa_group_segment_fixed_size 0
		.amdhsa_private_segment_fixed_size 0
		.amdhsa_kernarg_size 88
		.amdhsa_user_sgpr_count 15
		.amdhsa_user_sgpr_dispatch_ptr 0
		.amdhsa_user_sgpr_queue_ptr 0
		.amdhsa_user_sgpr_kernarg_segment_ptr 1
		.amdhsa_user_sgpr_dispatch_id 0
		.amdhsa_user_sgpr_private_segment_size 0
		.amdhsa_wavefront_size32 1
		.amdhsa_uses_dynamic_stack 0
		.amdhsa_enable_private_segment 0
		.amdhsa_system_sgpr_workgroup_id_x 1
		.amdhsa_system_sgpr_workgroup_id_y 0
		.amdhsa_system_sgpr_workgroup_id_z 0
		.amdhsa_system_sgpr_workgroup_info 0
		.amdhsa_system_vgpr_workitem_id 1
		.amdhsa_next_free_vgpr 22
		.amdhsa_next_free_sgpr 20
		.amdhsa_reserve_vcc 1
		.amdhsa_float_round_mode_32 0
		.amdhsa_float_round_mode_16_64 0
		.amdhsa_float_denorm_mode_32 3
		.amdhsa_float_denorm_mode_16_64 3
		.amdhsa_dx10_clamp 1
		.amdhsa_ieee_mode 1
		.amdhsa_fp16_overflow 0
		.amdhsa_workgroup_processor_mode 1
		.amdhsa_memory_ordered 1
		.amdhsa_forward_progress 0
		.amdhsa_shared_vgpr_count 0
		.amdhsa_exception_fp_ieee_invalid_op 0
		.amdhsa_exception_fp_denorm_src 0
		.amdhsa_exception_fp_ieee_div_zero 0
		.amdhsa_exception_fp_ieee_overflow 0
		.amdhsa_exception_fp_ieee_underflow 0
		.amdhsa_exception_fp_ieee_inexact 0
		.amdhsa_exception_int_div_zero 0
	.end_amdhsa_kernel
	.section	.text._ZL28rocblas_dot_batched_4_kernelIiLi64ELi4ELb1E19rocblas_complex_numIdES1_PKS1_EviT5_lT_lS4_lS5_liPT4_,"axG",@progbits,_ZL28rocblas_dot_batched_4_kernelIiLi64ELi4ELb1E19rocblas_complex_numIdES1_PKS1_EviT5_lT_lS4_lS5_liPT4_,comdat
.Lfunc_end125:
	.size	_ZL28rocblas_dot_batched_4_kernelIiLi64ELi4ELb1E19rocblas_complex_numIdES1_PKS1_EviT5_lT_lS4_lS5_liPT4_, .Lfunc_end125-_ZL28rocblas_dot_batched_4_kernelIiLi64ELi4ELb1E19rocblas_complex_numIdES1_PKS1_EviT5_lT_lS4_lS5_liPT4_
                                        ; -- End function
	.section	.AMDGPU.csdata,"",@progbits
; Kernel info:
; codeLenInByte = 1088
; NumSgprs: 22
; NumVgprs: 22
; ScratchSize: 0
; MemoryBound: 0
; FloatMode: 240
; IeeeMode: 1
; LDSByteSize: 0 bytes/workgroup (compile time only)
; SGPRBlocks: 2
; VGPRBlocks: 2
; NumSGPRsForWavesPerEU: 22
; NumVGPRsForWavesPerEU: 22
; Occupancy: 16
; WaveLimiterHint : 0
; COMPUTE_PGM_RSRC2:SCRATCH_EN: 0
; COMPUTE_PGM_RSRC2:USER_SGPR: 15
; COMPUTE_PGM_RSRC2:TRAP_HANDLER: 0
; COMPUTE_PGM_RSRC2:TGID_X_EN: 1
; COMPUTE_PGM_RSRC2:TGID_Y_EN: 0
; COMPUTE_PGM_RSRC2:TGID_Z_EN: 0
; COMPUTE_PGM_RSRC2:TIDIG_COMP_CNT: 1
	.section	.text._ZL26rocblas_dot_kernel_inc1by2ILb1ELi1024ELi32ELb1E19rocblas_complex_numIdEPKS1_S1_EviT4_llS4_lliPT5_PT3_,"axG",@progbits,_ZL26rocblas_dot_kernel_inc1by2ILb1ELi1024ELi32ELb1E19rocblas_complex_numIdEPKS1_S1_EviT4_llS4_lliPT5_PT3_,comdat
	.globl	_ZL26rocblas_dot_kernel_inc1by2ILb1ELi1024ELi32ELb1E19rocblas_complex_numIdEPKS1_S1_EviT4_llS4_lliPT5_PT3_ ; -- Begin function _ZL26rocblas_dot_kernel_inc1by2ILb1ELi1024ELi32ELb1E19rocblas_complex_numIdEPKS1_S1_EviT4_llS4_lliPT5_PT3_
	.p2align	8
	.type	_ZL26rocblas_dot_kernel_inc1by2ILb1ELi1024ELi32ELb1E19rocblas_complex_numIdEPKS1_S1_EviT4_llS4_lliPT5_PT3_,@function
_ZL26rocblas_dot_kernel_inc1by2ILb1ELi1024ELi32ELb1E19rocblas_complex_numIdEPKS1_S1_EviT4_llS4_lliPT5_PT3_: ; @_ZL26rocblas_dot_kernel_inc1by2ILb1ELi1024ELi32ELb1E19rocblas_complex_numIdEPKS1_S1_EviT4_llS4_lliPT5_PT3_
; %bb.0:
	s_clause 0x1
	s_load_b32 s14, s[0:1], 0x0
	s_load_b64 s[2:3], s[0:1], 0x48
	v_mov_b32_e32 v1, 0
	v_mov_b32_e32 v2, 0
	s_mov_b32 s12, s15
	s_mov_b32 s13, 0
	s_mov_b32 s15, exec_lo
	s_delay_alu instid0(VALU_DEP_1)
	v_dual_mov_b32 v4, v2 :: v_dual_mov_b32 v3, v1
	s_waitcnt lgkmcnt(0)
	v_cmpx_gt_i32_e64 s14, v0
	s_cbranch_execz .LBB126_4
; %bb.1:
	s_clause 0x3
	s_load_b128 s[8:11], s[0:1], 0x28
	s_load_b128 s[4:7], s[0:1], 0x10
	s_load_b64 s[16:17], s[0:1], 0x20
	s_load_b64 s[0:1], s[0:1], 0x8
	v_lshlrev_b32_e32 v3, 4, v0
	v_mov_b32_e32 v1, 0
	v_mov_b32_e32 v2, 0
	v_or_b32_e32 v9, 0x400, v0
	s_waitcnt lgkmcnt(0)
	s_mul_i32 s11, s11, s12
	s_mul_hi_u32 s18, s10, s12
	s_mul_i32 s10, s10, s12
	s_add_i32 s11, s18, s11
	s_lshl_b64 s[8:9], s[8:9], 4
	s_lshl_b64 s[10:11], s[10:11], 4
	s_mul_i32 s7, s7, s12
	s_add_u32 s8, s10, s8
	s_mul_hi_u32 s18, s6, s12
	s_addc_u32 s9, s11, s9
	s_add_u32 s8, s16, s8
	s_mul_i32 s6, s6, s12
	s_addc_u32 s9, s17, s9
	s_add_i32 s7, s18, s7
	s_lshl_b64 s[4:5], s[4:5], 4
	s_lshl_b64 s[6:7], s[6:7], 4
	v_add_co_u32 v4, s8, s8, v3
	s_add_u32 s4, s6, s4
	s_addc_u32 s5, s7, s5
	s_add_u32 s0, s0, s4
	v_add_co_ci_u32_e64 v6, null, s9, 0, s8
	s_addc_u32 s1, s1, s5
	v_add_co_u32 v3, s0, s0, v3
	s_delay_alu instid0(VALU_DEP_1) | instskip(SKIP_2) | instid1(VALU_DEP_4)
	v_add_co_ci_u32_e64 v8, null, s1, 0, s0
	v_add_co_u32 v5, vcc_lo, v4, 8
	v_add_co_ci_u32_e32 v6, vcc_lo, 0, v6, vcc_lo
	v_add_co_u32 v7, vcc_lo, v3, 8
	s_delay_alu instid0(VALU_DEP_4)
	v_add_co_ci_u32_e32 v8, vcc_lo, 0, v8, vcc_lo
	v_dual_mov_b32 v4, v2 :: v_dual_mov_b32 v3, v1
	s_mov_b32 s1, s13
	s_mov_b32 s4, s13
	s_set_inst_prefetch_distance 0x1
	.p2align	6
.LBB126_2:                              ; =>This Inner Loop Header: Depth=1
	global_load_b128 v[10:13], v[5:6], off offset:-8
	global_load_b128 v[14:17], v[7:8], off offset:-8
	s_add_i32 s5, s4, 1
	v_cmp_le_i32_e32 vcc_lo, s14, v9
	v_add_co_u32 v5, s0, 0x4000, v5
	s_cmp_gt_u32 s4, 30
	v_add_co_ci_u32_e64 v6, s0, 0, v6, s0
	s_cselect_b32 s4, -1, 0
	v_add_co_u32 v7, s0, 0x4000, v7
	s_or_b32 s4, s4, vcc_lo
	v_add_nc_u32_e32 v9, 0x400, v9
	v_add_co_ci_u32_e64 v8, vcc_lo, 0, v8, s0
	s_and_b32 s0, exec_lo, s4
	s_mov_b32 s4, s5
	s_or_b32 s1, s0, s1
	s_waitcnt vmcnt(0)
	v_mul_f64 v[18:19], v[12:13], v[16:17]
	v_mul_f64 v[16:17], v[10:11], v[16:17]
	s_delay_alu instid0(VALU_DEP_2) | instskip(NEXT) | instid1(VALU_DEP_2)
	v_fma_f64 v[10:11], v[10:11], v[14:15], v[18:19]
	v_fma_f64 v[12:13], v[12:13], v[14:15], -v[16:17]
	s_delay_alu instid0(VALU_DEP_2) | instskip(NEXT) | instid1(VALU_DEP_2)
	v_add_f64 v[3:4], v[3:4], v[10:11]
	v_add_f64 v[1:2], v[1:2], v[12:13]
	s_and_not1_b32 exec_lo, exec_lo, s1
	s_cbranch_execnz .LBB126_2
; %bb.3:
	s_set_inst_prefetch_distance 0x2
	s_or_b32 exec_lo, exec_lo, s1
.LBB126_4:
	s_delay_alu instid0(SALU_CYCLE_1) | instskip(SKIP_2) | instid1(VALU_DEP_2)
	s_or_b32 exec_lo, exec_lo, s15
	v_and_b32_e32 v15, 31, v0
	v_cmp_gt_u32_e32 vcc_lo, 32, v0
	v_lshlrev_b32_e32 v11, 4, v15
	s_and_saveexec_b32 s0, vcc_lo
	s_cbranch_execz .LBB126_6
; %bb.5:
	v_mov_b32_e32 v5, 0
	s_delay_alu instid0(VALU_DEP_1)
	v_mov_b32_e32 v6, v5
	v_mov_b32_e32 v7, v5
	;; [unrolled: 1-line block ×3, first 2 shown]
	ds_store_b128 v11, v[5:8]
.LBB126_6:
	s_or_b32 exec_lo, exec_lo, s0
	v_mbcnt_lo_u32_b32 v14, -1, 0
	s_mov_b32 s1, exec_lo
	s_waitcnt lgkmcnt(0)
	s_barrier
	buffer_gl0_inv
	v_cmp_gt_u32_e64 s0, 16, v14
	s_delay_alu instid0(VALU_DEP_1) | instskip(SKIP_1) | instid1(VALU_DEP_2)
	v_cndmask_b32_e64 v5, 0, 1, s0
	v_cmp_gt_u32_e64 s0, 24, v14
	v_lshlrev_b32_e32 v5, 4, v5
	s_delay_alu instid0(VALU_DEP_1)
	v_add_lshl_u32 v9, v5, v14, 2
	ds_bpermute_b32 v5, v9, v3
	ds_bpermute_b32 v6, v9, v4
	;; [unrolled: 1-line block ×4, first 2 shown]
	s_waitcnt lgkmcnt(2)
	v_add_f64 v[3:4], v[3:4], v[5:6]
	v_cndmask_b32_e64 v5, 0, 1, s0
	s_waitcnt lgkmcnt(0)
	v_add_f64 v[1:2], v[1:2], v[7:8]
	v_cmp_gt_u32_e64 s0, 28, v14
	s_delay_alu instid0(VALU_DEP_3) | instskip(NEXT) | instid1(VALU_DEP_1)
	v_lshlrev_b32_e32 v5, 3, v5
	v_add_lshl_u32 v10, v5, v14, 2
	ds_bpermute_b32 v5, v10, v3
	ds_bpermute_b32 v6, v10, v4
	;; [unrolled: 1-line block ×4, first 2 shown]
	s_waitcnt lgkmcnt(2)
	v_add_f64 v[3:4], v[3:4], v[5:6]
	v_cndmask_b32_e64 v5, 0, 1, s0
	s_waitcnt lgkmcnt(0)
	v_add_f64 v[1:2], v[1:2], v[7:8]
	v_cmp_gt_u32_e64 s0, 30, v14
	s_delay_alu instid0(VALU_DEP_3) | instskip(NEXT) | instid1(VALU_DEP_1)
	v_lshlrev_b32_e32 v5, 2, v5
	v_add_lshl_u32 v12, v5, v14, 2
	ds_bpermute_b32 v5, v12, v3
	ds_bpermute_b32 v6, v12, v4
	;; [unrolled: 1-line block ×4, first 2 shown]
	s_waitcnt lgkmcnt(2)
	v_add_f64 v[3:4], v[3:4], v[5:6]
	s_waitcnt lgkmcnt(0)
	v_add_f64 v[5:6], v[1:2], v[7:8]
	v_cndmask_b32_e64 v1, 0, 1, s0
	v_cmp_ne_u32_e64 s0, 31, v14
	s_delay_alu instid0(VALU_DEP_2) | instskip(NEXT) | instid1(VALU_DEP_1)
	v_lshlrev_b32_e32 v1, 1, v1
	v_add_lshl_u32 v13, v1, v14, 2
	ds_bpermute_b32 v1, v13, v3
	ds_bpermute_b32 v2, v13, v4
	ds_bpermute_b32 v7, v13, v5
	ds_bpermute_b32 v8, v13, v6
	s_waitcnt lgkmcnt(2)
	v_add_f64 v[1:2], v[3:4], v[1:2]
	v_add_co_ci_u32_e64 v3, s0, 0, v14, s0
	s_waitcnt lgkmcnt(0)
	v_add_f64 v[5:6], v[5:6], v[7:8]
	s_delay_alu instid0(VALU_DEP_2)
	v_lshlrev_b32_e32 v14, 2, v3
	ds_bpermute_b32 v3, v14, v1
	ds_bpermute_b32 v4, v14, v2
	;; [unrolled: 1-line block ×4, first 2 shown]
	v_cmpx_eq_u32_e32 0, v15
	s_cbranch_execz .LBB126_8
; %bb.7:
	s_waitcnt lgkmcnt(0)
	v_add_f64 v[5:6], v[5:6], v[7:8]
	v_add_f64 v[3:4], v[1:2], v[3:4]
	v_lshrrev_b32_e32 v1, 1, v0
	s_delay_alu instid0(VALU_DEP_1)
	v_and_b32_e32 v1, 0x1f0, v1
	ds_store_b128 v1, v[3:6]
.LBB126_8:
	s_or_b32 exec_lo, exec_lo, s1
	s_waitcnt lgkmcnt(2)
	v_mov_b32_e32 v3, 0
	v_mov_b32_e32 v4, 0
	s_delay_alu instid0(VALU_DEP_2)
	v_mov_b32_e32 v1, v3
	s_waitcnt lgkmcnt(0)
	s_barrier
	buffer_gl0_inv
	v_mov_b32_e32 v2, v4
	s_and_saveexec_b32 s0, vcc_lo
	s_cbranch_execz .LBB126_10
; %bb.9:
	ds_load_b128 v[1:4], v11
.LBB126_10:
	s_or_b32 exec_lo, exec_lo, s0
	s_and_saveexec_b32 s0, vcc_lo
	s_cbranch_execz .LBB126_12
; %bb.11:
	s_waitcnt lgkmcnt(0)
	ds_bpermute_b32 v5, v9, v1
	ds_bpermute_b32 v6, v9, v2
	ds_bpermute_b32 v7, v9, v3
	ds_bpermute_b32 v8, v9, v4
	s_waitcnt lgkmcnt(2)
	v_add_f64 v[1:2], v[1:2], v[5:6]
	s_waitcnt lgkmcnt(0)
	v_add_f64 v[3:4], v[3:4], v[7:8]
	ds_bpermute_b32 v5, v10, v1
	ds_bpermute_b32 v6, v10, v2
	ds_bpermute_b32 v7, v10, v3
	ds_bpermute_b32 v8, v10, v4
	s_waitcnt lgkmcnt(2)
	v_add_f64 v[1:2], v[1:2], v[5:6]
	s_waitcnt lgkmcnt(0)
	v_add_f64 v[3:4], v[3:4], v[7:8]
	;; [unrolled: 8-line block ×5, first 2 shown]
.LBB126_12:
	s_or_b32 exec_lo, exec_lo, s0
	s_delay_alu instid0(SALU_CYCLE_1)
	s_mov_b32 s0, exec_lo
	v_cmpx_eq_u32_e32 0, v0
	s_cbranch_execz .LBB126_14
; %bb.13:
	s_lshl_b64 s[0:1], s[12:13], 4
	v_mov_b32_e32 v0, 0
	s_add_u32 s0, s2, s0
	s_addc_u32 s1, s3, s1
	s_waitcnt lgkmcnt(0)
	global_store_b128 v0, v[1:4], s[0:1]
.LBB126_14:
	s_nop 0
	s_sendmsg sendmsg(MSG_DEALLOC_VGPRS)
	s_endpgm
	.section	.rodata,"a",@progbits
	.p2align	6, 0x0
	.amdhsa_kernel _ZL26rocblas_dot_kernel_inc1by2ILb1ELi1024ELi32ELb1E19rocblas_complex_numIdEPKS1_S1_EviT4_llS4_lliPT5_PT3_
		.amdhsa_group_segment_fixed_size 512
		.amdhsa_private_segment_fixed_size 0
		.amdhsa_kernarg_size 80
		.amdhsa_user_sgpr_count 14
		.amdhsa_user_sgpr_dispatch_ptr 0
		.amdhsa_user_sgpr_queue_ptr 0
		.amdhsa_user_sgpr_kernarg_segment_ptr 1
		.amdhsa_user_sgpr_dispatch_id 0
		.amdhsa_user_sgpr_private_segment_size 0
		.amdhsa_wavefront_size32 1
		.amdhsa_uses_dynamic_stack 0
		.amdhsa_enable_private_segment 0
		.amdhsa_system_sgpr_workgroup_id_x 1
		.amdhsa_system_sgpr_workgroup_id_y 0
		.amdhsa_system_sgpr_workgroup_id_z 1
		.amdhsa_system_sgpr_workgroup_info 0
		.amdhsa_system_vgpr_workitem_id 0
		.amdhsa_next_free_vgpr 20
		.amdhsa_next_free_sgpr 19
		.amdhsa_reserve_vcc 1
		.amdhsa_float_round_mode_32 0
		.amdhsa_float_round_mode_16_64 0
		.amdhsa_float_denorm_mode_32 3
		.amdhsa_float_denorm_mode_16_64 3
		.amdhsa_dx10_clamp 1
		.amdhsa_ieee_mode 1
		.amdhsa_fp16_overflow 0
		.amdhsa_workgroup_processor_mode 1
		.amdhsa_memory_ordered 1
		.amdhsa_forward_progress 0
		.amdhsa_shared_vgpr_count 0
		.amdhsa_exception_fp_ieee_invalid_op 0
		.amdhsa_exception_fp_denorm_src 0
		.amdhsa_exception_fp_ieee_div_zero 0
		.amdhsa_exception_fp_ieee_overflow 0
		.amdhsa_exception_fp_ieee_underflow 0
		.amdhsa_exception_fp_ieee_inexact 0
		.amdhsa_exception_int_div_zero 0
	.end_amdhsa_kernel
	.section	.text._ZL26rocblas_dot_kernel_inc1by2ILb1ELi1024ELi32ELb1E19rocblas_complex_numIdEPKS1_S1_EviT4_llS4_lliPT5_PT3_,"axG",@progbits,_ZL26rocblas_dot_kernel_inc1by2ILb1ELi1024ELi32ELb1E19rocblas_complex_numIdEPKS1_S1_EviT4_llS4_lliPT5_PT3_,comdat
.Lfunc_end126:
	.size	_ZL26rocblas_dot_kernel_inc1by2ILb1ELi1024ELi32ELb1E19rocblas_complex_numIdEPKS1_S1_EviT4_llS4_lliPT5_PT3_, .Lfunc_end126-_ZL26rocblas_dot_kernel_inc1by2ILb1ELi1024ELi32ELb1E19rocblas_complex_numIdEPKS1_S1_EviT4_llS4_lliPT5_PT3_
                                        ; -- End function
	.section	.AMDGPU.csdata,"",@progbits
; Kernel info:
; codeLenInByte = 1432
; NumSgprs: 21
; NumVgprs: 20
; ScratchSize: 0
; MemoryBound: 0
; FloatMode: 240
; IeeeMode: 1
; LDSByteSize: 512 bytes/workgroup (compile time only)
; SGPRBlocks: 2
; VGPRBlocks: 2
; NumSGPRsForWavesPerEU: 21
; NumVGPRsForWavesPerEU: 20
; Occupancy: 16
; WaveLimiterHint : 0
; COMPUTE_PGM_RSRC2:SCRATCH_EN: 0
; COMPUTE_PGM_RSRC2:USER_SGPR: 14
; COMPUTE_PGM_RSRC2:TRAP_HANDLER: 0
; COMPUTE_PGM_RSRC2:TGID_X_EN: 1
; COMPUTE_PGM_RSRC2:TGID_Y_EN: 0
; COMPUTE_PGM_RSRC2:TGID_Z_EN: 1
; COMPUTE_PGM_RSRC2:TIDIG_COMP_CNT: 0
	.section	.text._ZL18rocblas_dot_kernelIiLb1ELi1024ELi32ELb1E19rocblas_complex_numIdEPKS1_S1_EviT5_lT_lS4_lS5_liPT6_PT4_,"axG",@progbits,_ZL18rocblas_dot_kernelIiLb1ELi1024ELi32ELb1E19rocblas_complex_numIdEPKS1_S1_EviT5_lT_lS4_lS5_liPT6_PT4_,comdat
	.globl	_ZL18rocblas_dot_kernelIiLb1ELi1024ELi32ELb1E19rocblas_complex_numIdEPKS1_S1_EviT5_lT_lS4_lS5_liPT6_PT4_ ; -- Begin function _ZL18rocblas_dot_kernelIiLb1ELi1024ELi32ELb1E19rocblas_complex_numIdEPKS1_S1_EviT5_lT_lS4_lS5_liPT6_PT4_
	.p2align	8
	.type	_ZL18rocblas_dot_kernelIiLb1ELi1024ELi32ELb1E19rocblas_complex_numIdEPKS1_S1_EviT5_lT_lS4_lS5_liPT6_PT4_,@function
_ZL18rocblas_dot_kernelIiLb1ELi1024ELi32ELb1E19rocblas_complex_numIdEPKS1_S1_EviT5_lT_lS4_lS5_liPT6_PT4_: ; @_ZL18rocblas_dot_kernelIiLb1ELi1024ELi32ELb1E19rocblas_complex_numIdEPKS1_S1_EviT5_lT_lS4_lS5_liPT6_PT4_
; %bb.0:
	s_clause 0x1
	s_load_b32 s10, s[0:1], 0x0
	s_load_b64 s[2:3], s[0:1], 0x58
	v_mov_b32_e32 v1, 0
	v_mov_b32_e32 v2, 0
	s_mov_b32 s8, s15
	s_mov_b32 s9, 0
	s_mov_b32 s11, exec_lo
	s_delay_alu instid0(VALU_DEP_1)
	v_dual_mov_b32 v4, v2 :: v_dual_mov_b32 v3, v1
	s_waitcnt lgkmcnt(0)
	v_cmpx_gt_i32_e64 s10, v0
	s_cbranch_execz .LBB127_4
; %bb.1:
	s_clause 0x6
	s_load_b32 s20, s[0:1], 0x60
	s_load_b128 s[4:7], s[0:1], 0x20
	s_load_b32 s22, s[0:1], 0x18
	s_load_b128 s[12:15], s[0:1], 0x8
	s_load_b64 s[16:17], s[0:1], 0x40
	s_load_b32 s23, s[0:1], 0x38
	s_load_b64 s[18:19], s[0:1], 0x30
	s_waitcnt lgkmcnt(0)
	s_lshl_b32 s1, s20, 10
	s_mul_i32 s0, s5, s8
	v_mad_i64_i32 v[1:2], null, s22, v0, 0
	s_mul_hi_u32 s5, s4, s8
	s_mul_i32 s4, s4, s8
	s_add_i32 s5, s5, s0
	s_lshl_b64 s[14:15], s[14:15], 4
	s_lshl_b64 s[4:5], s[4:5], 4
	s_add_u32 s0, s12, s14
	s_delay_alu instid0(VALU_DEP_1) | instskip(SKIP_4) | instid1(VALU_DEP_2)
	v_lshlrev_b64 v[1:2], 4, v[1:2]
	s_addc_u32 s12, s13, s15
	s_add_u32 s0, s0, s4
	v_mad_i64_i32 v[3:4], null, s23, v0, 0
	s_addc_u32 s12, s12, s5
	v_add_co_u32 v1, vcc_lo, s0, v1
	v_add_co_ci_u32_e32 v2, vcc_lo, s12, v2, vcc_lo
	s_mul_i32 s17, s17, s8
	s_mul_hi_u32 s24, s16, s8
	s_delay_alu instid0(VALU_DEP_2)
	v_add_co_u32 v5, vcc_lo, v1, 8
	s_mul_i32 s16, s16, s8
	s_mul_hi_i32 s21, s22, s1
	s_mul_i32 s20, s22, s1
	s_add_i32 s17, s24, s17
	v_add_co_ci_u32_e32 v6, vcc_lo, 0, v2, vcc_lo
	s_lshl_b64 s[14:15], s[18:19], 4
	v_lshlrev_b64 v[1:2], 4, v[3:4]
	s_lshl_b64 s[4:5], s[20:21], 4
	s_lshl_b64 s[12:13], s[16:17], 4
	s_add_u32 s0, s6, s14
	s_addc_u32 s6, s7, s15
	s_add_u32 s0, s0, s12
	s_addc_u32 s6, s6, s13
	v_add_co_u32 v3, vcc_lo, s0, v1
	v_add_co_ci_u32_e32 v4, vcc_lo, s6, v2, vcc_lo
	v_mov_b32_e32 v1, 0
	v_mov_b32_e32 v2, 0
	s_delay_alu instid0(VALU_DEP_4) | instskip(SKIP_2) | instid1(VALU_DEP_4)
	v_add_co_u32 v7, vcc_lo, v3, 8
	v_or_b32_e32 v9, s1, v0
	v_add_co_ci_u32_e32 v8, vcc_lo, 0, v4, vcc_lo
	v_dual_mov_b32 v4, v2 :: v_dual_mov_b32 v3, v1
	s_mul_hi_i32 s7, s23, s1
	s_mul_i32 s6, s23, s1
	s_mov_b32 s12, s9
	s_lshl_b64 s[6:7], s[6:7], 4
	s_mov_b32 s13, s9
	s_set_inst_prefetch_distance 0x1
	.p2align	6
.LBB127_2:                              ; =>This Inner Loop Header: Depth=1
	global_load_b128 v[10:13], v[7:8], off offset:-8
	global_load_b128 v[14:17], v[5:6], off offset:-8
	s_add_i32 s14, s13, 1
	v_cmp_le_i32_e32 vcc_lo, s10, v9
	v_add_co_u32 v5, s0, v5, s4
	s_cmp_gt_u32 s13, 30
	v_add_co_ci_u32_e64 v6, s0, s5, v6, s0
	s_cselect_b32 s13, -1, 0
	v_add_co_u32 v7, s0, v7, s6
	s_or_b32 s13, s13, vcc_lo
	v_add_nc_u32_e32 v9, s1, v9
	v_add_co_ci_u32_e64 v8, vcc_lo, s7, v8, s0
	s_and_b32 s0, exec_lo, s13
	s_mov_b32 s13, s14
	s_or_b32 s12, s0, s12
	s_waitcnt vmcnt(0)
	v_mul_f64 v[18:19], v[12:13], v[16:17]
	v_mul_f64 v[16:17], v[10:11], v[16:17]
	s_delay_alu instid0(VALU_DEP_2) | instskip(NEXT) | instid1(VALU_DEP_2)
	v_fma_f64 v[10:11], v[10:11], v[14:15], v[18:19]
	v_fma_f64 v[12:13], v[12:13], v[14:15], -v[16:17]
	s_delay_alu instid0(VALU_DEP_2) | instskip(NEXT) | instid1(VALU_DEP_2)
	v_add_f64 v[3:4], v[3:4], v[10:11]
	v_add_f64 v[1:2], v[1:2], v[12:13]
	s_and_not1_b32 exec_lo, exec_lo, s12
	s_cbranch_execnz .LBB127_2
; %bb.3:
	s_set_inst_prefetch_distance 0x2
	s_or_b32 exec_lo, exec_lo, s12
.LBB127_4:
	s_delay_alu instid0(SALU_CYCLE_1) | instskip(SKIP_2) | instid1(VALU_DEP_2)
	s_or_b32 exec_lo, exec_lo, s11
	v_and_b32_e32 v15, 31, v0
	v_cmp_gt_u32_e32 vcc_lo, 32, v0
	v_lshlrev_b32_e32 v11, 4, v15
	s_and_saveexec_b32 s0, vcc_lo
	s_cbranch_execz .LBB127_6
; %bb.5:
	v_mov_b32_e32 v5, 0
	s_delay_alu instid0(VALU_DEP_1)
	v_mov_b32_e32 v6, v5
	v_mov_b32_e32 v7, v5
	;; [unrolled: 1-line block ×3, first 2 shown]
	ds_store_b128 v11, v[5:8]
.LBB127_6:
	s_or_b32 exec_lo, exec_lo, s0
	v_mbcnt_lo_u32_b32 v14, -1, 0
	s_mov_b32 s1, exec_lo
	s_waitcnt lgkmcnt(0)
	s_barrier
	buffer_gl0_inv
	v_cmp_gt_u32_e64 s0, 16, v14
	s_delay_alu instid0(VALU_DEP_1) | instskip(SKIP_1) | instid1(VALU_DEP_2)
	v_cndmask_b32_e64 v5, 0, 1, s0
	v_cmp_gt_u32_e64 s0, 24, v14
	v_lshlrev_b32_e32 v5, 4, v5
	s_delay_alu instid0(VALU_DEP_1)
	v_add_lshl_u32 v9, v5, v14, 2
	ds_bpermute_b32 v5, v9, v3
	ds_bpermute_b32 v6, v9, v4
	;; [unrolled: 1-line block ×4, first 2 shown]
	s_waitcnt lgkmcnt(2)
	v_add_f64 v[3:4], v[3:4], v[5:6]
	v_cndmask_b32_e64 v5, 0, 1, s0
	s_waitcnt lgkmcnt(0)
	v_add_f64 v[1:2], v[1:2], v[7:8]
	v_cmp_gt_u32_e64 s0, 28, v14
	s_delay_alu instid0(VALU_DEP_3) | instskip(NEXT) | instid1(VALU_DEP_1)
	v_lshlrev_b32_e32 v5, 3, v5
	v_add_lshl_u32 v10, v5, v14, 2
	ds_bpermute_b32 v5, v10, v3
	ds_bpermute_b32 v6, v10, v4
	;; [unrolled: 1-line block ×4, first 2 shown]
	s_waitcnt lgkmcnt(2)
	v_add_f64 v[3:4], v[3:4], v[5:6]
	v_cndmask_b32_e64 v5, 0, 1, s0
	s_waitcnt lgkmcnt(0)
	v_add_f64 v[1:2], v[1:2], v[7:8]
	v_cmp_gt_u32_e64 s0, 30, v14
	s_delay_alu instid0(VALU_DEP_3) | instskip(NEXT) | instid1(VALU_DEP_1)
	v_lshlrev_b32_e32 v5, 2, v5
	v_add_lshl_u32 v12, v5, v14, 2
	ds_bpermute_b32 v5, v12, v3
	ds_bpermute_b32 v6, v12, v4
	;; [unrolled: 1-line block ×4, first 2 shown]
	s_waitcnt lgkmcnt(2)
	v_add_f64 v[3:4], v[3:4], v[5:6]
	s_waitcnt lgkmcnt(0)
	v_add_f64 v[5:6], v[1:2], v[7:8]
	v_cndmask_b32_e64 v1, 0, 1, s0
	v_cmp_ne_u32_e64 s0, 31, v14
	s_delay_alu instid0(VALU_DEP_2) | instskip(NEXT) | instid1(VALU_DEP_1)
	v_lshlrev_b32_e32 v1, 1, v1
	v_add_lshl_u32 v13, v1, v14, 2
	ds_bpermute_b32 v1, v13, v3
	ds_bpermute_b32 v2, v13, v4
	;; [unrolled: 1-line block ×4, first 2 shown]
	s_waitcnt lgkmcnt(2)
	v_add_f64 v[1:2], v[3:4], v[1:2]
	v_add_co_ci_u32_e64 v3, s0, 0, v14, s0
	s_waitcnt lgkmcnt(0)
	v_add_f64 v[5:6], v[5:6], v[7:8]
	s_delay_alu instid0(VALU_DEP_2)
	v_lshlrev_b32_e32 v14, 2, v3
	ds_bpermute_b32 v3, v14, v1
	ds_bpermute_b32 v4, v14, v2
	;; [unrolled: 1-line block ×4, first 2 shown]
	v_cmpx_eq_u32_e32 0, v15
	s_cbranch_execz .LBB127_8
; %bb.7:
	s_waitcnt lgkmcnt(0)
	v_add_f64 v[5:6], v[5:6], v[7:8]
	v_add_f64 v[3:4], v[1:2], v[3:4]
	v_lshrrev_b32_e32 v1, 1, v0
	s_delay_alu instid0(VALU_DEP_1)
	v_and_b32_e32 v1, 0x1f0, v1
	ds_store_b128 v1, v[3:6]
.LBB127_8:
	s_or_b32 exec_lo, exec_lo, s1
	s_waitcnt lgkmcnt(2)
	v_mov_b32_e32 v3, 0
	v_mov_b32_e32 v4, 0
	s_delay_alu instid0(VALU_DEP_2)
	v_mov_b32_e32 v1, v3
	s_waitcnt lgkmcnt(0)
	s_barrier
	buffer_gl0_inv
	v_mov_b32_e32 v2, v4
	s_and_saveexec_b32 s0, vcc_lo
	s_cbranch_execz .LBB127_10
; %bb.9:
	ds_load_b128 v[1:4], v11
.LBB127_10:
	s_or_b32 exec_lo, exec_lo, s0
	s_and_saveexec_b32 s0, vcc_lo
	s_cbranch_execz .LBB127_12
; %bb.11:
	s_waitcnt lgkmcnt(0)
	ds_bpermute_b32 v5, v9, v1
	ds_bpermute_b32 v6, v9, v2
	ds_bpermute_b32 v7, v9, v3
	ds_bpermute_b32 v8, v9, v4
	s_waitcnt lgkmcnt(2)
	v_add_f64 v[1:2], v[1:2], v[5:6]
	s_waitcnt lgkmcnt(0)
	v_add_f64 v[3:4], v[3:4], v[7:8]
	ds_bpermute_b32 v5, v10, v1
	ds_bpermute_b32 v6, v10, v2
	ds_bpermute_b32 v7, v10, v3
	ds_bpermute_b32 v8, v10, v4
	s_waitcnt lgkmcnt(2)
	v_add_f64 v[1:2], v[1:2], v[5:6]
	s_waitcnt lgkmcnt(0)
	v_add_f64 v[3:4], v[3:4], v[7:8]
	ds_bpermute_b32 v5, v12, v1
	ds_bpermute_b32 v6, v12, v2
	ds_bpermute_b32 v7, v12, v3
	ds_bpermute_b32 v8, v12, v4
	s_waitcnt lgkmcnt(2)
	v_add_f64 v[1:2], v[1:2], v[5:6]
	s_waitcnt lgkmcnt(0)
	v_add_f64 v[3:4], v[3:4], v[7:8]
	ds_bpermute_b32 v5, v13, v1
	ds_bpermute_b32 v6, v13, v2
	ds_bpermute_b32 v7, v13, v3
	ds_bpermute_b32 v8, v13, v4
	s_waitcnt lgkmcnt(2)
	v_add_f64 v[1:2], v[1:2], v[5:6]
	s_waitcnt lgkmcnt(0)
	v_add_f64 v[3:4], v[3:4], v[7:8]
	ds_bpermute_b32 v5, v14, v1
	ds_bpermute_b32 v6, v14, v2
	ds_bpermute_b32 v7, v14, v3
	ds_bpermute_b32 v8, v14, v4
	s_waitcnt lgkmcnt(2)
	v_add_f64 v[1:2], v[1:2], v[5:6]
	s_waitcnt lgkmcnt(0)
	v_add_f64 v[3:4], v[3:4], v[7:8]
.LBB127_12:
	s_or_b32 exec_lo, exec_lo, s0
	s_delay_alu instid0(SALU_CYCLE_1)
	s_mov_b32 s0, exec_lo
	v_cmpx_eq_u32_e32 0, v0
	s_cbranch_execz .LBB127_14
; %bb.13:
	s_lshl_b64 s[0:1], s[8:9], 4
	v_mov_b32_e32 v0, 0
	s_add_u32 s0, s2, s0
	s_addc_u32 s1, s3, s1
	s_waitcnt lgkmcnt(0)
	global_store_b128 v0, v[1:4], s[0:1]
.LBB127_14:
	s_nop 0
	s_sendmsg sendmsg(MSG_DEALLOC_VGPRS)
	s_endpgm
	.section	.rodata,"a",@progbits
	.p2align	6, 0x0
	.amdhsa_kernel _ZL18rocblas_dot_kernelIiLb1ELi1024ELi32ELb1E19rocblas_complex_numIdEPKS1_S1_EviT5_lT_lS4_lS5_liPT6_PT4_
		.amdhsa_group_segment_fixed_size 512
		.amdhsa_private_segment_fixed_size 0
		.amdhsa_kernarg_size 352
		.amdhsa_user_sgpr_count 14
		.amdhsa_user_sgpr_dispatch_ptr 0
		.amdhsa_user_sgpr_queue_ptr 0
		.amdhsa_user_sgpr_kernarg_segment_ptr 1
		.amdhsa_user_sgpr_dispatch_id 0
		.amdhsa_user_sgpr_private_segment_size 0
		.amdhsa_wavefront_size32 1
		.amdhsa_uses_dynamic_stack 0
		.amdhsa_enable_private_segment 0
		.amdhsa_system_sgpr_workgroup_id_x 1
		.amdhsa_system_sgpr_workgroup_id_y 0
		.amdhsa_system_sgpr_workgroup_id_z 1
		.amdhsa_system_sgpr_workgroup_info 0
		.amdhsa_system_vgpr_workitem_id 0
		.amdhsa_next_free_vgpr 20
		.amdhsa_next_free_sgpr 25
		.amdhsa_reserve_vcc 1
		.amdhsa_float_round_mode_32 0
		.amdhsa_float_round_mode_16_64 0
		.amdhsa_float_denorm_mode_32 3
		.amdhsa_float_denorm_mode_16_64 3
		.amdhsa_dx10_clamp 1
		.amdhsa_ieee_mode 1
		.amdhsa_fp16_overflow 0
		.amdhsa_workgroup_processor_mode 1
		.amdhsa_memory_ordered 1
		.amdhsa_forward_progress 0
		.amdhsa_shared_vgpr_count 0
		.amdhsa_exception_fp_ieee_invalid_op 0
		.amdhsa_exception_fp_denorm_src 0
		.amdhsa_exception_fp_ieee_div_zero 0
		.amdhsa_exception_fp_ieee_overflow 0
		.amdhsa_exception_fp_ieee_underflow 0
		.amdhsa_exception_fp_ieee_inexact 0
		.amdhsa_exception_int_div_zero 0
	.end_amdhsa_kernel
	.section	.text._ZL18rocblas_dot_kernelIiLb1ELi1024ELi32ELb1E19rocblas_complex_numIdEPKS1_S1_EviT5_lT_lS4_lS5_liPT6_PT4_,"axG",@progbits,_ZL18rocblas_dot_kernelIiLb1ELi1024ELi32ELb1E19rocblas_complex_numIdEPKS1_S1_EviT5_lT_lS4_lS5_liPT6_PT4_,comdat
.Lfunc_end127:
	.size	_ZL18rocblas_dot_kernelIiLb1ELi1024ELi32ELb1E19rocblas_complex_numIdEPKS1_S1_EviT5_lT_lS4_lS5_liPT6_PT4_, .Lfunc_end127-_ZL18rocblas_dot_kernelIiLb1ELi1024ELi32ELb1E19rocblas_complex_numIdEPKS1_S1_EviT5_lT_lS4_lS5_liPT6_PT4_
                                        ; -- End function
	.section	.AMDGPU.csdata,"",@progbits
; Kernel info:
; codeLenInByte = 1492
; NumSgprs: 27
; NumVgprs: 20
; ScratchSize: 0
; MemoryBound: 0
; FloatMode: 240
; IeeeMode: 1
; LDSByteSize: 512 bytes/workgroup (compile time only)
; SGPRBlocks: 3
; VGPRBlocks: 2
; NumSGPRsForWavesPerEU: 27
; NumVGPRsForWavesPerEU: 20
; Occupancy: 16
; WaveLimiterHint : 0
; COMPUTE_PGM_RSRC2:SCRATCH_EN: 0
; COMPUTE_PGM_RSRC2:USER_SGPR: 14
; COMPUTE_PGM_RSRC2:TRAP_HANDLER: 0
; COMPUTE_PGM_RSRC2:TGID_X_EN: 1
; COMPUTE_PGM_RSRC2:TGID_Y_EN: 0
; COMPUTE_PGM_RSRC2:TGID_Z_EN: 1
; COMPUTE_PGM_RSRC2:TIDIG_COMP_CNT: 0
	.section	.text._ZL24rocblas_dot_kernel_magsqIiLb1ELi1024ELi32ELb1E19rocblas_complex_numIdEPKS1_S1_EviT5_lT_liPT6_PT4_,"axG",@progbits,_ZL24rocblas_dot_kernel_magsqIiLb1ELi1024ELi32ELb1E19rocblas_complex_numIdEPKS1_S1_EviT5_lT_liPT6_PT4_,comdat
	.globl	_ZL24rocblas_dot_kernel_magsqIiLb1ELi1024ELi32ELb1E19rocblas_complex_numIdEPKS1_S1_EviT5_lT_liPT6_PT4_ ; -- Begin function _ZL24rocblas_dot_kernel_magsqIiLb1ELi1024ELi32ELb1E19rocblas_complex_numIdEPKS1_S1_EviT5_lT_liPT6_PT4_
	.p2align	8
	.type	_ZL24rocblas_dot_kernel_magsqIiLb1ELi1024ELi32ELb1E19rocblas_complex_numIdEPKS1_S1_EviT5_lT_liPT6_PT4_,@function
_ZL24rocblas_dot_kernel_magsqIiLb1ELi1024ELi32ELb1E19rocblas_complex_numIdEPKS1_S1_EviT5_lT_liPT6_PT4_: ; @_ZL24rocblas_dot_kernel_magsqIiLb1ELi1024ELi32ELb1E19rocblas_complex_numIdEPKS1_S1_EviT5_lT_liPT6_PT4_
; %bb.0:
	s_clause 0x1
	s_load_b32 s8, s[0:1], 0x0
	s_load_b64 s[2:3], s[0:1], 0x38
	v_mov_b32_e32 v1, 0
	v_mov_b32_e32 v2, 0
	s_mov_b32 s4, s15
	s_mov_b32 s5, 0
	s_mov_b32 s9, exec_lo
	s_delay_alu instid0(VALU_DEP_1)
	v_dual_mov_b32 v4, v2 :: v_dual_mov_b32 v3, v1
	s_waitcnt lgkmcnt(0)
	v_cmpx_gt_i32_e64 s8, v0
	s_cbranch_execz .LBB128_4
; %bb.1:
	s_clause 0x3
	s_load_b32 s10, s[0:1], 0x40
	s_load_b64 s[6:7], s[0:1], 0x20
	s_load_b32 s16, s[0:1], 0x18
	s_load_b128 s[12:15], s[0:1], 0x8
	v_mov_b32_e32 v1, 0
	v_mov_b32_e32 v2, 0
	s_waitcnt lgkmcnt(0)
	s_lshl_b32 s1, s10, 10
	s_mul_i32 s0, s7, s4
	v_mad_i64_i32 v[3:4], null, s16, v0, 0
	s_mul_hi_u32 s7, s6, s4
	s_mul_i32 s6, s6, s4
	s_add_i32 s7, s7, s0
	s_lshl_b64 s[10:11], s[14:15], 4
	s_lshl_b64 s[6:7], s[6:7], 4
	s_add_u32 s0, s12, s10
	s_delay_alu instid0(VALU_DEP_1)
	v_lshlrev_b64 v[3:4], 4, v[3:4]
	s_addc_u32 s10, s13, s11
	s_add_u32 s0, s0, s6
	s_addc_u32 s6, s10, s7
	v_or_b32_e32 v7, s1, v0
	s_mul_hi_i32 s15, s16, s1
	v_add_co_u32 v5, vcc_lo, s0, v3
	v_add_co_ci_u32_e32 v6, vcc_lo, s6, v4, vcc_lo
	v_dual_mov_b32 v4, v2 :: v_dual_mov_b32 v3, v1
	s_mul_i32 s14, s16, s1
	s_mov_b32 s10, s5
	s_lshl_b64 s[6:7], s[14:15], 4
	s_mov_b32 s11, s5
	.p2align	6
.LBB128_2:                              ; =>This Inner Loop Header: Depth=1
	global_load_b128 v[8:11], v[5:6], off
	s_add_i32 s12, s11, 1
	v_cmp_le_i32_e32 vcc_lo, s8, v7
	s_cmp_gt_u32 s11, 30
	v_add_co_u32 v5, s0, v5, s6
	s_cselect_b32 s11, -1, 0
	v_add_nc_u32_e32 v7, s1, v7
	s_or_b32 s11, s11, vcc_lo
	v_add_co_ci_u32_e64 v6, vcc_lo, s7, v6, s0
	s_and_b32 s0, exec_lo, s11
	s_mov_b32 s11, s12
	s_or_b32 s10, s0, s10
	s_waitcnt vmcnt(0)
	v_mul_f64 v[12:13], v[10:11], v[10:11]
	v_mul_f64 v[14:15], v[8:9], v[10:11]
	s_delay_alu instid0(VALU_DEP_2) | instskip(NEXT) | instid1(VALU_DEP_2)
	v_fma_f64 v[12:13], v[8:9], v[8:9], v[12:13]
	v_fma_f64 v[8:9], v[8:9], v[10:11], -v[14:15]
	s_delay_alu instid0(VALU_DEP_2) | instskip(NEXT) | instid1(VALU_DEP_2)
	v_add_f64 v[3:4], v[3:4], v[12:13]
	v_add_f64 v[1:2], v[1:2], v[8:9]
	s_and_not1_b32 exec_lo, exec_lo, s10
	s_cbranch_execnz .LBB128_2
; %bb.3:
	s_or_b32 exec_lo, exec_lo, s10
.LBB128_4:
	s_delay_alu instid0(SALU_CYCLE_1) | instskip(SKIP_2) | instid1(VALU_DEP_2)
	s_or_b32 exec_lo, exec_lo, s9
	v_and_b32_e32 v15, 31, v0
	v_cmp_gt_u32_e32 vcc_lo, 32, v0
	v_lshlrev_b32_e32 v11, 4, v15
	s_and_saveexec_b32 s0, vcc_lo
	s_cbranch_execz .LBB128_6
; %bb.5:
	v_mov_b32_e32 v5, 0
	s_delay_alu instid0(VALU_DEP_1)
	v_mov_b32_e32 v6, v5
	v_mov_b32_e32 v7, v5
	;; [unrolled: 1-line block ×3, first 2 shown]
	ds_store_b128 v11, v[5:8]
.LBB128_6:
	s_or_b32 exec_lo, exec_lo, s0
	v_mbcnt_lo_u32_b32 v14, -1, 0
	s_mov_b32 s1, exec_lo
	s_waitcnt lgkmcnt(0)
	s_barrier
	buffer_gl0_inv
	v_cmp_gt_u32_e64 s0, 16, v14
	s_delay_alu instid0(VALU_DEP_1) | instskip(SKIP_1) | instid1(VALU_DEP_2)
	v_cndmask_b32_e64 v5, 0, 1, s0
	v_cmp_gt_u32_e64 s0, 24, v14
	v_lshlrev_b32_e32 v5, 4, v5
	s_delay_alu instid0(VALU_DEP_1)
	v_add_lshl_u32 v9, v5, v14, 2
	ds_bpermute_b32 v5, v9, v3
	ds_bpermute_b32 v6, v9, v4
	;; [unrolled: 1-line block ×4, first 2 shown]
	s_waitcnt lgkmcnt(2)
	v_add_f64 v[3:4], v[3:4], v[5:6]
	v_cndmask_b32_e64 v5, 0, 1, s0
	s_waitcnt lgkmcnt(0)
	v_add_f64 v[1:2], v[1:2], v[7:8]
	v_cmp_gt_u32_e64 s0, 28, v14
	s_delay_alu instid0(VALU_DEP_3) | instskip(NEXT) | instid1(VALU_DEP_1)
	v_lshlrev_b32_e32 v5, 3, v5
	v_add_lshl_u32 v10, v5, v14, 2
	ds_bpermute_b32 v5, v10, v3
	ds_bpermute_b32 v6, v10, v4
	;; [unrolled: 1-line block ×4, first 2 shown]
	s_waitcnt lgkmcnt(2)
	v_add_f64 v[3:4], v[3:4], v[5:6]
	v_cndmask_b32_e64 v5, 0, 1, s0
	s_waitcnt lgkmcnt(0)
	v_add_f64 v[1:2], v[1:2], v[7:8]
	v_cmp_gt_u32_e64 s0, 30, v14
	s_delay_alu instid0(VALU_DEP_3) | instskip(NEXT) | instid1(VALU_DEP_1)
	v_lshlrev_b32_e32 v5, 2, v5
	v_add_lshl_u32 v12, v5, v14, 2
	ds_bpermute_b32 v5, v12, v3
	ds_bpermute_b32 v6, v12, v4
	;; [unrolled: 1-line block ×4, first 2 shown]
	s_waitcnt lgkmcnt(2)
	v_add_f64 v[3:4], v[3:4], v[5:6]
	s_waitcnt lgkmcnt(0)
	v_add_f64 v[5:6], v[1:2], v[7:8]
	v_cndmask_b32_e64 v1, 0, 1, s0
	v_cmp_ne_u32_e64 s0, 31, v14
	s_delay_alu instid0(VALU_DEP_2) | instskip(NEXT) | instid1(VALU_DEP_1)
	v_lshlrev_b32_e32 v1, 1, v1
	v_add_lshl_u32 v13, v1, v14, 2
	ds_bpermute_b32 v1, v13, v3
	ds_bpermute_b32 v2, v13, v4
	;; [unrolled: 1-line block ×4, first 2 shown]
	s_waitcnt lgkmcnt(2)
	v_add_f64 v[1:2], v[3:4], v[1:2]
	v_add_co_ci_u32_e64 v3, s0, 0, v14, s0
	s_waitcnt lgkmcnt(0)
	v_add_f64 v[5:6], v[5:6], v[7:8]
	s_delay_alu instid0(VALU_DEP_2)
	v_lshlrev_b32_e32 v14, 2, v3
	ds_bpermute_b32 v3, v14, v1
	ds_bpermute_b32 v4, v14, v2
	ds_bpermute_b32 v7, v14, v5
	ds_bpermute_b32 v8, v14, v6
	v_cmpx_eq_u32_e32 0, v15
	s_cbranch_execz .LBB128_8
; %bb.7:
	s_waitcnt lgkmcnt(0)
	v_add_f64 v[5:6], v[5:6], v[7:8]
	v_add_f64 v[3:4], v[1:2], v[3:4]
	v_lshrrev_b32_e32 v1, 1, v0
	s_delay_alu instid0(VALU_DEP_1)
	v_and_b32_e32 v1, 0x1f0, v1
	ds_store_b128 v1, v[3:6]
.LBB128_8:
	s_or_b32 exec_lo, exec_lo, s1
	s_waitcnt lgkmcnt(2)
	v_mov_b32_e32 v3, 0
	v_mov_b32_e32 v4, 0
	s_delay_alu instid0(VALU_DEP_2)
	v_mov_b32_e32 v1, v3
	s_waitcnt lgkmcnt(0)
	s_barrier
	buffer_gl0_inv
	v_mov_b32_e32 v2, v4
	s_and_saveexec_b32 s0, vcc_lo
	s_cbranch_execz .LBB128_10
; %bb.9:
	ds_load_b128 v[1:4], v11
.LBB128_10:
	s_or_b32 exec_lo, exec_lo, s0
	s_and_saveexec_b32 s0, vcc_lo
	s_cbranch_execz .LBB128_12
; %bb.11:
	s_waitcnt lgkmcnt(0)
	ds_bpermute_b32 v5, v9, v1
	ds_bpermute_b32 v6, v9, v2
	ds_bpermute_b32 v7, v9, v3
	ds_bpermute_b32 v8, v9, v4
	s_waitcnt lgkmcnt(2)
	v_add_f64 v[1:2], v[1:2], v[5:6]
	s_waitcnt lgkmcnt(0)
	v_add_f64 v[3:4], v[3:4], v[7:8]
	ds_bpermute_b32 v5, v10, v1
	ds_bpermute_b32 v6, v10, v2
	ds_bpermute_b32 v7, v10, v3
	ds_bpermute_b32 v8, v10, v4
	s_waitcnt lgkmcnt(2)
	v_add_f64 v[1:2], v[1:2], v[5:6]
	s_waitcnt lgkmcnt(0)
	v_add_f64 v[3:4], v[3:4], v[7:8]
	ds_bpermute_b32 v5, v12, v1
	ds_bpermute_b32 v6, v12, v2
	ds_bpermute_b32 v7, v12, v3
	ds_bpermute_b32 v8, v12, v4
	s_waitcnt lgkmcnt(2)
	v_add_f64 v[1:2], v[1:2], v[5:6]
	s_waitcnt lgkmcnt(0)
	v_add_f64 v[3:4], v[3:4], v[7:8]
	ds_bpermute_b32 v5, v13, v1
	ds_bpermute_b32 v6, v13, v2
	ds_bpermute_b32 v7, v13, v3
	ds_bpermute_b32 v8, v13, v4
	s_waitcnt lgkmcnt(2)
	v_add_f64 v[1:2], v[1:2], v[5:6]
	s_waitcnt lgkmcnt(0)
	v_add_f64 v[3:4], v[3:4], v[7:8]
	ds_bpermute_b32 v5, v14, v1
	ds_bpermute_b32 v6, v14, v2
	ds_bpermute_b32 v7, v14, v3
	ds_bpermute_b32 v8, v14, v4
	s_waitcnt lgkmcnt(2)
	v_add_f64 v[1:2], v[1:2], v[5:6]
	s_waitcnt lgkmcnt(0)
	v_add_f64 v[3:4], v[3:4], v[7:8]
.LBB128_12:
	s_or_b32 exec_lo, exec_lo, s0
	s_delay_alu instid0(SALU_CYCLE_1)
	s_mov_b32 s0, exec_lo
	v_cmpx_eq_u32_e32 0, v0
	s_cbranch_execz .LBB128_14
; %bb.13:
	s_lshl_b64 s[0:1], s[4:5], 4
	v_mov_b32_e32 v0, 0
	s_add_u32 s0, s2, s0
	s_addc_u32 s1, s3, s1
	s_waitcnt lgkmcnt(0)
	global_store_b128 v0, v[1:4], s[0:1]
.LBB128_14:
	s_nop 0
	s_sendmsg sendmsg(MSG_DEALLOC_VGPRS)
	s_endpgm
	.section	.rodata,"a",@progbits
	.p2align	6, 0x0
	.amdhsa_kernel _ZL24rocblas_dot_kernel_magsqIiLb1ELi1024ELi32ELb1E19rocblas_complex_numIdEPKS1_S1_EviT5_lT_liPT6_PT4_
		.amdhsa_group_segment_fixed_size 512
		.amdhsa_private_segment_fixed_size 0
		.amdhsa_kernarg_size 320
		.amdhsa_user_sgpr_count 14
		.amdhsa_user_sgpr_dispatch_ptr 0
		.amdhsa_user_sgpr_queue_ptr 0
		.amdhsa_user_sgpr_kernarg_segment_ptr 1
		.amdhsa_user_sgpr_dispatch_id 0
		.amdhsa_user_sgpr_private_segment_size 0
		.amdhsa_wavefront_size32 1
		.amdhsa_uses_dynamic_stack 0
		.amdhsa_enable_private_segment 0
		.amdhsa_system_sgpr_workgroup_id_x 1
		.amdhsa_system_sgpr_workgroup_id_y 0
		.amdhsa_system_sgpr_workgroup_id_z 1
		.amdhsa_system_sgpr_workgroup_info 0
		.amdhsa_system_vgpr_workitem_id 0
		.amdhsa_next_free_vgpr 16
		.amdhsa_next_free_sgpr 17
		.amdhsa_reserve_vcc 1
		.amdhsa_float_round_mode_32 0
		.amdhsa_float_round_mode_16_64 0
		.amdhsa_float_denorm_mode_32 3
		.amdhsa_float_denorm_mode_16_64 3
		.amdhsa_dx10_clamp 1
		.amdhsa_ieee_mode 1
		.amdhsa_fp16_overflow 0
		.amdhsa_workgroup_processor_mode 1
		.amdhsa_memory_ordered 1
		.amdhsa_forward_progress 0
		.amdhsa_shared_vgpr_count 0
		.amdhsa_exception_fp_ieee_invalid_op 0
		.amdhsa_exception_fp_denorm_src 0
		.amdhsa_exception_fp_ieee_div_zero 0
		.amdhsa_exception_fp_ieee_overflow 0
		.amdhsa_exception_fp_ieee_underflow 0
		.amdhsa_exception_fp_ieee_inexact 0
		.amdhsa_exception_int_div_zero 0
	.end_amdhsa_kernel
	.section	.text._ZL24rocblas_dot_kernel_magsqIiLb1ELi1024ELi32ELb1E19rocblas_complex_numIdEPKS1_S1_EviT5_lT_liPT6_PT4_,"axG",@progbits,_ZL24rocblas_dot_kernel_magsqIiLb1ELi1024ELi32ELb1E19rocblas_complex_numIdEPKS1_S1_EviT5_lT_liPT6_PT4_,comdat
.Lfunc_end128:
	.size	_ZL24rocblas_dot_kernel_magsqIiLb1ELi1024ELi32ELb1E19rocblas_complex_numIdEPKS1_S1_EviT5_lT_liPT6_PT4_, .Lfunc_end128-_ZL24rocblas_dot_kernel_magsqIiLb1ELi1024ELi32ELb1E19rocblas_complex_numIdEPKS1_S1_EviT5_lT_liPT6_PT4_
                                        ; -- End function
	.section	.AMDGPU.csdata,"",@progbits
; Kernel info:
; codeLenInByte = 1324
; NumSgprs: 19
; NumVgprs: 16
; ScratchSize: 0
; MemoryBound: 0
; FloatMode: 240
; IeeeMode: 1
; LDSByteSize: 512 bytes/workgroup (compile time only)
; SGPRBlocks: 2
; VGPRBlocks: 1
; NumSGPRsForWavesPerEU: 19
; NumVGPRsForWavesPerEU: 16
; Occupancy: 16
; WaveLimiterHint : 0
; COMPUTE_PGM_RSRC2:SCRATCH_EN: 0
; COMPUTE_PGM_RSRC2:USER_SGPR: 14
; COMPUTE_PGM_RSRC2:TRAP_HANDLER: 0
; COMPUTE_PGM_RSRC2:TGID_X_EN: 1
; COMPUTE_PGM_RSRC2:TGID_Y_EN: 0
; COMPUTE_PGM_RSRC2:TGID_Z_EN: 1
; COMPUTE_PGM_RSRC2:TIDIG_COMP_CNT: 0
	.section	.text._ZL23rocblas_dot_kernel_inc1ILb0ELi512ELi2ELb1E19rocblas_complex_numIdEPKS1_S1_EviT4_llS4_lliPT5_PT3_,"axG",@progbits,_ZL23rocblas_dot_kernel_inc1ILb0ELi512ELi2ELb1E19rocblas_complex_numIdEPKS1_S1_EviT4_llS4_lliPT5_PT3_,comdat
	.globl	_ZL23rocblas_dot_kernel_inc1ILb0ELi512ELi2ELb1E19rocblas_complex_numIdEPKS1_S1_EviT4_llS4_lliPT5_PT3_ ; -- Begin function _ZL23rocblas_dot_kernel_inc1ILb0ELi512ELi2ELb1E19rocblas_complex_numIdEPKS1_S1_EviT4_llS4_lliPT5_PT3_
	.p2align	8
	.type	_ZL23rocblas_dot_kernel_inc1ILb0ELi512ELi2ELb1E19rocblas_complex_numIdEPKS1_S1_EviT4_llS4_lliPT5_PT3_,@function
_ZL23rocblas_dot_kernel_inc1ILb0ELi512ELi2ELb1E19rocblas_complex_numIdEPKS1_S1_EviT4_llS4_lliPT5_PT3_: ; @_ZL23rocblas_dot_kernel_inc1ILb0ELi512ELi2ELb1E19rocblas_complex_numIdEPKS1_S1_EviT4_llS4_lliPT5_PT3_
; %bb.0:
	s_clause 0x1
	s_load_b32 s10, s[0:1], 0x0
	s_load_b32 s3, s[0:1], 0x50
	v_mov_b32_e32 v1, 0
	v_mov_b32_e32 v2, 0
	v_lshl_or_b32 v5, s14, 9, v0
	s_mov_b32 s8, s15
	s_mov_b32 s9, 0
	s_mov_b32 s2, exec_lo
	v_dual_mov_b32 v4, v2 :: v_dual_mov_b32 v3, v1
	s_waitcnt lgkmcnt(0)
	v_cmpx_gt_i32_e64 s10, v5
	s_cbranch_execz .LBB129_4
; %bb.1:
	s_clause 0x3
	s_load_b128 s[16:19], s[0:1], 0x10
	s_load_b128 s[4:7], s[0:1], 0x28
	s_load_b64 s[12:13], s[0:1], 0x8
	s_load_b64 s[20:21], s[0:1], 0x20
	v_ashrrev_i32_e32 v6, 31, v5
	s_delay_alu instid0(VALU_DEP_1)
	v_lshlrev_b64 v[1:2], 4, v[5:6]
	s_waitcnt lgkmcnt(0)
	s_mul_i32 s11, s8, s19
	s_mul_hi_u32 s15, s8, s18
	s_mul_i32 s18, s8, s18
	s_add_i32 s19, s15, s11
	s_mul_i32 s11, s8, s7
	s_lshl_b64 s[18:19], s[18:19], 4
	s_mul_hi_u32 s15, s8, s6
	s_add_u32 s7, s12, s18
	s_addc_u32 s18, s13, s19
	s_lshl_b64 s[12:13], s[16:17], 4
	s_mul_i32 s16, s8, s6
	s_add_u32 s6, s7, s12
	s_addc_u32 s7, s18, s13
	s_add_i32 s17, s15, s11
	v_add_co_u32 v3, vcc_lo, s6, v1
	s_lshl_b64 s[12:13], s[16:17], 4
	v_add_co_ci_u32_e32 v4, vcc_lo, s7, v2, vcc_lo
	s_add_u32 s11, s20, s12
	s_addc_u32 s15, s21, s13
	s_lshl_b64 s[12:13], s[4:5], 4
	s_delay_alu instid0(SALU_CYCLE_1)
	s_add_u32 s5, s11, s12
	s_addc_u32 s11, s15, s13
	v_add_co_u32 v5, vcc_lo, s5, v1
	v_add_co_ci_u32_e32 v6, vcc_lo, s11, v2, vcc_lo
	global_load_b128 v[1:4], v[3:4], off
	global_load_b128 v[5:8], v[5:6], off
	s_add_i32 s4, s14, s3
	s_waitcnt vmcnt(0)
	v_mul_f64 v[9:10], v[7:8], v[3:4]
	v_mul_f64 v[3:4], v[5:6], v[3:4]
	s_delay_alu instid0(VALU_DEP_2) | instskip(NEXT) | instid1(VALU_DEP_2)
	v_fma_f64 v[5:6], v[5:6], v[1:2], v[9:10]
	v_fma_f64 v[3:4], v[7:8], v[1:2], -v[3:4]
	s_delay_alu instid0(VALU_DEP_2) | instskip(NEXT) | instid1(VALU_DEP_2)
	v_add_f64 v[1:2], v[5:6], 0
	v_add_f64 v[3:4], v[3:4], 0
	v_lshl_or_b32 v5, s4, 9, v0
	s_mov_b32 s4, exec_lo
	s_delay_alu instid0(VALU_DEP_1)
	v_cmpx_gt_i32_e64 s10, v5
	s_cbranch_execz .LBB129_3
; %bb.2:
	v_ashrrev_i32_e32 v6, 31, v5
	s_delay_alu instid0(VALU_DEP_1) | instskip(NEXT) | instid1(VALU_DEP_1)
	v_lshlrev_b64 v[5:6], 4, v[5:6]
	v_add_co_u32 v7, vcc_lo, s5, v5
	s_delay_alu instid0(VALU_DEP_2)
	v_add_co_ci_u32_e32 v8, vcc_lo, s11, v6, vcc_lo
	v_add_co_u32 v9, vcc_lo, s6, v5
	v_add_co_ci_u32_e32 v10, vcc_lo, s7, v6, vcc_lo
	global_load_b128 v[5:8], v[7:8], off
	global_load_b128 v[9:12], v[9:10], off
	s_waitcnt vmcnt(0)
	v_mul_f64 v[13:14], v[5:6], v[11:12]
	v_mul_f64 v[11:12], v[7:8], v[11:12]
	s_delay_alu instid0(VALU_DEP_2) | instskip(NEXT) | instid1(VALU_DEP_2)
	v_fma_f64 v[7:8], v[7:8], v[9:10], -v[13:14]
	v_fma_f64 v[5:6], v[5:6], v[9:10], v[11:12]
	s_delay_alu instid0(VALU_DEP_2) | instskip(NEXT) | instid1(VALU_DEP_2)
	v_add_f64 v[3:4], v[3:4], v[7:8]
	v_add_f64 v[1:2], v[1:2], v[5:6]
.LBB129_3:
	s_or_b32 exec_lo, exec_lo, s4
.LBB129_4:
	s_delay_alu instid0(SALU_CYCLE_1) | instskip(SKIP_2) | instid1(VALU_DEP_2)
	s_or_b32 exec_lo, exec_lo, s2
	v_and_b32_e32 v14, 31, v0
	v_cmp_gt_u32_e32 vcc_lo, 32, v0
	v_lshlrev_b32_e32 v9, 4, v14
	s_and_saveexec_b32 s2, vcc_lo
	s_cbranch_execz .LBB129_6
; %bb.5:
	v_mov_b32_e32 v5, 0
	s_delay_alu instid0(VALU_DEP_1)
	v_mov_b32_e32 v6, v5
	v_mov_b32_e32 v7, v5
	;; [unrolled: 1-line block ×3, first 2 shown]
	ds_store_b128 v9, v[5:8]
.LBB129_6:
	s_or_b32 exec_lo, exec_lo, s2
	v_mbcnt_lo_u32_b32 v13, -1, 0
	s_mov_b32 s4, exec_lo
	s_waitcnt lgkmcnt(0)
	s_barrier
	buffer_gl0_inv
	v_cmp_gt_u32_e64 s2, 16, v13
	s_delay_alu instid0(VALU_DEP_1) | instskip(SKIP_1) | instid1(VALU_DEP_2)
	v_cndmask_b32_e64 v5, 0, 1, s2
	v_cmp_gt_u32_e64 s2, 24, v13
	v_lshlrev_b32_e32 v5, 4, v5
	s_delay_alu instid0(VALU_DEP_1)
	v_add_lshl_u32 v8, v5, v13, 2
	ds_bpermute_b32 v5, v8, v1
	ds_bpermute_b32 v6, v8, v2
	;; [unrolled: 1-line block ×4, first 2 shown]
	s_waitcnt lgkmcnt(2)
	v_add_f64 v[1:2], v[1:2], v[5:6]
	v_cndmask_b32_e64 v5, 0, 1, s2
	s_waitcnt lgkmcnt(0)
	v_add_f64 v[3:4], v[3:4], v[7:8]
	v_cmp_gt_u32_e64 s2, 28, v13
	s_delay_alu instid0(VALU_DEP_3) | instskip(NEXT) | instid1(VALU_DEP_1)
	v_lshlrev_b32_e32 v5, 3, v5
	v_add_lshl_u32 v10, v5, v13, 2
	ds_bpermute_b32 v5, v10, v1
	ds_bpermute_b32 v6, v10, v2
	;; [unrolled: 1-line block ×4, first 2 shown]
	s_waitcnt lgkmcnt(2)
	v_add_f64 v[1:2], v[1:2], v[5:6]
	v_cndmask_b32_e64 v5, 0, 1, s2
	s_waitcnt lgkmcnt(0)
	v_add_f64 v[3:4], v[3:4], v[7:8]
	v_cmp_gt_u32_e64 s2, 30, v13
	s_delay_alu instid0(VALU_DEP_3) | instskip(NEXT) | instid1(VALU_DEP_1)
	v_lshlrev_b32_e32 v5, 2, v5
	v_add_lshl_u32 v11, v5, v13, 2
	ds_bpermute_b32 v5, v11, v1
	ds_bpermute_b32 v6, v11, v2
	;; [unrolled: 1-line block ×4, first 2 shown]
	s_waitcnt lgkmcnt(2)
	v_add_f64 v[1:2], v[1:2], v[5:6]
	v_cndmask_b32_e64 v5, 0, 1, s2
	s_waitcnt lgkmcnt(0)
	v_add_f64 v[3:4], v[3:4], v[7:8]
	v_cmp_ne_u32_e64 s2, 31, v13
	s_delay_alu instid0(VALU_DEP_3) | instskip(NEXT) | instid1(VALU_DEP_1)
	v_lshlrev_b32_e32 v5, 1, v5
	v_add_lshl_u32 v12, v5, v13, 2
	ds_bpermute_b32 v5, v12, v1
	ds_bpermute_b32 v6, v12, v2
	;; [unrolled: 1-line block ×4, first 2 shown]
	s_waitcnt lgkmcnt(2)
	v_add_f64 v[1:2], v[1:2], v[5:6]
	s_waitcnt lgkmcnt(0)
	v_add_f64 v[5:6], v[3:4], v[7:8]
	v_add_co_ci_u32_e64 v3, s2, 0, v13, s2
	s_delay_alu instid0(VALU_DEP_1)
	v_lshlrev_b32_e32 v13, 2, v3
	ds_bpermute_b32 v3, v13, v1
	ds_bpermute_b32 v4, v13, v2
	;; [unrolled: 1-line block ×4, first 2 shown]
	v_cmpx_eq_u32_e32 0, v14
	s_cbranch_execz .LBB129_8
; %bb.7:
	s_waitcnt lgkmcnt(0)
	v_add_f64 v[5:6], v[5:6], v[7:8]
	v_add_f64 v[3:4], v[1:2], v[3:4]
	v_lshrrev_b32_e32 v1, 1, v0
	s_delay_alu instid0(VALU_DEP_1)
	v_and_b32_e32 v1, 0xf0, v1
	ds_store_b128 v1, v[3:6]
.LBB129_8:
	s_or_b32 exec_lo, exec_lo, s4
	s_waitcnt lgkmcnt(2)
	v_mov_b32_e32 v3, 0
	v_mov_b32_e32 v4, 0
	s_delay_alu instid0(VALU_DEP_2)
	v_mov_b32_e32 v1, v3
	s_mov_b32 s4, exec_lo
	s_waitcnt lgkmcnt(0)
	s_barrier
	v_mov_b32_e32 v2, v4
	buffer_gl0_inv
	v_cmpx_gt_u32_e32 16, v0
	s_cbranch_execz .LBB129_10
; %bb.9:
	ds_load_b128 v[1:4], v9
.LBB129_10:
	s_or_b32 exec_lo, exec_lo, s4
	s_and_saveexec_b32 s2, vcc_lo
	s_cbranch_execz .LBB129_12
; %bb.11:
	s_waitcnt lgkmcnt(0)
	ds_bpermute_b32 v5, v10, v1
	ds_bpermute_b32 v6, v10, v2
	ds_bpermute_b32 v7, v10, v3
	ds_bpermute_b32 v8, v10, v4
	s_waitcnt lgkmcnt(2)
	v_add_f64 v[1:2], v[1:2], v[5:6]
	s_waitcnt lgkmcnt(0)
	v_add_f64 v[3:4], v[3:4], v[7:8]
	ds_bpermute_b32 v5, v11, v1
	ds_bpermute_b32 v6, v11, v2
	ds_bpermute_b32 v7, v11, v3
	ds_bpermute_b32 v8, v11, v4
	s_waitcnt lgkmcnt(2)
	v_add_f64 v[1:2], v[1:2], v[5:6]
	s_waitcnt lgkmcnt(0)
	v_add_f64 v[3:4], v[3:4], v[7:8]
	;; [unrolled: 8-line block ×4, first 2 shown]
.LBB129_12:
	s_or_b32 exec_lo, exec_lo, s2
	s_delay_alu instid0(SALU_CYCLE_1)
	s_mov_b32 s2, exec_lo
	v_cmpx_eq_u32_e32 0, v0
	s_cbranch_execz .LBB129_18
; %bb.13:
	s_cmp_lg_u32 s3, 1
	s_cbranch_scc0 .LBB129_15
; %bb.14:
	s_load_b64 s[4:5], s[0:1], 0x40
	s_mul_hi_u32 s7, s3, s8
	s_mul_i32 s6, s3, s8
	s_mov_b32 s15, 0
	s_lshl_b64 s[2:3], s[6:7], 4
	s_waitcnt lgkmcnt(0)
	s_add_u32 s4, s4, s2
	s_addc_u32 s5, s5, s3
	s_lshl_b64 s[2:3], s[14:15], 4
	s_delay_alu instid0(SALU_CYCLE_1)
	s_add_u32 s2, s4, s2
	s_addc_u32 s3, s5, s3
	s_cbranch_execz .LBB129_16
	s_branch .LBB129_17
.LBB129_15:
                                        ; implicit-def: $sgpr2_sgpr3
.LBB129_16:
	s_load_b64 s[0:1], s[0:1], 0x48
	s_lshl_b64 s[2:3], s[8:9], 4
	s_waitcnt lgkmcnt(0)
	s_add_u32 s2, s0, s2
	s_addc_u32 s3, s1, s3
.LBB129_17:
	v_mov_b32_e32 v0, 0
	s_waitcnt lgkmcnt(0)
	global_store_b128 v0, v[1:4], s[2:3]
.LBB129_18:
	s_nop 0
	s_sendmsg sendmsg(MSG_DEALLOC_VGPRS)
	s_endpgm
	.section	.rodata,"a",@progbits
	.p2align	6, 0x0
	.amdhsa_kernel _ZL23rocblas_dot_kernel_inc1ILb0ELi512ELi2ELb1E19rocblas_complex_numIdEPKS1_S1_EviT4_llS4_lliPT5_PT3_
		.amdhsa_group_segment_fixed_size 512
		.amdhsa_private_segment_fixed_size 0
		.amdhsa_kernarg_size 336
		.amdhsa_user_sgpr_count 14
		.amdhsa_user_sgpr_dispatch_ptr 0
		.amdhsa_user_sgpr_queue_ptr 0
		.amdhsa_user_sgpr_kernarg_segment_ptr 1
		.amdhsa_user_sgpr_dispatch_id 0
		.amdhsa_user_sgpr_private_segment_size 0
		.amdhsa_wavefront_size32 1
		.amdhsa_uses_dynamic_stack 0
		.amdhsa_enable_private_segment 0
		.amdhsa_system_sgpr_workgroup_id_x 1
		.amdhsa_system_sgpr_workgroup_id_y 0
		.amdhsa_system_sgpr_workgroup_id_z 1
		.amdhsa_system_sgpr_workgroup_info 0
		.amdhsa_system_vgpr_workitem_id 0
		.amdhsa_next_free_vgpr 15
		.amdhsa_next_free_sgpr 22
		.amdhsa_reserve_vcc 1
		.amdhsa_float_round_mode_32 0
		.amdhsa_float_round_mode_16_64 0
		.amdhsa_float_denorm_mode_32 3
		.amdhsa_float_denorm_mode_16_64 3
		.amdhsa_dx10_clamp 1
		.amdhsa_ieee_mode 1
		.amdhsa_fp16_overflow 0
		.amdhsa_workgroup_processor_mode 1
		.amdhsa_memory_ordered 1
		.amdhsa_forward_progress 0
		.amdhsa_shared_vgpr_count 0
		.amdhsa_exception_fp_ieee_invalid_op 0
		.amdhsa_exception_fp_denorm_src 0
		.amdhsa_exception_fp_ieee_div_zero 0
		.amdhsa_exception_fp_ieee_overflow 0
		.amdhsa_exception_fp_ieee_underflow 0
		.amdhsa_exception_fp_ieee_inexact 0
		.amdhsa_exception_int_div_zero 0
	.end_amdhsa_kernel
	.section	.text._ZL23rocblas_dot_kernel_inc1ILb0ELi512ELi2ELb1E19rocblas_complex_numIdEPKS1_S1_EviT4_llS4_lliPT5_PT3_,"axG",@progbits,_ZL23rocblas_dot_kernel_inc1ILb0ELi512ELi2ELb1E19rocblas_complex_numIdEPKS1_S1_EviT4_llS4_lliPT5_PT3_,comdat
.Lfunc_end129:
	.size	_ZL23rocblas_dot_kernel_inc1ILb0ELi512ELi2ELb1E19rocblas_complex_numIdEPKS1_S1_EviT4_llS4_lliPT5_PT3_, .Lfunc_end129-_ZL23rocblas_dot_kernel_inc1ILb0ELi512ELi2ELb1E19rocblas_complex_numIdEPKS1_S1_EviT4_llS4_lliPT5_PT3_
                                        ; -- End function
	.section	.AMDGPU.csdata,"",@progbits
; Kernel info:
; codeLenInByte = 1464
; NumSgprs: 24
; NumVgprs: 15
; ScratchSize: 0
; MemoryBound: 0
; FloatMode: 240
; IeeeMode: 1
; LDSByteSize: 512 bytes/workgroup (compile time only)
; SGPRBlocks: 2
; VGPRBlocks: 1
; NumSGPRsForWavesPerEU: 24
; NumVGPRsForWavesPerEU: 15
; Occupancy: 16
; WaveLimiterHint : 0
; COMPUTE_PGM_RSRC2:SCRATCH_EN: 0
; COMPUTE_PGM_RSRC2:USER_SGPR: 14
; COMPUTE_PGM_RSRC2:TRAP_HANDLER: 0
; COMPUTE_PGM_RSRC2:TGID_X_EN: 1
; COMPUTE_PGM_RSRC2:TGID_Y_EN: 0
; COMPUTE_PGM_RSRC2:TGID_Z_EN: 1
; COMPUTE_PGM_RSRC2:TIDIG_COMP_CNT: 0
	.section	.text._ZL18rocblas_dot_kernelIiLb0ELi512ELi2ELb1E19rocblas_complex_numIdEPKS1_S1_EviT5_lT_lS4_lS5_liPT6_PT4_,"axG",@progbits,_ZL18rocblas_dot_kernelIiLb0ELi512ELi2ELb1E19rocblas_complex_numIdEPKS1_S1_EviT5_lT_lS4_lS5_liPT6_PT4_,comdat
	.globl	_ZL18rocblas_dot_kernelIiLb0ELi512ELi2ELb1E19rocblas_complex_numIdEPKS1_S1_EviT5_lT_lS4_lS5_liPT6_PT4_ ; -- Begin function _ZL18rocblas_dot_kernelIiLb0ELi512ELi2ELb1E19rocblas_complex_numIdEPKS1_S1_EviT5_lT_lS4_lS5_liPT6_PT4_
	.p2align	8
	.type	_ZL18rocblas_dot_kernelIiLb0ELi512ELi2ELb1E19rocblas_complex_numIdEPKS1_S1_EviT5_lT_lS4_lS5_liPT6_PT4_,@function
_ZL18rocblas_dot_kernelIiLb0ELi512ELi2ELb1E19rocblas_complex_numIdEPKS1_S1_EviT5_lT_lS4_lS5_liPT6_PT4_: ; @_ZL18rocblas_dot_kernelIiLb0ELi512ELi2ELb1E19rocblas_complex_numIdEPKS1_S1_EviT5_lT_lS4_lS5_liPT6_PT4_
; %bb.0:
	s_clause 0x1
	s_load_b32 s10, s[0:1], 0x0
	s_load_b32 s3, s[0:1], 0x60
	v_mov_b32_e32 v1, 0
	v_mov_b32_e32 v2, 0
	v_lshl_or_b32 v5, s14, 9, v0
	s_mov_b32 s8, s15
	s_mov_b32 s9, 0
	s_mov_b32 s2, exec_lo
	v_dual_mov_b32 v4, v2 :: v_dual_mov_b32 v3, v1
	s_waitcnt lgkmcnt(0)
	v_cmpx_gt_i32_e64 s10, v5
	s_cbranch_execz .LBB130_4
; %bb.1:
	s_clause 0x5
	s_load_b128 s[4:7], s[0:1], 0x20
	s_load_b64 s[20:21], s[0:1], 0x40
	s_load_b32 s12, s[0:1], 0x38
	s_load_b32 s11, s[0:1], 0x18
	s_load_b128 s[16:19], s[0:1], 0x8
	s_load_b64 s[22:23], s[0:1], 0x30
	s_waitcnt lgkmcnt(0)
	s_mul_i32 s5, s8, s5
	s_mul_hi_u32 s13, s8, s4
	s_mul_i32 s4, s8, s4
	s_add_i32 s5, s13, s5
	v_mad_i64_i32 v[3:4], null, v5, s11, 0
	s_lshl_b64 s[4:5], s[4:5], 4
	v_mad_i64_i32 v[1:2], null, v5, s12, 0
	s_add_u32 s13, s16, s4
	s_addc_u32 s17, s17, s5
	s_lshl_b64 s[4:5], s[18:19], 4
	s_mul_i32 s15, s8, s21
	s_mul_hi_u32 s21, s8, s20
	s_add_u32 s4, s13, s4
	s_mul_i32 s16, s8, s20
	s_addc_u32 s5, s17, s5
	s_add_i32 s17, s21, s15
	v_lshlrev_b64 v[3:4], 4, v[3:4]
	s_lshl_b64 s[16:17], s[16:17], 4
	v_lshlrev_b64 v[1:2], 4, v[1:2]
	s_add_u32 s6, s6, s16
	s_addc_u32 s13, s7, s17
	s_lshl_b64 s[16:17], s[22:23], 4
	v_add_co_u32 v3, vcc_lo, s4, v3
	s_add_u32 s7, s6, s16
	v_add_co_ci_u32_e32 v4, vcc_lo, s5, v4, vcc_lo
	s_addc_u32 s13, s13, s17
	v_add_co_u32 v5, vcc_lo, s7, v1
	v_add_co_ci_u32_e32 v6, vcc_lo, s13, v2, vcc_lo
	global_load_b128 v[1:4], v[3:4], off
	global_load_b128 v[5:8], v[5:6], off
	s_add_i32 s6, s14, s3
	s_waitcnt vmcnt(0)
	v_mul_f64 v[9:10], v[7:8], v[3:4]
	v_mul_f64 v[3:4], v[5:6], v[3:4]
	s_delay_alu instid0(VALU_DEP_2) | instskip(NEXT) | instid1(VALU_DEP_2)
	v_fma_f64 v[5:6], v[5:6], v[1:2], v[9:10]
	v_fma_f64 v[3:4], v[7:8], v[1:2], -v[3:4]
	s_delay_alu instid0(VALU_DEP_2) | instskip(NEXT) | instid1(VALU_DEP_2)
	v_add_f64 v[1:2], v[5:6], 0
	v_add_f64 v[3:4], v[3:4], 0
	v_lshl_or_b32 v5, s6, 9, v0
	s_mov_b32 s6, exec_lo
	s_delay_alu instid0(VALU_DEP_1)
	v_cmpx_gt_i32_e64 s10, v5
	s_cbranch_execz .LBB130_3
; %bb.2:
	v_mad_i64_i32 v[6:7], null, v5, s12, 0
	v_mad_i64_i32 v[8:9], null, v5, s11, 0
	s_delay_alu instid0(VALU_DEP_2) | instskip(NEXT) | instid1(VALU_DEP_2)
	v_lshlrev_b64 v[5:6], 4, v[6:7]
	v_lshlrev_b64 v[7:8], 4, v[8:9]
	s_delay_alu instid0(VALU_DEP_2) | instskip(NEXT) | instid1(VALU_DEP_3)
	v_add_co_u32 v5, vcc_lo, s7, v5
	v_add_co_ci_u32_e32 v6, vcc_lo, s13, v6, vcc_lo
	s_delay_alu instid0(VALU_DEP_3) | instskip(NEXT) | instid1(VALU_DEP_4)
	v_add_co_u32 v9, vcc_lo, s4, v7
	v_add_co_ci_u32_e32 v10, vcc_lo, s5, v8, vcc_lo
	global_load_b128 v[5:8], v[5:6], off
	global_load_b128 v[9:12], v[9:10], off
	s_waitcnt vmcnt(0)
	v_mul_f64 v[13:14], v[5:6], v[11:12]
	v_mul_f64 v[11:12], v[7:8], v[11:12]
	s_delay_alu instid0(VALU_DEP_2) | instskip(NEXT) | instid1(VALU_DEP_2)
	v_fma_f64 v[7:8], v[7:8], v[9:10], -v[13:14]
	v_fma_f64 v[5:6], v[5:6], v[9:10], v[11:12]
	s_delay_alu instid0(VALU_DEP_2) | instskip(NEXT) | instid1(VALU_DEP_2)
	v_add_f64 v[3:4], v[3:4], v[7:8]
	v_add_f64 v[1:2], v[1:2], v[5:6]
.LBB130_3:
	s_or_b32 exec_lo, exec_lo, s6
.LBB130_4:
	s_delay_alu instid0(SALU_CYCLE_1) | instskip(SKIP_2) | instid1(VALU_DEP_2)
	s_or_b32 exec_lo, exec_lo, s2
	v_and_b32_e32 v14, 31, v0
	v_cmp_gt_u32_e32 vcc_lo, 32, v0
	v_lshlrev_b32_e32 v9, 4, v14
	s_and_saveexec_b32 s2, vcc_lo
	s_cbranch_execz .LBB130_6
; %bb.5:
	v_mov_b32_e32 v5, 0
	s_delay_alu instid0(VALU_DEP_1)
	v_mov_b32_e32 v6, v5
	v_mov_b32_e32 v7, v5
	;; [unrolled: 1-line block ×3, first 2 shown]
	ds_store_b128 v9, v[5:8]
.LBB130_6:
	s_or_b32 exec_lo, exec_lo, s2
	v_mbcnt_lo_u32_b32 v13, -1, 0
	s_mov_b32 s4, exec_lo
	s_waitcnt lgkmcnt(0)
	s_barrier
	buffer_gl0_inv
	v_cmp_gt_u32_e64 s2, 16, v13
	s_delay_alu instid0(VALU_DEP_1) | instskip(SKIP_1) | instid1(VALU_DEP_2)
	v_cndmask_b32_e64 v5, 0, 1, s2
	v_cmp_gt_u32_e64 s2, 24, v13
	v_lshlrev_b32_e32 v5, 4, v5
	s_delay_alu instid0(VALU_DEP_1)
	v_add_lshl_u32 v8, v5, v13, 2
	ds_bpermute_b32 v5, v8, v1
	ds_bpermute_b32 v6, v8, v2
	;; [unrolled: 1-line block ×4, first 2 shown]
	s_waitcnt lgkmcnt(2)
	v_add_f64 v[1:2], v[1:2], v[5:6]
	v_cndmask_b32_e64 v5, 0, 1, s2
	s_waitcnt lgkmcnt(0)
	v_add_f64 v[3:4], v[3:4], v[7:8]
	v_cmp_gt_u32_e64 s2, 28, v13
	s_delay_alu instid0(VALU_DEP_3) | instskip(NEXT) | instid1(VALU_DEP_1)
	v_lshlrev_b32_e32 v5, 3, v5
	v_add_lshl_u32 v10, v5, v13, 2
	ds_bpermute_b32 v5, v10, v1
	ds_bpermute_b32 v6, v10, v2
	;; [unrolled: 1-line block ×4, first 2 shown]
	s_waitcnt lgkmcnt(2)
	v_add_f64 v[1:2], v[1:2], v[5:6]
	v_cndmask_b32_e64 v5, 0, 1, s2
	s_waitcnt lgkmcnt(0)
	v_add_f64 v[3:4], v[3:4], v[7:8]
	v_cmp_gt_u32_e64 s2, 30, v13
	s_delay_alu instid0(VALU_DEP_3) | instskip(NEXT) | instid1(VALU_DEP_1)
	v_lshlrev_b32_e32 v5, 2, v5
	v_add_lshl_u32 v11, v5, v13, 2
	ds_bpermute_b32 v5, v11, v1
	ds_bpermute_b32 v6, v11, v2
	;; [unrolled: 1-line block ×4, first 2 shown]
	s_waitcnt lgkmcnt(2)
	v_add_f64 v[1:2], v[1:2], v[5:6]
	v_cndmask_b32_e64 v5, 0, 1, s2
	s_waitcnt lgkmcnt(0)
	v_add_f64 v[3:4], v[3:4], v[7:8]
	v_cmp_ne_u32_e64 s2, 31, v13
	s_delay_alu instid0(VALU_DEP_3) | instskip(NEXT) | instid1(VALU_DEP_1)
	v_lshlrev_b32_e32 v5, 1, v5
	v_add_lshl_u32 v12, v5, v13, 2
	ds_bpermute_b32 v5, v12, v1
	ds_bpermute_b32 v6, v12, v2
	;; [unrolled: 1-line block ×4, first 2 shown]
	s_waitcnt lgkmcnt(2)
	v_add_f64 v[1:2], v[1:2], v[5:6]
	s_waitcnt lgkmcnt(0)
	v_add_f64 v[5:6], v[3:4], v[7:8]
	v_add_co_ci_u32_e64 v3, s2, 0, v13, s2
	s_delay_alu instid0(VALU_DEP_1)
	v_lshlrev_b32_e32 v13, 2, v3
	ds_bpermute_b32 v3, v13, v1
	ds_bpermute_b32 v4, v13, v2
	;; [unrolled: 1-line block ×4, first 2 shown]
	v_cmpx_eq_u32_e32 0, v14
	s_cbranch_execz .LBB130_8
; %bb.7:
	s_waitcnt lgkmcnt(0)
	v_add_f64 v[5:6], v[5:6], v[7:8]
	v_add_f64 v[3:4], v[1:2], v[3:4]
	v_lshrrev_b32_e32 v1, 1, v0
	s_delay_alu instid0(VALU_DEP_1)
	v_and_b32_e32 v1, 0xf0, v1
	ds_store_b128 v1, v[3:6]
.LBB130_8:
	s_or_b32 exec_lo, exec_lo, s4
	s_waitcnt lgkmcnt(2)
	v_mov_b32_e32 v3, 0
	v_mov_b32_e32 v4, 0
	s_delay_alu instid0(VALU_DEP_2)
	v_mov_b32_e32 v1, v3
	s_mov_b32 s4, exec_lo
	s_waitcnt lgkmcnt(0)
	s_barrier
	v_mov_b32_e32 v2, v4
	buffer_gl0_inv
	v_cmpx_gt_u32_e32 16, v0
	s_cbranch_execz .LBB130_10
; %bb.9:
	ds_load_b128 v[1:4], v9
.LBB130_10:
	s_or_b32 exec_lo, exec_lo, s4
	s_and_saveexec_b32 s2, vcc_lo
	s_cbranch_execz .LBB130_12
; %bb.11:
	s_waitcnt lgkmcnt(0)
	ds_bpermute_b32 v5, v10, v1
	ds_bpermute_b32 v6, v10, v2
	ds_bpermute_b32 v7, v10, v3
	ds_bpermute_b32 v8, v10, v4
	s_waitcnt lgkmcnt(2)
	v_add_f64 v[1:2], v[1:2], v[5:6]
	s_waitcnt lgkmcnt(0)
	v_add_f64 v[3:4], v[3:4], v[7:8]
	ds_bpermute_b32 v5, v11, v1
	ds_bpermute_b32 v6, v11, v2
	ds_bpermute_b32 v7, v11, v3
	ds_bpermute_b32 v8, v11, v4
	s_waitcnt lgkmcnt(2)
	v_add_f64 v[1:2], v[1:2], v[5:6]
	s_waitcnt lgkmcnt(0)
	v_add_f64 v[3:4], v[3:4], v[7:8]
	;; [unrolled: 8-line block ×4, first 2 shown]
.LBB130_12:
	s_or_b32 exec_lo, exec_lo, s2
	s_delay_alu instid0(SALU_CYCLE_1)
	s_mov_b32 s2, exec_lo
	v_cmpx_eq_u32_e32 0, v0
	s_cbranch_execz .LBB130_18
; %bb.13:
	s_cmp_lg_u32 s3, 1
	s_cbranch_scc0 .LBB130_15
; %bb.14:
	s_load_b64 s[4:5], s[0:1], 0x50
	s_mul_hi_u32 s7, s3, s8
	s_mul_i32 s6, s3, s8
	s_mov_b32 s15, 0
	s_lshl_b64 s[2:3], s[6:7], 4
	s_waitcnt lgkmcnt(0)
	s_add_u32 s4, s4, s2
	s_addc_u32 s5, s5, s3
	s_lshl_b64 s[2:3], s[14:15], 4
	s_delay_alu instid0(SALU_CYCLE_1)
	s_add_u32 s2, s4, s2
	s_addc_u32 s3, s5, s3
	s_cbranch_execz .LBB130_16
	s_branch .LBB130_17
.LBB130_15:
                                        ; implicit-def: $sgpr2_sgpr3
.LBB130_16:
	s_load_b64 s[0:1], s[0:1], 0x58
	s_lshl_b64 s[2:3], s[8:9], 4
	s_waitcnt lgkmcnt(0)
	s_add_u32 s2, s0, s2
	s_addc_u32 s3, s1, s3
.LBB130_17:
	v_mov_b32_e32 v0, 0
	s_waitcnt lgkmcnt(0)
	global_store_b128 v0, v[1:4], s[2:3]
.LBB130_18:
	s_nop 0
	s_sendmsg sendmsg(MSG_DEALLOC_VGPRS)
	s_endpgm
	.section	.rodata,"a",@progbits
	.p2align	6, 0x0
	.amdhsa_kernel _ZL18rocblas_dot_kernelIiLb0ELi512ELi2ELb1E19rocblas_complex_numIdEPKS1_S1_EviT5_lT_lS4_lS5_liPT6_PT4_
		.amdhsa_group_segment_fixed_size 512
		.amdhsa_private_segment_fixed_size 0
		.amdhsa_kernarg_size 352
		.amdhsa_user_sgpr_count 14
		.amdhsa_user_sgpr_dispatch_ptr 0
		.amdhsa_user_sgpr_queue_ptr 0
		.amdhsa_user_sgpr_kernarg_segment_ptr 1
		.amdhsa_user_sgpr_dispatch_id 0
		.amdhsa_user_sgpr_private_segment_size 0
		.amdhsa_wavefront_size32 1
		.amdhsa_uses_dynamic_stack 0
		.amdhsa_enable_private_segment 0
		.amdhsa_system_sgpr_workgroup_id_x 1
		.amdhsa_system_sgpr_workgroup_id_y 0
		.amdhsa_system_sgpr_workgroup_id_z 1
		.amdhsa_system_sgpr_workgroup_info 0
		.amdhsa_system_vgpr_workitem_id 0
		.amdhsa_next_free_vgpr 15
		.amdhsa_next_free_sgpr 24
		.amdhsa_reserve_vcc 1
		.amdhsa_float_round_mode_32 0
		.amdhsa_float_round_mode_16_64 0
		.amdhsa_float_denorm_mode_32 3
		.amdhsa_float_denorm_mode_16_64 3
		.amdhsa_dx10_clamp 1
		.amdhsa_ieee_mode 1
		.amdhsa_fp16_overflow 0
		.amdhsa_workgroup_processor_mode 1
		.amdhsa_memory_ordered 1
		.amdhsa_forward_progress 0
		.amdhsa_shared_vgpr_count 0
		.amdhsa_exception_fp_ieee_invalid_op 0
		.amdhsa_exception_fp_denorm_src 0
		.amdhsa_exception_fp_ieee_div_zero 0
		.amdhsa_exception_fp_ieee_overflow 0
		.amdhsa_exception_fp_ieee_underflow 0
		.amdhsa_exception_fp_ieee_inexact 0
		.amdhsa_exception_int_div_zero 0
	.end_amdhsa_kernel
	.section	.text._ZL18rocblas_dot_kernelIiLb0ELi512ELi2ELb1E19rocblas_complex_numIdEPKS1_S1_EviT5_lT_lS4_lS5_liPT6_PT4_,"axG",@progbits,_ZL18rocblas_dot_kernelIiLb0ELi512ELi2ELb1E19rocblas_complex_numIdEPKS1_S1_EviT5_lT_lS4_lS5_liPT6_PT4_,comdat
.Lfunc_end130:
	.size	_ZL18rocblas_dot_kernelIiLb0ELi512ELi2ELb1E19rocblas_complex_numIdEPKS1_S1_EviT5_lT_lS4_lS5_liPT6_PT4_, .Lfunc_end130-_ZL18rocblas_dot_kernelIiLb0ELi512ELi2ELb1E19rocblas_complex_numIdEPKS1_S1_EviT5_lT_lS4_lS5_liPT6_PT4_
                                        ; -- End function
	.section	.AMDGPU.csdata,"",@progbits
; Kernel info:
; codeLenInByte = 1516
; NumSgprs: 26
; NumVgprs: 15
; ScratchSize: 0
; MemoryBound: 0
; FloatMode: 240
; IeeeMode: 1
; LDSByteSize: 512 bytes/workgroup (compile time only)
; SGPRBlocks: 3
; VGPRBlocks: 1
; NumSGPRsForWavesPerEU: 26
; NumVGPRsForWavesPerEU: 15
; Occupancy: 16
; WaveLimiterHint : 0
; COMPUTE_PGM_RSRC2:SCRATCH_EN: 0
; COMPUTE_PGM_RSRC2:USER_SGPR: 14
; COMPUTE_PGM_RSRC2:TRAP_HANDLER: 0
; COMPUTE_PGM_RSRC2:TGID_X_EN: 1
; COMPUTE_PGM_RSRC2:TGID_Y_EN: 0
; COMPUTE_PGM_RSRC2:TGID_Z_EN: 1
; COMPUTE_PGM_RSRC2:TIDIG_COMP_CNT: 0
	.section	.text._ZL24rocblas_dot_kernel_magsqIiLb0ELi512ELi2ELb1E19rocblas_complex_numIdEPKS1_S1_EviT5_lT_liPT6_PT4_,"axG",@progbits,_ZL24rocblas_dot_kernel_magsqIiLb0ELi512ELi2ELb1E19rocblas_complex_numIdEPKS1_S1_EviT5_lT_liPT6_PT4_,comdat
	.globl	_ZL24rocblas_dot_kernel_magsqIiLb0ELi512ELi2ELb1E19rocblas_complex_numIdEPKS1_S1_EviT5_lT_liPT6_PT4_ ; -- Begin function _ZL24rocblas_dot_kernel_magsqIiLb0ELi512ELi2ELb1E19rocblas_complex_numIdEPKS1_S1_EviT5_lT_liPT6_PT4_
	.p2align	8
	.type	_ZL24rocblas_dot_kernel_magsqIiLb0ELi512ELi2ELb1E19rocblas_complex_numIdEPKS1_S1_EviT5_lT_liPT6_PT4_,@function
_ZL24rocblas_dot_kernel_magsqIiLb0ELi512ELi2ELb1E19rocblas_complex_numIdEPKS1_S1_EviT5_lT_liPT6_PT4_: ; @_ZL24rocblas_dot_kernel_magsqIiLb0ELi512ELi2ELb1E19rocblas_complex_numIdEPKS1_S1_EviT5_lT_liPT6_PT4_
; %bb.0:
	s_clause 0x1
	s_load_b32 s6, s[0:1], 0x0
	s_load_b32 s3, s[0:1], 0x40
	v_mov_b32_e32 v1, 0
	v_mov_b32_e32 v2, 0
	v_lshl_or_b32 v5, s14, 9, v0
	s_mov_b32 s4, s15
	s_mov_b32 s5, 0
	s_mov_b32 s2, exec_lo
	v_dual_mov_b32 v4, v2 :: v_dual_mov_b32 v3, v1
	s_waitcnt lgkmcnt(0)
	v_cmpx_gt_i32_e64 s6, v5
	s_cbranch_execz .LBB131_4
; %bb.1:
	s_clause 0x2
	s_load_b64 s[12:13], s[0:1], 0x20
	s_load_b32 s7, s[0:1], 0x18
	s_load_b128 s[8:11], s[0:1], 0x8
	s_waitcnt lgkmcnt(0)
	s_mul_i32 s13, s4, s13
	v_mad_i64_i32 v[1:2], null, v5, s7, 0
	s_mul_hi_u32 s15, s4, s12
	s_mul_i32 s12, s4, s12
	s_add_i32 s13, s15, s13
	s_delay_alu instid0(SALU_CYCLE_1) | instskip(NEXT) | instid1(SALU_CYCLE_1)
	s_lshl_b64 s[12:13], s[12:13], 4
	s_add_u32 s12, s8, s12
	s_delay_alu instid0(VALU_DEP_1) | instskip(SKIP_2) | instid1(SALU_CYCLE_1)
	v_lshlrev_b64 v[1:2], 4, v[1:2]
	s_addc_u32 s13, s9, s13
	s_lshl_b64 s[8:9], s[10:11], 4
	s_add_u32 s8, s12, s8
	s_addc_u32 s9, s13, s9
	s_delay_alu instid0(VALU_DEP_1)
	v_add_co_u32 v1, vcc_lo, s8, v1
	v_add_co_ci_u32_e32 v2, vcc_lo, s9, v2, vcc_lo
	s_add_i32 s10, s14, s3
	global_load_b128 v[1:4], v[1:2], off
	s_waitcnt vmcnt(0)
	v_mul_f64 v[5:6], v[1:2], v[3:4]
	v_mul_f64 v[7:8], v[3:4], v[3:4]
	s_delay_alu instid0(VALU_DEP_2) | instskip(NEXT) | instid1(VALU_DEP_2)
	v_fma_f64 v[3:4], v[1:2], v[3:4], -v[5:6]
	v_fma_f64 v[1:2], v[1:2], v[1:2], v[7:8]
	v_lshl_or_b32 v5, s10, 9, v0
	s_delay_alu instid0(VALU_DEP_1) | instskip(NEXT) | instid1(VALU_DEP_4)
	v_cmp_gt_i32_e32 vcc_lo, s6, v5
	v_add_f64 v[3:4], v[3:4], 0
	s_and_saveexec_b32 s6, vcc_lo
	s_cbranch_execz .LBB131_3
; %bb.2:
	v_mad_i64_i32 v[6:7], null, v5, s7, 0
	s_delay_alu instid0(VALU_DEP_1) | instskip(NEXT) | instid1(VALU_DEP_1)
	v_lshlrev_b64 v[5:6], 4, v[6:7]
	v_add_co_u32 v5, vcc_lo, s8, v5
	s_delay_alu instid0(VALU_DEP_2) | instskip(SKIP_4) | instid1(VALU_DEP_2)
	v_add_co_ci_u32_e32 v6, vcc_lo, s9, v6, vcc_lo
	global_load_b128 v[5:8], v[5:6], off
	s_waitcnt vmcnt(0)
	v_mul_f64 v[9:10], v[5:6], v[7:8]
	v_mul_f64 v[11:12], v[7:8], v[7:8]
	v_fma_f64 v[7:8], v[5:6], v[7:8], -v[9:10]
	s_delay_alu instid0(VALU_DEP_2) | instskip(NEXT) | instid1(VALU_DEP_2)
	v_fma_f64 v[5:6], v[5:6], v[5:6], v[11:12]
	v_add_f64 v[3:4], v[3:4], v[7:8]
	s_delay_alu instid0(VALU_DEP_2)
	v_add_f64 v[1:2], v[1:2], v[5:6]
.LBB131_3:
	s_or_b32 exec_lo, exec_lo, s6
.LBB131_4:
	s_delay_alu instid0(SALU_CYCLE_1) | instskip(SKIP_2) | instid1(VALU_DEP_2)
	s_or_b32 exec_lo, exec_lo, s2
	v_and_b32_e32 v14, 31, v0
	v_cmp_gt_u32_e32 vcc_lo, 32, v0
	v_lshlrev_b32_e32 v9, 4, v14
	s_and_saveexec_b32 s2, vcc_lo
	s_cbranch_execz .LBB131_6
; %bb.5:
	v_mov_b32_e32 v5, 0
	s_delay_alu instid0(VALU_DEP_1)
	v_mov_b32_e32 v6, v5
	v_mov_b32_e32 v7, v5
	;; [unrolled: 1-line block ×3, first 2 shown]
	ds_store_b128 v9, v[5:8]
.LBB131_6:
	s_or_b32 exec_lo, exec_lo, s2
	v_mbcnt_lo_u32_b32 v13, -1, 0
	s_mov_b32 s6, exec_lo
	s_waitcnt lgkmcnt(0)
	s_barrier
	buffer_gl0_inv
	v_cmp_gt_u32_e64 s2, 16, v13
	s_delay_alu instid0(VALU_DEP_1) | instskip(SKIP_1) | instid1(VALU_DEP_2)
	v_cndmask_b32_e64 v5, 0, 1, s2
	v_cmp_gt_u32_e64 s2, 24, v13
	v_lshlrev_b32_e32 v5, 4, v5
	s_delay_alu instid0(VALU_DEP_1)
	v_add_lshl_u32 v8, v5, v13, 2
	ds_bpermute_b32 v5, v8, v1
	ds_bpermute_b32 v6, v8, v2
	;; [unrolled: 1-line block ×4, first 2 shown]
	s_waitcnt lgkmcnt(2)
	v_add_f64 v[1:2], v[1:2], v[5:6]
	v_cndmask_b32_e64 v5, 0, 1, s2
	s_waitcnt lgkmcnt(0)
	v_add_f64 v[3:4], v[3:4], v[7:8]
	v_cmp_gt_u32_e64 s2, 28, v13
	s_delay_alu instid0(VALU_DEP_3) | instskip(NEXT) | instid1(VALU_DEP_1)
	v_lshlrev_b32_e32 v5, 3, v5
	v_add_lshl_u32 v10, v5, v13, 2
	ds_bpermute_b32 v5, v10, v1
	ds_bpermute_b32 v6, v10, v2
	;; [unrolled: 1-line block ×4, first 2 shown]
	s_waitcnt lgkmcnt(2)
	v_add_f64 v[1:2], v[1:2], v[5:6]
	v_cndmask_b32_e64 v5, 0, 1, s2
	s_waitcnt lgkmcnt(0)
	v_add_f64 v[3:4], v[3:4], v[7:8]
	v_cmp_gt_u32_e64 s2, 30, v13
	s_delay_alu instid0(VALU_DEP_3) | instskip(NEXT) | instid1(VALU_DEP_1)
	v_lshlrev_b32_e32 v5, 2, v5
	v_add_lshl_u32 v11, v5, v13, 2
	ds_bpermute_b32 v5, v11, v1
	ds_bpermute_b32 v6, v11, v2
	;; [unrolled: 1-line block ×4, first 2 shown]
	s_waitcnt lgkmcnt(2)
	v_add_f64 v[1:2], v[1:2], v[5:6]
	v_cndmask_b32_e64 v5, 0, 1, s2
	s_waitcnt lgkmcnt(0)
	v_add_f64 v[3:4], v[3:4], v[7:8]
	v_cmp_ne_u32_e64 s2, 31, v13
	s_delay_alu instid0(VALU_DEP_3) | instskip(NEXT) | instid1(VALU_DEP_1)
	v_lshlrev_b32_e32 v5, 1, v5
	v_add_lshl_u32 v12, v5, v13, 2
	ds_bpermute_b32 v5, v12, v1
	ds_bpermute_b32 v6, v12, v2
	;; [unrolled: 1-line block ×4, first 2 shown]
	s_waitcnt lgkmcnt(2)
	v_add_f64 v[1:2], v[1:2], v[5:6]
	s_waitcnt lgkmcnt(0)
	v_add_f64 v[5:6], v[3:4], v[7:8]
	v_add_co_ci_u32_e64 v3, s2, 0, v13, s2
	s_delay_alu instid0(VALU_DEP_1)
	v_lshlrev_b32_e32 v13, 2, v3
	ds_bpermute_b32 v3, v13, v1
	ds_bpermute_b32 v4, v13, v2
	ds_bpermute_b32 v7, v13, v5
	ds_bpermute_b32 v8, v13, v6
	v_cmpx_eq_u32_e32 0, v14
	s_cbranch_execz .LBB131_8
; %bb.7:
	s_waitcnt lgkmcnt(0)
	v_add_f64 v[5:6], v[5:6], v[7:8]
	v_add_f64 v[3:4], v[1:2], v[3:4]
	v_lshrrev_b32_e32 v1, 1, v0
	s_delay_alu instid0(VALU_DEP_1)
	v_and_b32_e32 v1, 0xf0, v1
	ds_store_b128 v1, v[3:6]
.LBB131_8:
	s_or_b32 exec_lo, exec_lo, s6
	s_waitcnt lgkmcnt(2)
	v_mov_b32_e32 v3, 0
	v_mov_b32_e32 v4, 0
	s_delay_alu instid0(VALU_DEP_2)
	v_mov_b32_e32 v1, v3
	s_mov_b32 s6, exec_lo
	s_waitcnt lgkmcnt(0)
	s_barrier
	v_mov_b32_e32 v2, v4
	buffer_gl0_inv
	v_cmpx_gt_u32_e32 16, v0
	s_cbranch_execz .LBB131_10
; %bb.9:
	ds_load_b128 v[1:4], v9
.LBB131_10:
	s_or_b32 exec_lo, exec_lo, s6
	s_and_saveexec_b32 s2, vcc_lo
	s_cbranch_execz .LBB131_12
; %bb.11:
	s_waitcnt lgkmcnt(0)
	ds_bpermute_b32 v5, v10, v1
	ds_bpermute_b32 v6, v10, v2
	ds_bpermute_b32 v7, v10, v3
	ds_bpermute_b32 v8, v10, v4
	s_waitcnt lgkmcnt(2)
	v_add_f64 v[1:2], v[1:2], v[5:6]
	s_waitcnt lgkmcnt(0)
	v_add_f64 v[3:4], v[3:4], v[7:8]
	ds_bpermute_b32 v5, v11, v1
	ds_bpermute_b32 v6, v11, v2
	ds_bpermute_b32 v7, v11, v3
	ds_bpermute_b32 v8, v11, v4
	s_waitcnt lgkmcnt(2)
	v_add_f64 v[1:2], v[1:2], v[5:6]
	s_waitcnt lgkmcnt(0)
	v_add_f64 v[3:4], v[3:4], v[7:8]
	ds_bpermute_b32 v5, v12, v1
	ds_bpermute_b32 v6, v12, v2
	ds_bpermute_b32 v7, v12, v3
	ds_bpermute_b32 v8, v12, v4
	s_waitcnt lgkmcnt(2)
	v_add_f64 v[1:2], v[1:2], v[5:6]
	s_waitcnt lgkmcnt(0)
	v_add_f64 v[3:4], v[3:4], v[7:8]
	ds_bpermute_b32 v5, v13, v1
	ds_bpermute_b32 v6, v13, v2
	ds_bpermute_b32 v7, v13, v3
	ds_bpermute_b32 v8, v13, v4
	s_waitcnt lgkmcnt(2)
	v_add_f64 v[1:2], v[1:2], v[5:6]
	s_waitcnt lgkmcnt(0)
	v_add_f64 v[3:4], v[3:4], v[7:8]
.LBB131_12:
	s_or_b32 exec_lo, exec_lo, s2
	s_delay_alu instid0(SALU_CYCLE_1)
	s_mov_b32 s2, exec_lo
	v_cmpx_eq_u32_e32 0, v0
	s_cbranch_execz .LBB131_18
; %bb.13:
	s_cmp_lg_u32 s3, 1
	s_cbranch_scc0 .LBB131_15
; %bb.14:
	s_load_b64 s[6:7], s[0:1], 0x30
	s_mul_hi_u32 s9, s3, s4
	s_mul_i32 s8, s3, s4
	s_mov_b32 s15, 0
	s_lshl_b64 s[2:3], s[8:9], 4
	s_waitcnt lgkmcnt(0)
	s_add_u32 s6, s6, s2
	s_addc_u32 s7, s7, s3
	s_lshl_b64 s[2:3], s[14:15], 4
	s_delay_alu instid0(SALU_CYCLE_1)
	s_add_u32 s2, s6, s2
	s_addc_u32 s3, s7, s3
	s_cbranch_execz .LBB131_16
	s_branch .LBB131_17
.LBB131_15:
                                        ; implicit-def: $sgpr2_sgpr3
.LBB131_16:
	s_load_b64 s[0:1], s[0:1], 0x38
	s_lshl_b64 s[2:3], s[4:5], 4
	s_waitcnt lgkmcnt(0)
	s_add_u32 s2, s0, s2
	s_addc_u32 s3, s1, s3
.LBB131_17:
	v_mov_b32_e32 v0, 0
	s_waitcnt lgkmcnt(0)
	global_store_b128 v0, v[1:4], s[2:3]
.LBB131_18:
	s_nop 0
	s_sendmsg sendmsg(MSG_DEALLOC_VGPRS)
	s_endpgm
	.section	.rodata,"a",@progbits
	.p2align	6, 0x0
	.amdhsa_kernel _ZL24rocblas_dot_kernel_magsqIiLb0ELi512ELi2ELb1E19rocblas_complex_numIdEPKS1_S1_EviT5_lT_liPT6_PT4_
		.amdhsa_group_segment_fixed_size 512
		.amdhsa_private_segment_fixed_size 0
		.amdhsa_kernarg_size 320
		.amdhsa_user_sgpr_count 14
		.amdhsa_user_sgpr_dispatch_ptr 0
		.amdhsa_user_sgpr_queue_ptr 0
		.amdhsa_user_sgpr_kernarg_segment_ptr 1
		.amdhsa_user_sgpr_dispatch_id 0
		.amdhsa_user_sgpr_private_segment_size 0
		.amdhsa_wavefront_size32 1
		.amdhsa_uses_dynamic_stack 0
		.amdhsa_enable_private_segment 0
		.amdhsa_system_sgpr_workgroup_id_x 1
		.amdhsa_system_sgpr_workgroup_id_y 0
		.amdhsa_system_sgpr_workgroup_id_z 1
		.amdhsa_system_sgpr_workgroup_info 0
		.amdhsa_system_vgpr_workitem_id 0
		.amdhsa_next_free_vgpr 15
		.amdhsa_next_free_sgpr 16
		.amdhsa_reserve_vcc 1
		.amdhsa_float_round_mode_32 0
		.amdhsa_float_round_mode_16_64 0
		.amdhsa_float_denorm_mode_32 3
		.amdhsa_float_denorm_mode_16_64 3
		.amdhsa_dx10_clamp 1
		.amdhsa_ieee_mode 1
		.amdhsa_fp16_overflow 0
		.amdhsa_workgroup_processor_mode 1
		.amdhsa_memory_ordered 1
		.amdhsa_forward_progress 0
		.amdhsa_shared_vgpr_count 0
		.amdhsa_exception_fp_ieee_invalid_op 0
		.amdhsa_exception_fp_denorm_src 0
		.amdhsa_exception_fp_ieee_div_zero 0
		.amdhsa_exception_fp_ieee_overflow 0
		.amdhsa_exception_fp_ieee_underflow 0
		.amdhsa_exception_fp_ieee_inexact 0
		.amdhsa_exception_int_div_zero 0
	.end_amdhsa_kernel
	.section	.text._ZL24rocblas_dot_kernel_magsqIiLb0ELi512ELi2ELb1E19rocblas_complex_numIdEPKS1_S1_EviT5_lT_liPT6_PT4_,"axG",@progbits,_ZL24rocblas_dot_kernel_magsqIiLb0ELi512ELi2ELb1E19rocblas_complex_numIdEPKS1_S1_EviT5_lT_liPT6_PT4_,comdat
.Lfunc_end131:
	.size	_ZL24rocblas_dot_kernel_magsqIiLb0ELi512ELi2ELb1E19rocblas_complex_numIdEPKS1_S1_EviT5_lT_liPT6_PT4_, .Lfunc_end131-_ZL24rocblas_dot_kernel_magsqIiLb0ELi512ELi2ELb1E19rocblas_complex_numIdEPKS1_S1_EviT5_lT_liPT6_PT4_
                                        ; -- End function
	.section	.AMDGPU.csdata,"",@progbits
; Kernel info:
; codeLenInByte = 1372
; NumSgprs: 18
; NumVgprs: 15
; ScratchSize: 0
; MemoryBound: 0
; FloatMode: 240
; IeeeMode: 1
; LDSByteSize: 512 bytes/workgroup (compile time only)
; SGPRBlocks: 2
; VGPRBlocks: 1
; NumSGPRsForWavesPerEU: 18
; NumVGPRsForWavesPerEU: 15
; Occupancy: 16
; WaveLimiterHint : 0
; COMPUTE_PGM_RSRC2:SCRATCH_EN: 0
; COMPUTE_PGM_RSRC2:USER_SGPR: 14
; COMPUTE_PGM_RSRC2:TRAP_HANDLER: 0
; COMPUTE_PGM_RSRC2:TGID_X_EN: 1
; COMPUTE_PGM_RSRC2:TGID_Y_EN: 0
; COMPUTE_PGM_RSRC2:TGID_Z_EN: 1
; COMPUTE_PGM_RSRC2:TIDIG_COMP_CNT: 0
	.section	.text._ZL28rocblas_dot_batched_4_kernelIlLi32ELi4ELb1E19rocblas_complex_numIdES1_PKS1_EviT5_lT_lS4_lS5_liPT4_,"axG",@progbits,_ZL28rocblas_dot_batched_4_kernelIlLi32ELi4ELb1E19rocblas_complex_numIdES1_PKS1_EviT5_lT_lS4_lS5_liPT4_,comdat
	.globl	_ZL28rocblas_dot_batched_4_kernelIlLi32ELi4ELb1E19rocblas_complex_numIdES1_PKS1_EviT5_lT_lS4_lS5_liPT4_ ; -- Begin function _ZL28rocblas_dot_batched_4_kernelIlLi32ELi4ELb1E19rocblas_complex_numIdES1_PKS1_EviT5_lT_lS4_lS5_liPT4_
	.p2align	8
	.type	_ZL28rocblas_dot_batched_4_kernelIlLi32ELi4ELb1E19rocblas_complex_numIdES1_PKS1_EviT5_lT_lS4_lS5_liPT4_,@function
_ZL28rocblas_dot_batched_4_kernelIlLi32ELi4ELb1E19rocblas_complex_numIdES1_PKS1_EviT5_lT_lS4_lS5_liPT4_: ; @_ZL28rocblas_dot_batched_4_kernelIlLi32ELi4ELb1E19rocblas_complex_numIdES1_PKS1_EviT5_lT_lS4_lS5_liPT4_
; %bb.0:
	s_load_b32 s2, s[0:1], 0x48
	v_bfe_u32 v1, v0, 10, 10
	s_delay_alu instid0(VALU_DEP_1) | instskip(SKIP_1) | instid1(VALU_DEP_1)
	v_lshl_add_u32 v1, s15, 2, v1
	s_waitcnt lgkmcnt(0)
	v_cmp_gt_u32_e32 vcc_lo, s2, v1
	s_and_saveexec_b32 s2, vcc_lo
	s_cbranch_execz .LBB132_7
; %bb.1:
	s_clause 0x1
	s_load_b32 s16, s[0:1], 0x0
	s_load_b64 s[2:3], s[0:1], 0x50
	v_dual_mov_b32 v3, 0 :: v_dual_and_b32 v0, 0x3ff, v0
	v_mov_b32_e32 v4, 0
	v_mov_b32_e32 v2, 0
	s_mov_b32 s17, exec_lo
	s_delay_alu instid0(VALU_DEP_2)
	v_dual_mov_b32 v6, v4 :: v_dual_mov_b32 v5, v3
	s_waitcnt lgkmcnt(0)
	v_cmpx_gt_i32_e64 s16, v0
	s_cbranch_execz .LBB132_5
; %bb.2:
	s_clause 0x3
	s_load_b256 s[4:11], s[0:1], 0x20
	s_load_b64 s[18:19], s[0:1], 0x40
	s_load_b128 s[12:15], s[0:1], 0x10
	s_load_b64 s[0:1], s[0:1], 0x8
	s_waitcnt lgkmcnt(0)
	v_mad_u64_u32 v[5:6], null, s10, v0, 0
	v_mad_u64_u32 v[7:8], null, s18, v1, 0
	;; [unrolled: 1-line block ×4, first 2 shown]
	s_lshl_b64 s[8:9], s[8:9], 4
	s_delay_alu instid0(VALU_DEP_3) | instskip(NEXT) | instid1(VALU_DEP_3)
	v_mad_u64_u32 v[13:14], null, s11, v0, v[6:7]
	v_mad_u64_u32 v[14:15], null, s19, v1, v[8:9]
	s_delay_alu instid0(VALU_DEP_3)
	v_mad_u64_u32 v[15:16], null, s15, v0, v[10:11]
	v_mov_b32_e32 v3, 0
	v_mov_b32_e32 v4, 0
	v_mad_u64_u32 v[16:17], null, s5, v1, v[12:13]
	v_mov_b32_e32 v6, v13
	v_mov_b32_e32 v8, v14
	;; [unrolled: 1-line block ×3, first 2 shown]
	s_add_u32 s8, s6, s8
	s_addc_u32 s9, s7, s9
	v_lshlrev_b64 v[5:6], 4, v[5:6]
	v_mov_b32_e32 v12, v16
	v_lshlrev_b64 v[7:8], 4, v[7:8]
	v_lshlrev_b64 v[9:10], 4, v[9:10]
	s_lshl_b64 s[6:7], s[12:13], 4
	s_lshl_b64 s[4:5], s[10:11], 9
	v_lshlrev_b64 v[11:12], 4, v[11:12]
	s_add_u32 s0, s0, s6
	v_add_co_u32 v5, vcc_lo, v5, v7
	v_add_co_ci_u32_e32 v6, vcc_lo, v6, v8, vcc_lo
	s_delay_alu instid0(VALU_DEP_3) | instskip(NEXT) | instid1(VALU_DEP_4)
	v_add_co_u32 v7, vcc_lo, v9, v11
	v_add_co_ci_u32_e32 v8, vcc_lo, v10, v12, vcc_lo
	s_delay_alu instid0(VALU_DEP_4) | instskip(NEXT) | instid1(VALU_DEP_4)
	v_add_co_u32 v5, vcc_lo, s8, v5
	v_add_co_ci_u32_e32 v6, vcc_lo, s9, v6, vcc_lo
	s_addc_u32 s1, s1, s7
	v_add_co_u32 v9, vcc_lo, s0, v7
	v_add_co_ci_u32_e32 v10, vcc_lo, s1, v8, vcc_lo
	v_add_co_u32 v7, vcc_lo, v5, 8
	v_add_co_ci_u32_e32 v8, vcc_lo, 0, v6, vcc_lo
	s_delay_alu instid0(VALU_DEP_4)
	v_add_co_u32 v9, vcc_lo, v9, 8
	v_mov_b32_e32 v11, v0
	v_dual_mov_b32 v6, v4 :: v_dual_mov_b32 v5, v3
	v_add_co_ci_u32_e32 v10, vcc_lo, 0, v10, vcc_lo
	s_lshl_b64 s[6:7], s[14:15], 9
	s_mov_b32 s1, 0
	.p2align	6
.LBB132_3:                              ; =>This Inner Loop Header: Depth=1
	global_load_b128 v[12:15], v[9:10], off offset:-8
	global_load_b128 v[16:19], v[7:8], off offset:-8
	v_add_nc_u32_e32 v11, 32, v11
	v_add_co_u32 v7, vcc_lo, v7, s4
	v_add_co_ci_u32_e32 v8, vcc_lo, s5, v8, vcc_lo
	s_delay_alu instid0(VALU_DEP_3) | instskip(SKIP_1) | instid1(VALU_DEP_1)
	v_cmp_le_i32_e32 vcc_lo, s16, v11
	v_add_co_u32 v9, s0, v9, s6
	v_add_co_ci_u32_e64 v10, s0, s7, v10, s0
	s_or_b32 s1, vcc_lo, s1
	s_waitcnt vmcnt(0)
	v_mul_f64 v[20:21], v[14:15], v[18:19]
	v_mul_f64 v[14:15], v[14:15], v[16:17]
	s_delay_alu instid0(VALU_DEP_2) | instskip(NEXT) | instid1(VALU_DEP_2)
	v_fma_f64 v[16:17], v[12:13], v[16:17], v[20:21]
	v_fma_f64 v[12:13], v[12:13], v[18:19], -v[14:15]
	s_delay_alu instid0(VALU_DEP_2) | instskip(NEXT) | instid1(VALU_DEP_2)
	v_add_f64 v[3:4], v[3:4], v[16:17]
	v_add_f64 v[5:6], v[5:6], v[12:13]
	s_and_not1_b32 exec_lo, exec_lo, s1
	s_cbranch_execnz .LBB132_3
; %bb.4:
	s_or_b32 exec_lo, exec_lo, s1
.LBB132_5:
	s_delay_alu instid0(SALU_CYCLE_1)
	s_or_b32 exec_lo, exec_lo, s17
	v_mbcnt_lo_u32_b32 v11, -1, 0
	s_barrier
	buffer_gl0_inv
	v_cmp_gt_u32_e32 vcc_lo, 16, v11
	v_cndmask_b32_e64 v7, 0, 1, vcc_lo
	v_cmp_gt_u32_e32 vcc_lo, 24, v11
	s_delay_alu instid0(VALU_DEP_2) | instskip(NEXT) | instid1(VALU_DEP_1)
	v_lshlrev_b32_e32 v7, 4, v7
	v_add_lshl_u32 v10, v7, v11, 2
	ds_bpermute_b32 v7, v10, v3
	ds_bpermute_b32 v8, v10, v4
	;; [unrolled: 1-line block ×4, first 2 shown]
	s_waitcnt lgkmcnt(2)
	v_add_f64 v[3:4], v[3:4], v[7:8]
	v_cndmask_b32_e64 v7, 0, 1, vcc_lo
	s_waitcnt lgkmcnt(0)
	v_add_f64 v[5:6], v[5:6], v[9:10]
	v_cmp_gt_u32_e32 vcc_lo, 28, v11
	s_delay_alu instid0(VALU_DEP_3) | instskip(NEXT) | instid1(VALU_DEP_1)
	v_lshlrev_b32_e32 v7, 3, v7
	v_add_lshl_u32 v10, v7, v11, 2
	ds_bpermute_b32 v7, v10, v3
	ds_bpermute_b32 v8, v10, v4
	;; [unrolled: 1-line block ×4, first 2 shown]
	s_waitcnt lgkmcnt(2)
	v_add_f64 v[3:4], v[3:4], v[7:8]
	v_cndmask_b32_e64 v7, 0, 1, vcc_lo
	s_waitcnt lgkmcnt(0)
	v_add_f64 v[5:6], v[5:6], v[9:10]
	v_cmp_gt_u32_e32 vcc_lo, 30, v11
	s_delay_alu instid0(VALU_DEP_3) | instskip(NEXT) | instid1(VALU_DEP_1)
	v_lshlrev_b32_e32 v7, 2, v7
	v_add_lshl_u32 v10, v7, v11, 2
	ds_bpermute_b32 v7, v10, v3
	ds_bpermute_b32 v8, v10, v4
	;; [unrolled: 1-line block ×4, first 2 shown]
	s_waitcnt lgkmcnt(2)
	v_add_f64 v[3:4], v[3:4], v[7:8]
	v_cndmask_b32_e64 v7, 0, 1, vcc_lo
	s_waitcnt lgkmcnt(0)
	v_add_f64 v[5:6], v[5:6], v[9:10]
	v_cmp_ne_u32_e32 vcc_lo, 31, v11
	s_delay_alu instid0(VALU_DEP_3) | instskip(NEXT) | instid1(VALU_DEP_1)
	v_lshlrev_b32_e32 v7, 1, v7
	v_add_lshl_u32 v10, v7, v11, 2
	ds_bpermute_b32 v7, v10, v3
	ds_bpermute_b32 v8, v10, v4
	;; [unrolled: 1-line block ×4, first 2 shown]
	s_waitcnt lgkmcnt(2)
	v_add_f64 v[3:4], v[3:4], v[7:8]
	s_waitcnt lgkmcnt(0)
	v_add_f64 v[7:8], v[5:6], v[9:10]
	v_add_co_ci_u32_e32 v5, vcc_lo, 0, v11, vcc_lo
	v_cmp_eq_u32_e32 vcc_lo, 0, v0
	s_delay_alu instid0(VALU_DEP_2)
	v_lshlrev_b32_e32 v10, 2, v5
	ds_bpermute_b32 v5, v10, v3
	ds_bpermute_b32 v6, v10, v4
	;; [unrolled: 1-line block ×4, first 2 shown]
	s_and_b32 exec_lo, exec_lo, vcc_lo
	s_cbranch_execz .LBB132_7
; %bb.6:
	s_waitcnt lgkmcnt(0)
	v_add_f64 v[7:8], v[7:8], v[9:10]
	v_add_f64 v[5:6], v[3:4], v[5:6]
	v_lshlrev_b64 v[0:1], 4, v[1:2]
	s_delay_alu instid0(VALU_DEP_1) | instskip(NEXT) | instid1(VALU_DEP_2)
	v_add_co_u32 v0, vcc_lo, s2, v0
	v_add_co_ci_u32_e32 v1, vcc_lo, s3, v1, vcc_lo
	global_store_b128 v[0:1], v[5:8], off
.LBB132_7:
	s_nop 0
	s_sendmsg sendmsg(MSG_DEALLOC_VGPRS)
	s_endpgm
	.section	.rodata,"a",@progbits
	.p2align	6, 0x0
	.amdhsa_kernel _ZL28rocblas_dot_batched_4_kernelIlLi32ELi4ELb1E19rocblas_complex_numIdES1_PKS1_EviT5_lT_lS4_lS5_liPT4_
		.amdhsa_group_segment_fixed_size 0
		.amdhsa_private_segment_fixed_size 0
		.amdhsa_kernarg_size 88
		.amdhsa_user_sgpr_count 15
		.amdhsa_user_sgpr_dispatch_ptr 0
		.amdhsa_user_sgpr_queue_ptr 0
		.amdhsa_user_sgpr_kernarg_segment_ptr 1
		.amdhsa_user_sgpr_dispatch_id 0
		.amdhsa_user_sgpr_private_segment_size 0
		.amdhsa_wavefront_size32 1
		.amdhsa_uses_dynamic_stack 0
		.amdhsa_enable_private_segment 0
		.amdhsa_system_sgpr_workgroup_id_x 1
		.amdhsa_system_sgpr_workgroup_id_y 0
		.amdhsa_system_sgpr_workgroup_id_z 0
		.amdhsa_system_sgpr_workgroup_info 0
		.amdhsa_system_vgpr_workitem_id 1
		.amdhsa_next_free_vgpr 22
		.amdhsa_next_free_sgpr 20
		.amdhsa_reserve_vcc 1
		.amdhsa_float_round_mode_32 0
		.amdhsa_float_round_mode_16_64 0
		.amdhsa_float_denorm_mode_32 3
		.amdhsa_float_denorm_mode_16_64 3
		.amdhsa_dx10_clamp 1
		.amdhsa_ieee_mode 1
		.amdhsa_fp16_overflow 0
		.amdhsa_workgroup_processor_mode 1
		.amdhsa_memory_ordered 1
		.amdhsa_forward_progress 0
		.amdhsa_shared_vgpr_count 0
		.amdhsa_exception_fp_ieee_invalid_op 0
		.amdhsa_exception_fp_denorm_src 0
		.amdhsa_exception_fp_ieee_div_zero 0
		.amdhsa_exception_fp_ieee_overflow 0
		.amdhsa_exception_fp_ieee_underflow 0
		.amdhsa_exception_fp_ieee_inexact 0
		.amdhsa_exception_int_div_zero 0
	.end_amdhsa_kernel
	.section	.text._ZL28rocblas_dot_batched_4_kernelIlLi32ELi4ELb1E19rocblas_complex_numIdES1_PKS1_EviT5_lT_lS4_lS5_liPT4_,"axG",@progbits,_ZL28rocblas_dot_batched_4_kernelIlLi32ELi4ELb1E19rocblas_complex_numIdES1_PKS1_EviT5_lT_lS4_lS5_liPT4_,comdat
.Lfunc_end132:
	.size	_ZL28rocblas_dot_batched_4_kernelIlLi32ELi4ELb1E19rocblas_complex_numIdES1_PKS1_EviT5_lT_lS4_lS5_liPT4_, .Lfunc_end132-_ZL28rocblas_dot_batched_4_kernelIlLi32ELi4ELb1E19rocblas_complex_numIdES1_PKS1_EviT5_lT_lS4_lS5_liPT4_
                                        ; -- End function
	.section	.AMDGPU.csdata,"",@progbits
; Kernel info:
; codeLenInByte = 1036
; NumSgprs: 22
; NumVgprs: 22
; ScratchSize: 0
; MemoryBound: 0
; FloatMode: 240
; IeeeMode: 1
; LDSByteSize: 0 bytes/workgroup (compile time only)
; SGPRBlocks: 2
; VGPRBlocks: 2
; NumSGPRsForWavesPerEU: 22
; NumVGPRsForWavesPerEU: 22
; Occupancy: 16
; WaveLimiterHint : 0
; COMPUTE_PGM_RSRC2:SCRATCH_EN: 0
; COMPUTE_PGM_RSRC2:USER_SGPR: 15
; COMPUTE_PGM_RSRC2:TRAP_HANDLER: 0
; COMPUTE_PGM_RSRC2:TGID_X_EN: 1
; COMPUTE_PGM_RSRC2:TGID_Y_EN: 0
; COMPUTE_PGM_RSRC2:TGID_Z_EN: 0
; COMPUTE_PGM_RSRC2:TIDIG_COMP_CNT: 1
	.section	.text._ZL28rocblas_dot_batched_4_kernelIlLi64ELi4ELb1E19rocblas_complex_numIdES1_PKS1_EviT5_lT_lS4_lS5_liPT4_,"axG",@progbits,_ZL28rocblas_dot_batched_4_kernelIlLi64ELi4ELb1E19rocblas_complex_numIdES1_PKS1_EviT5_lT_lS4_lS5_liPT4_,comdat
	.globl	_ZL28rocblas_dot_batched_4_kernelIlLi64ELi4ELb1E19rocblas_complex_numIdES1_PKS1_EviT5_lT_lS4_lS5_liPT4_ ; -- Begin function _ZL28rocblas_dot_batched_4_kernelIlLi64ELi4ELb1E19rocblas_complex_numIdES1_PKS1_EviT5_lT_lS4_lS5_liPT4_
	.p2align	8
	.type	_ZL28rocblas_dot_batched_4_kernelIlLi64ELi4ELb1E19rocblas_complex_numIdES1_PKS1_EviT5_lT_lS4_lS5_liPT4_,@function
_ZL28rocblas_dot_batched_4_kernelIlLi64ELi4ELb1E19rocblas_complex_numIdES1_PKS1_EviT5_lT_lS4_lS5_liPT4_: ; @_ZL28rocblas_dot_batched_4_kernelIlLi64ELi4ELb1E19rocblas_complex_numIdES1_PKS1_EviT5_lT_lS4_lS5_liPT4_
; %bb.0:
	s_load_b32 s2, s[0:1], 0x48
	v_bfe_u32 v1, v0, 10, 10
	s_delay_alu instid0(VALU_DEP_1) | instskip(SKIP_1) | instid1(VALU_DEP_1)
	v_lshl_add_u32 v1, s15, 2, v1
	s_waitcnt lgkmcnt(0)
	v_cmp_gt_u32_e32 vcc_lo, s2, v1
	s_and_saveexec_b32 s2, vcc_lo
	s_cbranch_execz .LBB133_7
; %bb.1:
	s_clause 0x1
	s_load_b32 s16, s[0:1], 0x0
	s_load_b64 s[2:3], s[0:1], 0x50
	v_dual_mov_b32 v3, 0 :: v_dual_and_b32 v0, 0x3ff, v0
	v_mov_b32_e32 v4, 0
	v_mov_b32_e32 v2, 0
	s_mov_b32 s17, exec_lo
	s_delay_alu instid0(VALU_DEP_2)
	v_dual_mov_b32 v6, v4 :: v_dual_mov_b32 v5, v3
	s_waitcnt lgkmcnt(0)
	v_cmpx_gt_i32_e64 s16, v0
	s_cbranch_execz .LBB133_5
; %bb.2:
	s_clause 0x3
	s_load_b256 s[4:11], s[0:1], 0x20
	s_load_b64 s[18:19], s[0:1], 0x40
	s_load_b128 s[12:15], s[0:1], 0x10
	s_load_b64 s[0:1], s[0:1], 0x8
	s_waitcnt lgkmcnt(0)
	v_mad_u64_u32 v[5:6], null, s10, v0, 0
	v_mad_u64_u32 v[7:8], null, s18, v1, 0
	;; [unrolled: 1-line block ×4, first 2 shown]
	s_lshl_b64 s[8:9], s[8:9], 4
	s_delay_alu instid0(VALU_DEP_3) | instskip(NEXT) | instid1(VALU_DEP_3)
	v_mad_u64_u32 v[13:14], null, s11, v0, v[6:7]
	v_mad_u64_u32 v[14:15], null, s19, v1, v[8:9]
	s_delay_alu instid0(VALU_DEP_3)
	v_mad_u64_u32 v[15:16], null, s15, v0, v[10:11]
	v_mov_b32_e32 v3, 0
	v_mov_b32_e32 v4, 0
	v_mad_u64_u32 v[16:17], null, s5, v1, v[12:13]
	v_mov_b32_e32 v6, v13
	v_mov_b32_e32 v8, v14
	;; [unrolled: 1-line block ×3, first 2 shown]
	s_add_u32 s8, s6, s8
	s_addc_u32 s9, s7, s9
	v_lshlrev_b64 v[5:6], 4, v[5:6]
	v_mov_b32_e32 v12, v16
	v_lshlrev_b64 v[7:8], 4, v[7:8]
	v_lshlrev_b64 v[9:10], 4, v[9:10]
	s_lshl_b64 s[6:7], s[12:13], 4
	s_lshl_b64 s[4:5], s[10:11], 10
	v_lshlrev_b64 v[11:12], 4, v[11:12]
	s_add_u32 s0, s0, s6
	v_add_co_u32 v5, vcc_lo, v5, v7
	v_add_co_ci_u32_e32 v6, vcc_lo, v6, v8, vcc_lo
	s_delay_alu instid0(VALU_DEP_3) | instskip(NEXT) | instid1(VALU_DEP_4)
	v_add_co_u32 v7, vcc_lo, v9, v11
	v_add_co_ci_u32_e32 v8, vcc_lo, v10, v12, vcc_lo
	s_delay_alu instid0(VALU_DEP_4) | instskip(NEXT) | instid1(VALU_DEP_4)
	v_add_co_u32 v5, vcc_lo, s8, v5
	v_add_co_ci_u32_e32 v6, vcc_lo, s9, v6, vcc_lo
	s_addc_u32 s1, s1, s7
	v_add_co_u32 v9, vcc_lo, s0, v7
	v_add_co_ci_u32_e32 v10, vcc_lo, s1, v8, vcc_lo
	v_add_co_u32 v7, vcc_lo, v5, 8
	v_add_co_ci_u32_e32 v8, vcc_lo, 0, v6, vcc_lo
	s_delay_alu instid0(VALU_DEP_4)
	v_add_co_u32 v9, vcc_lo, v9, 8
	v_mov_b32_e32 v11, v0
	v_dual_mov_b32 v6, v4 :: v_dual_mov_b32 v5, v3
	v_add_co_ci_u32_e32 v10, vcc_lo, 0, v10, vcc_lo
	s_lshl_b64 s[6:7], s[14:15], 10
	s_mov_b32 s1, 0
	.p2align	6
.LBB133_3:                              ; =>This Inner Loop Header: Depth=1
	global_load_b128 v[12:15], v[9:10], off offset:-8
	global_load_b128 v[16:19], v[7:8], off offset:-8
	v_add_nc_u32_e32 v11, 64, v11
	v_add_co_u32 v7, vcc_lo, v7, s4
	v_add_co_ci_u32_e32 v8, vcc_lo, s5, v8, vcc_lo
	s_delay_alu instid0(VALU_DEP_3) | instskip(SKIP_1) | instid1(VALU_DEP_1)
	v_cmp_le_i32_e32 vcc_lo, s16, v11
	v_add_co_u32 v9, s0, v9, s6
	v_add_co_ci_u32_e64 v10, s0, s7, v10, s0
	s_or_b32 s1, vcc_lo, s1
	s_waitcnt vmcnt(0)
	v_mul_f64 v[20:21], v[14:15], v[18:19]
	v_mul_f64 v[14:15], v[14:15], v[16:17]
	s_delay_alu instid0(VALU_DEP_2) | instskip(NEXT) | instid1(VALU_DEP_2)
	v_fma_f64 v[16:17], v[12:13], v[16:17], v[20:21]
	v_fma_f64 v[12:13], v[12:13], v[18:19], -v[14:15]
	s_delay_alu instid0(VALU_DEP_2) | instskip(NEXT) | instid1(VALU_DEP_2)
	v_add_f64 v[3:4], v[3:4], v[16:17]
	v_add_f64 v[5:6], v[5:6], v[12:13]
	s_and_not1_b32 exec_lo, exec_lo, s1
	s_cbranch_execnz .LBB133_3
; %bb.4:
	s_or_b32 exec_lo, exec_lo, s1
.LBB133_5:
	s_delay_alu instid0(SALU_CYCLE_1)
	s_or_b32 exec_lo, exec_lo, s17
	v_mbcnt_lo_u32_b32 v11, -1, 0
	s_barrier
	buffer_gl0_inv
	v_lshlrev_b32_e32 v10, 2, v11
	v_cmp_gt_u32_e32 vcc_lo, 16, v11
	ds_bpermute_b32 v7, v10, v3
	ds_bpermute_b32 v8, v10, v4
	ds_bpermute_b32 v9, v10, v5
	ds_bpermute_b32 v10, v10, v6
	s_waitcnt lgkmcnt(2)
	v_add_f64 v[3:4], v[3:4], v[7:8]
	v_cndmask_b32_e64 v7, 0, 1, vcc_lo
	s_waitcnt lgkmcnt(0)
	v_add_f64 v[5:6], v[5:6], v[9:10]
	v_cmp_gt_u32_e32 vcc_lo, 24, v11
	s_delay_alu instid0(VALU_DEP_3) | instskip(NEXT) | instid1(VALU_DEP_1)
	v_lshlrev_b32_e32 v7, 4, v7
	v_add_lshl_u32 v10, v7, v11, 2
	ds_bpermute_b32 v7, v10, v3
	ds_bpermute_b32 v8, v10, v4
	ds_bpermute_b32 v9, v10, v5
	ds_bpermute_b32 v10, v10, v6
	s_waitcnt lgkmcnt(2)
	v_add_f64 v[3:4], v[3:4], v[7:8]
	v_cndmask_b32_e64 v7, 0, 1, vcc_lo
	s_waitcnt lgkmcnt(0)
	v_add_f64 v[5:6], v[5:6], v[9:10]
	v_cmp_gt_u32_e32 vcc_lo, 28, v11
	s_delay_alu instid0(VALU_DEP_3) | instskip(NEXT) | instid1(VALU_DEP_1)
	v_lshlrev_b32_e32 v7, 3, v7
	v_add_lshl_u32 v10, v7, v11, 2
	;; [unrolled: 13-line block ×3, first 2 shown]
	ds_bpermute_b32 v7, v10, v3
	ds_bpermute_b32 v8, v10, v4
	;; [unrolled: 1-line block ×4, first 2 shown]
	s_waitcnt lgkmcnt(2)
	v_add_f64 v[3:4], v[3:4], v[7:8]
	v_cndmask_b32_e64 v7, 0, 1, vcc_lo
	s_waitcnt lgkmcnt(0)
	v_add_f64 v[5:6], v[5:6], v[9:10]
	v_cmp_ne_u32_e32 vcc_lo, 31, v11
	s_delay_alu instid0(VALU_DEP_3) | instskip(NEXT) | instid1(VALU_DEP_1)
	v_lshlrev_b32_e32 v7, 1, v7
	v_add_lshl_u32 v10, v7, v11, 2
	ds_bpermute_b32 v7, v10, v3
	ds_bpermute_b32 v8, v10, v4
	;; [unrolled: 1-line block ×4, first 2 shown]
	s_waitcnt lgkmcnt(2)
	v_add_f64 v[3:4], v[3:4], v[7:8]
	s_waitcnt lgkmcnt(0)
	v_add_f64 v[7:8], v[5:6], v[9:10]
	v_add_co_ci_u32_e32 v5, vcc_lo, 0, v11, vcc_lo
	v_cmp_eq_u32_e32 vcc_lo, 0, v0
	s_delay_alu instid0(VALU_DEP_2)
	v_lshlrev_b32_e32 v10, 2, v5
	ds_bpermute_b32 v5, v10, v3
	ds_bpermute_b32 v6, v10, v4
	;; [unrolled: 1-line block ×4, first 2 shown]
	s_and_b32 exec_lo, exec_lo, vcc_lo
	s_cbranch_execz .LBB133_7
; %bb.6:
	s_waitcnt lgkmcnt(0)
	v_add_f64 v[7:8], v[7:8], v[9:10]
	v_add_f64 v[5:6], v[3:4], v[5:6]
	v_lshlrev_b64 v[0:1], 4, v[1:2]
	s_delay_alu instid0(VALU_DEP_1) | instskip(NEXT) | instid1(VALU_DEP_2)
	v_add_co_u32 v0, vcc_lo, s2, v0
	v_add_co_ci_u32_e32 v1, vcc_lo, s3, v1, vcc_lo
	global_store_b128 v[0:1], v[5:8], off
.LBB133_7:
	s_nop 0
	s_sendmsg sendmsg(MSG_DEALLOC_VGPRS)
	s_endpgm
	.section	.rodata,"a",@progbits
	.p2align	6, 0x0
	.amdhsa_kernel _ZL28rocblas_dot_batched_4_kernelIlLi64ELi4ELb1E19rocblas_complex_numIdES1_PKS1_EviT5_lT_lS4_lS5_liPT4_
		.amdhsa_group_segment_fixed_size 0
		.amdhsa_private_segment_fixed_size 0
		.amdhsa_kernarg_size 88
		.amdhsa_user_sgpr_count 15
		.amdhsa_user_sgpr_dispatch_ptr 0
		.amdhsa_user_sgpr_queue_ptr 0
		.amdhsa_user_sgpr_kernarg_segment_ptr 1
		.amdhsa_user_sgpr_dispatch_id 0
		.amdhsa_user_sgpr_private_segment_size 0
		.amdhsa_wavefront_size32 1
		.amdhsa_uses_dynamic_stack 0
		.amdhsa_enable_private_segment 0
		.amdhsa_system_sgpr_workgroup_id_x 1
		.amdhsa_system_sgpr_workgroup_id_y 0
		.amdhsa_system_sgpr_workgroup_id_z 0
		.amdhsa_system_sgpr_workgroup_info 0
		.amdhsa_system_vgpr_workitem_id 1
		.amdhsa_next_free_vgpr 22
		.amdhsa_next_free_sgpr 20
		.amdhsa_reserve_vcc 1
		.amdhsa_float_round_mode_32 0
		.amdhsa_float_round_mode_16_64 0
		.amdhsa_float_denorm_mode_32 3
		.amdhsa_float_denorm_mode_16_64 3
		.amdhsa_dx10_clamp 1
		.amdhsa_ieee_mode 1
		.amdhsa_fp16_overflow 0
		.amdhsa_workgroup_processor_mode 1
		.amdhsa_memory_ordered 1
		.amdhsa_forward_progress 0
		.amdhsa_shared_vgpr_count 0
		.amdhsa_exception_fp_ieee_invalid_op 0
		.amdhsa_exception_fp_denorm_src 0
		.amdhsa_exception_fp_ieee_div_zero 0
		.amdhsa_exception_fp_ieee_overflow 0
		.amdhsa_exception_fp_ieee_underflow 0
		.amdhsa_exception_fp_ieee_inexact 0
		.amdhsa_exception_int_div_zero 0
	.end_amdhsa_kernel
	.section	.text._ZL28rocblas_dot_batched_4_kernelIlLi64ELi4ELb1E19rocblas_complex_numIdES1_PKS1_EviT5_lT_lS4_lS5_liPT4_,"axG",@progbits,_ZL28rocblas_dot_batched_4_kernelIlLi64ELi4ELb1E19rocblas_complex_numIdES1_PKS1_EviT5_lT_lS4_lS5_liPT4_,comdat
.Lfunc_end133:
	.size	_ZL28rocblas_dot_batched_4_kernelIlLi64ELi4ELb1E19rocblas_complex_numIdES1_PKS1_EviT5_lT_lS4_lS5_liPT4_, .Lfunc_end133-_ZL28rocblas_dot_batched_4_kernelIlLi64ELi4ELb1E19rocblas_complex_numIdES1_PKS1_EviT5_lT_lS4_lS5_liPT4_
                                        ; -- End function
	.section	.AMDGPU.csdata,"",@progbits
; Kernel info:
; codeLenInByte = 1096
; NumSgprs: 22
; NumVgprs: 22
; ScratchSize: 0
; MemoryBound: 0
; FloatMode: 240
; IeeeMode: 1
; LDSByteSize: 0 bytes/workgroup (compile time only)
; SGPRBlocks: 2
; VGPRBlocks: 2
; NumSGPRsForWavesPerEU: 22
; NumVGPRsForWavesPerEU: 22
; Occupancy: 16
; WaveLimiterHint : 0
; COMPUTE_PGM_RSRC2:SCRATCH_EN: 0
; COMPUTE_PGM_RSRC2:USER_SGPR: 15
; COMPUTE_PGM_RSRC2:TRAP_HANDLER: 0
; COMPUTE_PGM_RSRC2:TGID_X_EN: 1
; COMPUTE_PGM_RSRC2:TGID_Y_EN: 0
; COMPUTE_PGM_RSRC2:TGID_Z_EN: 0
; COMPUTE_PGM_RSRC2:TIDIG_COMP_CNT: 1
	.section	.text._ZL18rocblas_dot_kernelIlLb1ELi1024ELi32ELb1E19rocblas_complex_numIdEPKS1_S1_EviT5_lT_lS4_lS5_liPT6_PT4_,"axG",@progbits,_ZL18rocblas_dot_kernelIlLb1ELi1024ELi32ELb1E19rocblas_complex_numIdEPKS1_S1_EviT5_lT_lS4_lS5_liPT6_PT4_,comdat
	.globl	_ZL18rocblas_dot_kernelIlLb1ELi1024ELi32ELb1E19rocblas_complex_numIdEPKS1_S1_EviT5_lT_lS4_lS5_liPT6_PT4_ ; -- Begin function _ZL18rocblas_dot_kernelIlLb1ELi1024ELi32ELb1E19rocblas_complex_numIdEPKS1_S1_EviT5_lT_lS4_lS5_liPT6_PT4_
	.p2align	8
	.type	_ZL18rocblas_dot_kernelIlLb1ELi1024ELi32ELb1E19rocblas_complex_numIdEPKS1_S1_EviT5_lT_lS4_lS5_liPT6_PT4_,@function
_ZL18rocblas_dot_kernelIlLb1ELi1024ELi32ELb1E19rocblas_complex_numIdEPKS1_S1_EviT5_lT_lS4_lS5_liPT6_PT4_: ; @_ZL18rocblas_dot_kernelIlLb1ELi1024ELi32ELb1E19rocblas_complex_numIdEPKS1_S1_EviT5_lT_lS4_lS5_liPT6_PT4_
; %bb.0:
	s_clause 0x1
	s_load_b32 s18, s[0:1], 0x0
	s_load_b64 s[2:3], s[0:1], 0x58
	v_mov_b32_e32 v1, 0
	v_mov_b32_e32 v2, 0
	s_mov_b32 s16, s15
	s_mov_b32 s17, 0
	s_mov_b32 s19, exec_lo
	s_delay_alu instid0(VALU_DEP_1)
	v_dual_mov_b32 v4, v2 :: v_dual_mov_b32 v3, v1
	s_waitcnt lgkmcnt(0)
	v_cmpx_gt_i32_e64 s18, v0
	s_cbranch_execz .LBB134_4
; %bb.1:
	s_clause 0x4
	s_load_b32 s24, s[0:1], 0x60
	s_load_b256 s[4:11], s[0:1], 0x20
	s_load_b128 s[12:15], s[0:1], 0x10
	s_load_b64 s[20:21], s[0:1], 0x40
	s_load_b64 s[22:23], s[0:1], 0x8
	s_waitcnt lgkmcnt(0)
	s_lshl_b32 s1, s24, 10
	v_mad_u64_u32 v[3:4], null, s10, v0, 0
	v_mad_u64_u32 v[1:2], null, s14, v0, 0
	s_mul_i32 s0, s5, s16
	s_mul_hi_u32 s5, s4, s16
	s_mul_i32 s4, s4, s16
	s_add_i32 s5, s5, s0
	s_lshl_b64 s[12:13], s[12:13], 4
	s_lshl_b64 s[4:5], s[4:5], 4
	s_delay_alu instid0(VALU_DEP_1)
	v_mad_u64_u32 v[5:6], null, s15, v0, v[2:3]
	v_mov_b32_e32 v2, v4
	s_add_u32 s12, s22, s12
	s_addc_u32 s13, s23, s13
	s_add_u32 s22, s12, s4
	s_addc_u32 s23, s13, s5
	v_mad_u64_u32 v[6:7], null, s11, v0, v[2:3]
	s_delay_alu instid0(VALU_DEP_3)
	v_mov_b32_e32 v2, v5
	s_ashr_i32 s4, s1, 31
	s_mul_hi_u32 s0, s14, s1
	s_mul_i32 s5, s14, s4
	s_mul_i32 s21, s21, s16
	v_lshlrev_b64 v[1:2], 4, v[1:2]
	s_delay_alu instid0(VALU_DEP_3)
	v_mov_b32_e32 v4, v6
	s_mul_hi_u32 s25, s20, s16
	s_mul_i32 s26, s15, s1
	s_add_i32 s0, s0, s5
	s_mul_i32 s20, s20, s16
	v_add_co_u32 v5, vcc_lo, s22, v1
	s_mul_i32 s24, s14, s1
	s_add_i32 s21, s25, s21
	s_add_i32 s25, s0, s26
	s_lshl_b64 s[8:9], s[8:9], 4
	v_add_co_ci_u32_e32 v6, vcc_lo, s23, v2, vcc_lo
	v_lshlrev_b64 v[1:2], 4, v[3:4]
	s_lshl_b64 s[12:13], s[20:21], 4
	s_mul_i32 s0, s10, s4
	s_lshl_b64 s[4:5], s[24:25], 4
	s_add_u32 s6, s6, s8
	s_addc_u32 s7, s7, s9
	v_add_co_u32 v5, vcc_lo, v5, 8
	s_add_u32 s6, s6, s12
	v_add_co_ci_u32_e32 v6, vcc_lo, 0, v6, vcc_lo
	s_addc_u32 s7, s7, s13
	v_add_co_u32 v3, vcc_lo, s6, v1
	v_add_co_ci_u32_e32 v4, vcc_lo, s7, v2, vcc_lo
	v_mov_b32_e32 v1, 0
	v_mov_b32_e32 v2, 0
	s_mul_hi_u32 s8, s10, s1
	v_add_co_u32 v7, vcc_lo, v3, 8
	s_add_i32 s0, s8, s0
	s_mul_i32 s6, s11, s1
	v_or_b32_e32 v9, s1, v0
	v_add_co_ci_u32_e32 v8, vcc_lo, 0, v4, vcc_lo
	v_dual_mov_b32 v4, v2 :: v_dual_mov_b32 v3, v1
	s_add_i32 s7, s0, s6
	s_mul_i32 s6, s10, s1
	s_mov_b32 s8, s17
	s_lshl_b64 s[6:7], s[6:7], 4
	s_mov_b32 s9, s17
	s_set_inst_prefetch_distance 0x1
	.p2align	6
.LBB134_2:                              ; =>This Inner Loop Header: Depth=1
	global_load_b128 v[10:13], v[7:8], off offset:-8
	global_load_b128 v[14:17], v[5:6], off offset:-8
	s_add_i32 s10, s9, 1
	v_cmp_le_i32_e32 vcc_lo, s18, v9
	v_add_co_u32 v5, s0, v5, s4
	s_cmp_gt_u32 s9, 30
	v_add_co_ci_u32_e64 v6, s0, s5, v6, s0
	s_cselect_b32 s9, -1, 0
	v_add_co_u32 v7, s0, v7, s6
	s_or_b32 s9, s9, vcc_lo
	v_add_nc_u32_e32 v9, s1, v9
	v_add_co_ci_u32_e64 v8, vcc_lo, s7, v8, s0
	s_and_b32 s0, exec_lo, s9
	s_mov_b32 s9, s10
	s_or_b32 s8, s0, s8
	s_waitcnt vmcnt(0)
	v_mul_f64 v[18:19], v[12:13], v[16:17]
	v_mul_f64 v[16:17], v[10:11], v[16:17]
	s_delay_alu instid0(VALU_DEP_2) | instskip(NEXT) | instid1(VALU_DEP_2)
	v_fma_f64 v[10:11], v[10:11], v[14:15], v[18:19]
	v_fma_f64 v[12:13], v[12:13], v[14:15], -v[16:17]
	s_delay_alu instid0(VALU_DEP_2) | instskip(NEXT) | instid1(VALU_DEP_2)
	v_add_f64 v[3:4], v[3:4], v[10:11]
	v_add_f64 v[1:2], v[1:2], v[12:13]
	s_and_not1_b32 exec_lo, exec_lo, s8
	s_cbranch_execnz .LBB134_2
; %bb.3:
	s_set_inst_prefetch_distance 0x2
	s_or_b32 exec_lo, exec_lo, s8
.LBB134_4:
	s_delay_alu instid0(SALU_CYCLE_1) | instskip(SKIP_2) | instid1(VALU_DEP_2)
	s_or_b32 exec_lo, exec_lo, s19
	v_and_b32_e32 v15, 31, v0
	v_cmp_gt_u32_e32 vcc_lo, 32, v0
	v_lshlrev_b32_e32 v11, 4, v15
	s_and_saveexec_b32 s0, vcc_lo
	s_cbranch_execz .LBB134_6
; %bb.5:
	v_mov_b32_e32 v5, 0
	s_delay_alu instid0(VALU_DEP_1)
	v_mov_b32_e32 v6, v5
	v_mov_b32_e32 v7, v5
	;; [unrolled: 1-line block ×3, first 2 shown]
	ds_store_b128 v11, v[5:8]
.LBB134_6:
	s_or_b32 exec_lo, exec_lo, s0
	v_mbcnt_lo_u32_b32 v14, -1, 0
	s_mov_b32 s1, exec_lo
	s_waitcnt lgkmcnt(0)
	s_barrier
	buffer_gl0_inv
	v_cmp_gt_u32_e64 s0, 16, v14
	s_delay_alu instid0(VALU_DEP_1) | instskip(SKIP_1) | instid1(VALU_DEP_2)
	v_cndmask_b32_e64 v5, 0, 1, s0
	v_cmp_gt_u32_e64 s0, 24, v14
	v_lshlrev_b32_e32 v5, 4, v5
	s_delay_alu instid0(VALU_DEP_1)
	v_add_lshl_u32 v9, v5, v14, 2
	ds_bpermute_b32 v5, v9, v3
	ds_bpermute_b32 v6, v9, v4
	;; [unrolled: 1-line block ×4, first 2 shown]
	s_waitcnt lgkmcnt(2)
	v_add_f64 v[3:4], v[3:4], v[5:6]
	v_cndmask_b32_e64 v5, 0, 1, s0
	s_waitcnt lgkmcnt(0)
	v_add_f64 v[1:2], v[1:2], v[7:8]
	v_cmp_gt_u32_e64 s0, 28, v14
	s_delay_alu instid0(VALU_DEP_3) | instskip(NEXT) | instid1(VALU_DEP_1)
	v_lshlrev_b32_e32 v5, 3, v5
	v_add_lshl_u32 v10, v5, v14, 2
	ds_bpermute_b32 v5, v10, v3
	ds_bpermute_b32 v6, v10, v4
	;; [unrolled: 1-line block ×4, first 2 shown]
	s_waitcnt lgkmcnt(2)
	v_add_f64 v[3:4], v[3:4], v[5:6]
	v_cndmask_b32_e64 v5, 0, 1, s0
	s_waitcnt lgkmcnt(0)
	v_add_f64 v[1:2], v[1:2], v[7:8]
	v_cmp_gt_u32_e64 s0, 30, v14
	s_delay_alu instid0(VALU_DEP_3) | instskip(NEXT) | instid1(VALU_DEP_1)
	v_lshlrev_b32_e32 v5, 2, v5
	v_add_lshl_u32 v12, v5, v14, 2
	ds_bpermute_b32 v5, v12, v3
	ds_bpermute_b32 v6, v12, v4
	;; [unrolled: 1-line block ×4, first 2 shown]
	s_waitcnt lgkmcnt(2)
	v_add_f64 v[3:4], v[3:4], v[5:6]
	s_waitcnt lgkmcnt(0)
	v_add_f64 v[5:6], v[1:2], v[7:8]
	v_cndmask_b32_e64 v1, 0, 1, s0
	v_cmp_ne_u32_e64 s0, 31, v14
	s_delay_alu instid0(VALU_DEP_2) | instskip(NEXT) | instid1(VALU_DEP_1)
	v_lshlrev_b32_e32 v1, 1, v1
	v_add_lshl_u32 v13, v1, v14, 2
	ds_bpermute_b32 v1, v13, v3
	ds_bpermute_b32 v2, v13, v4
	;; [unrolled: 1-line block ×4, first 2 shown]
	s_waitcnt lgkmcnt(2)
	v_add_f64 v[1:2], v[3:4], v[1:2]
	v_add_co_ci_u32_e64 v3, s0, 0, v14, s0
	s_waitcnt lgkmcnt(0)
	v_add_f64 v[5:6], v[5:6], v[7:8]
	s_delay_alu instid0(VALU_DEP_2)
	v_lshlrev_b32_e32 v14, 2, v3
	ds_bpermute_b32 v3, v14, v1
	ds_bpermute_b32 v4, v14, v2
	;; [unrolled: 1-line block ×4, first 2 shown]
	v_cmpx_eq_u32_e32 0, v15
	s_cbranch_execz .LBB134_8
; %bb.7:
	s_waitcnt lgkmcnt(0)
	v_add_f64 v[5:6], v[5:6], v[7:8]
	v_add_f64 v[3:4], v[1:2], v[3:4]
	v_lshrrev_b32_e32 v1, 1, v0
	s_delay_alu instid0(VALU_DEP_1)
	v_and_b32_e32 v1, 0x1f0, v1
	ds_store_b128 v1, v[3:6]
.LBB134_8:
	s_or_b32 exec_lo, exec_lo, s1
	s_waitcnt lgkmcnt(2)
	v_mov_b32_e32 v3, 0
	v_mov_b32_e32 v4, 0
	s_delay_alu instid0(VALU_DEP_2)
	v_mov_b32_e32 v1, v3
	s_waitcnt lgkmcnt(0)
	s_barrier
	buffer_gl0_inv
	v_mov_b32_e32 v2, v4
	s_and_saveexec_b32 s0, vcc_lo
	s_cbranch_execz .LBB134_10
; %bb.9:
	ds_load_b128 v[1:4], v11
.LBB134_10:
	s_or_b32 exec_lo, exec_lo, s0
	s_and_saveexec_b32 s0, vcc_lo
	s_cbranch_execz .LBB134_12
; %bb.11:
	s_waitcnt lgkmcnt(0)
	ds_bpermute_b32 v5, v9, v1
	ds_bpermute_b32 v6, v9, v2
	ds_bpermute_b32 v7, v9, v3
	ds_bpermute_b32 v8, v9, v4
	s_waitcnt lgkmcnt(2)
	v_add_f64 v[1:2], v[1:2], v[5:6]
	s_waitcnt lgkmcnt(0)
	v_add_f64 v[3:4], v[3:4], v[7:8]
	ds_bpermute_b32 v5, v10, v1
	ds_bpermute_b32 v6, v10, v2
	ds_bpermute_b32 v7, v10, v3
	ds_bpermute_b32 v8, v10, v4
	s_waitcnt lgkmcnt(2)
	v_add_f64 v[1:2], v[1:2], v[5:6]
	s_waitcnt lgkmcnt(0)
	v_add_f64 v[3:4], v[3:4], v[7:8]
	;; [unrolled: 8-line block ×5, first 2 shown]
.LBB134_12:
	s_or_b32 exec_lo, exec_lo, s0
	s_delay_alu instid0(SALU_CYCLE_1)
	s_mov_b32 s0, exec_lo
	v_cmpx_eq_u32_e32 0, v0
	s_cbranch_execz .LBB134_14
; %bb.13:
	s_lshl_b64 s[0:1], s[16:17], 4
	v_mov_b32_e32 v0, 0
	s_add_u32 s0, s2, s0
	s_addc_u32 s1, s3, s1
	s_waitcnt lgkmcnt(0)
	global_store_b128 v0, v[1:4], s[0:1]
.LBB134_14:
	s_nop 0
	s_sendmsg sendmsg(MSG_DEALLOC_VGPRS)
	s_endpgm
	.section	.rodata,"a",@progbits
	.p2align	6, 0x0
	.amdhsa_kernel _ZL18rocblas_dot_kernelIlLb1ELi1024ELi32ELb1E19rocblas_complex_numIdEPKS1_S1_EviT5_lT_lS4_lS5_liPT6_PT4_
		.amdhsa_group_segment_fixed_size 512
		.amdhsa_private_segment_fixed_size 0
		.amdhsa_kernarg_size 352
		.amdhsa_user_sgpr_count 14
		.amdhsa_user_sgpr_dispatch_ptr 0
		.amdhsa_user_sgpr_queue_ptr 0
		.amdhsa_user_sgpr_kernarg_segment_ptr 1
		.amdhsa_user_sgpr_dispatch_id 0
		.amdhsa_user_sgpr_private_segment_size 0
		.amdhsa_wavefront_size32 1
		.amdhsa_uses_dynamic_stack 0
		.amdhsa_enable_private_segment 0
		.amdhsa_system_sgpr_workgroup_id_x 1
		.amdhsa_system_sgpr_workgroup_id_y 0
		.amdhsa_system_sgpr_workgroup_id_z 1
		.amdhsa_system_sgpr_workgroup_info 0
		.amdhsa_system_vgpr_workitem_id 0
		.amdhsa_next_free_vgpr 20
		.amdhsa_next_free_sgpr 27
		.amdhsa_reserve_vcc 1
		.amdhsa_float_round_mode_32 0
		.amdhsa_float_round_mode_16_64 0
		.amdhsa_float_denorm_mode_32 3
		.amdhsa_float_denorm_mode_16_64 3
		.amdhsa_dx10_clamp 1
		.amdhsa_ieee_mode 1
		.amdhsa_fp16_overflow 0
		.amdhsa_workgroup_processor_mode 1
		.amdhsa_memory_ordered 1
		.amdhsa_forward_progress 0
		.amdhsa_shared_vgpr_count 0
		.amdhsa_exception_fp_ieee_invalid_op 0
		.amdhsa_exception_fp_denorm_src 0
		.amdhsa_exception_fp_ieee_div_zero 0
		.amdhsa_exception_fp_ieee_overflow 0
		.amdhsa_exception_fp_ieee_underflow 0
		.amdhsa_exception_fp_ieee_inexact 0
		.amdhsa_exception_int_div_zero 0
	.end_amdhsa_kernel
	.section	.text._ZL18rocblas_dot_kernelIlLb1ELi1024ELi32ELb1E19rocblas_complex_numIdEPKS1_S1_EviT5_lT_lS4_lS5_liPT6_PT4_,"axG",@progbits,_ZL18rocblas_dot_kernelIlLb1ELi1024ELi32ELb1E19rocblas_complex_numIdEPKS1_S1_EviT5_lT_lS4_lS5_liPT6_PT4_,comdat
.Lfunc_end134:
	.size	_ZL18rocblas_dot_kernelIlLb1ELi1024ELi32ELb1E19rocblas_complex_numIdEPKS1_S1_EviT5_lT_lS4_lS5_liPT6_PT4_, .Lfunc_end134-_ZL18rocblas_dot_kernelIlLb1ELi1024ELi32ELb1E19rocblas_complex_numIdEPKS1_S1_EviT5_lT_lS4_lS5_liPT6_PT4_
                                        ; -- End function
	.section	.AMDGPU.csdata,"",@progbits
; Kernel info:
; codeLenInByte = 1540
; NumSgprs: 29
; NumVgprs: 20
; ScratchSize: 0
; MemoryBound: 0
; FloatMode: 240
; IeeeMode: 1
; LDSByteSize: 512 bytes/workgroup (compile time only)
; SGPRBlocks: 3
; VGPRBlocks: 2
; NumSGPRsForWavesPerEU: 29
; NumVGPRsForWavesPerEU: 20
; Occupancy: 16
; WaveLimiterHint : 0
; COMPUTE_PGM_RSRC2:SCRATCH_EN: 0
; COMPUTE_PGM_RSRC2:USER_SGPR: 14
; COMPUTE_PGM_RSRC2:TRAP_HANDLER: 0
; COMPUTE_PGM_RSRC2:TGID_X_EN: 1
; COMPUTE_PGM_RSRC2:TGID_Y_EN: 0
; COMPUTE_PGM_RSRC2:TGID_Z_EN: 1
; COMPUTE_PGM_RSRC2:TIDIG_COMP_CNT: 0
	.section	.text._ZL24rocblas_dot_kernel_magsqIlLb1ELi1024ELi32ELb1E19rocblas_complex_numIdEPKS1_S1_EviT5_lT_liPT6_PT4_,"axG",@progbits,_ZL24rocblas_dot_kernel_magsqIlLb1ELi1024ELi32ELb1E19rocblas_complex_numIdEPKS1_S1_EviT5_lT_liPT6_PT4_,comdat
	.globl	_ZL24rocblas_dot_kernel_magsqIlLb1ELi1024ELi32ELb1E19rocblas_complex_numIdEPKS1_S1_EviT5_lT_liPT6_PT4_ ; -- Begin function _ZL24rocblas_dot_kernel_magsqIlLb1ELi1024ELi32ELb1E19rocblas_complex_numIdEPKS1_S1_EviT5_lT_liPT6_PT4_
	.p2align	8
	.type	_ZL24rocblas_dot_kernel_magsqIlLb1ELi1024ELi32ELb1E19rocblas_complex_numIdEPKS1_S1_EviT5_lT_liPT6_PT4_,@function
_ZL24rocblas_dot_kernel_magsqIlLb1ELi1024ELi32ELb1E19rocblas_complex_numIdEPKS1_S1_EviT5_lT_liPT6_PT4_: ; @_ZL24rocblas_dot_kernel_magsqIlLb1ELi1024ELi32ELb1E19rocblas_complex_numIdEPKS1_S1_EviT5_lT_liPT6_PT4_
; %bb.0:
	s_clause 0x1
	s_load_b32 s10, s[0:1], 0x0
	s_load_b64 s[2:3], s[0:1], 0x38
	v_mov_b32_e32 v1, 0
	v_mov_b32_e32 v2, 0
	s_mov_b32 s8, s15
	s_mov_b32 s9, 0
	s_mov_b32 s11, exec_lo
	s_delay_alu instid0(VALU_DEP_1)
	v_dual_mov_b32 v4, v2 :: v_dual_mov_b32 v3, v1
	s_waitcnt lgkmcnt(0)
	v_cmpx_gt_i32_e64 s10, v0
	s_cbranch_execz .LBB135_4
; %bb.1:
	s_clause 0x3
	s_load_b128 s[4:7], s[0:1], 0x10
	s_load_b32 s16, s[0:1], 0x40
	s_load_b64 s[12:13], s[0:1], 0x20
	s_load_b64 s[14:15], s[0:1], 0x8
	s_waitcnt lgkmcnt(0)
	v_mad_u64_u32 v[3:4], null, s6, v0, 0
	s_mul_i32 s0, s13, s8
	s_mul_hi_u32 s13, s12, s8
	s_mul_i32 s12, s12, s8
	s_add_i32 s13, s13, s0
	s_lshl_b64 s[4:5], s[4:5], 4
	s_lshl_b32 s1, s16, 10
	s_delay_alu instid0(VALU_DEP_1)
	v_mad_u64_u32 v[5:6], null, s7, v0, v[4:5]
	v_mov_b32_e32 v1, 0
	s_lshl_b64 s[12:13], s[12:13], 4
	s_add_u32 s0, s14, s4
	s_addc_u32 s4, s15, s5
	s_add_u32 s0, s0, s12
	v_mov_b32_e32 v2, 0
	s_delay_alu instid0(VALU_DEP_3)
	v_mov_b32_e32 v4, v5
	s_addc_u32 s12, s4, s13
	s_ashr_i32 s4, s1, 31
	s_mul_hi_u32 s5, s6, s1
	s_mul_i32 s4, s6, s4
	v_lshlrev_b64 v[3:4], 4, v[3:4]
	s_mul_i32 s7, s7, s1
	s_add_i32 s5, s5, s4
	v_or_b32_e32 v7, s1, v0
	s_mul_i32 s4, s6, s1
	s_add_i32 s5, s5, s7
	v_add_co_u32 v5, vcc_lo, s0, v3
	v_add_co_ci_u32_e32 v6, vcc_lo, s12, v4, vcc_lo
	v_dual_mov_b32 v4, v2 :: v_dual_mov_b32 v3, v1
	s_lshl_b64 s[4:5], s[4:5], 4
	s_mov_b32 s6, s9
	s_mov_b32 s7, s9
	.p2align	6
.LBB135_2:                              ; =>This Inner Loop Header: Depth=1
	global_load_b128 v[8:11], v[5:6], off
	s_add_i32 s12, s7, 1
	v_cmp_le_i32_e32 vcc_lo, s10, v7
	s_cmp_gt_u32 s7, 30
	v_add_co_u32 v5, s0, v5, s4
	s_cselect_b32 s7, -1, 0
	v_add_nc_u32_e32 v7, s1, v7
	s_or_b32 s7, s7, vcc_lo
	v_add_co_ci_u32_e64 v6, vcc_lo, s5, v6, s0
	s_and_b32 s0, exec_lo, s7
	s_mov_b32 s7, s12
	s_or_b32 s6, s0, s6
	s_waitcnt vmcnt(0)
	v_mul_f64 v[12:13], v[10:11], v[10:11]
	v_mul_f64 v[14:15], v[8:9], v[10:11]
	s_delay_alu instid0(VALU_DEP_2) | instskip(NEXT) | instid1(VALU_DEP_2)
	v_fma_f64 v[12:13], v[8:9], v[8:9], v[12:13]
	v_fma_f64 v[8:9], v[8:9], v[10:11], -v[14:15]
	s_delay_alu instid0(VALU_DEP_2) | instskip(NEXT) | instid1(VALU_DEP_2)
	v_add_f64 v[3:4], v[3:4], v[12:13]
	v_add_f64 v[1:2], v[1:2], v[8:9]
	s_and_not1_b32 exec_lo, exec_lo, s6
	s_cbranch_execnz .LBB135_2
; %bb.3:
	s_or_b32 exec_lo, exec_lo, s6
.LBB135_4:
	s_delay_alu instid0(SALU_CYCLE_1) | instskip(SKIP_2) | instid1(VALU_DEP_2)
	s_or_b32 exec_lo, exec_lo, s11
	v_and_b32_e32 v15, 31, v0
	v_cmp_gt_u32_e32 vcc_lo, 32, v0
	v_lshlrev_b32_e32 v11, 4, v15
	s_and_saveexec_b32 s0, vcc_lo
	s_cbranch_execz .LBB135_6
; %bb.5:
	v_mov_b32_e32 v5, 0
	s_delay_alu instid0(VALU_DEP_1)
	v_mov_b32_e32 v6, v5
	v_mov_b32_e32 v7, v5
	;; [unrolled: 1-line block ×3, first 2 shown]
	ds_store_b128 v11, v[5:8]
.LBB135_6:
	s_or_b32 exec_lo, exec_lo, s0
	v_mbcnt_lo_u32_b32 v14, -1, 0
	s_mov_b32 s1, exec_lo
	s_waitcnt lgkmcnt(0)
	s_barrier
	buffer_gl0_inv
	v_cmp_gt_u32_e64 s0, 16, v14
	s_delay_alu instid0(VALU_DEP_1) | instskip(SKIP_1) | instid1(VALU_DEP_2)
	v_cndmask_b32_e64 v5, 0, 1, s0
	v_cmp_gt_u32_e64 s0, 24, v14
	v_lshlrev_b32_e32 v5, 4, v5
	s_delay_alu instid0(VALU_DEP_1)
	v_add_lshl_u32 v9, v5, v14, 2
	ds_bpermute_b32 v5, v9, v3
	ds_bpermute_b32 v6, v9, v4
	;; [unrolled: 1-line block ×4, first 2 shown]
	s_waitcnt lgkmcnt(2)
	v_add_f64 v[3:4], v[3:4], v[5:6]
	v_cndmask_b32_e64 v5, 0, 1, s0
	s_waitcnt lgkmcnt(0)
	v_add_f64 v[1:2], v[1:2], v[7:8]
	v_cmp_gt_u32_e64 s0, 28, v14
	s_delay_alu instid0(VALU_DEP_3) | instskip(NEXT) | instid1(VALU_DEP_1)
	v_lshlrev_b32_e32 v5, 3, v5
	v_add_lshl_u32 v10, v5, v14, 2
	ds_bpermute_b32 v5, v10, v3
	ds_bpermute_b32 v6, v10, v4
	;; [unrolled: 1-line block ×4, first 2 shown]
	s_waitcnt lgkmcnt(2)
	v_add_f64 v[3:4], v[3:4], v[5:6]
	v_cndmask_b32_e64 v5, 0, 1, s0
	s_waitcnt lgkmcnt(0)
	v_add_f64 v[1:2], v[1:2], v[7:8]
	v_cmp_gt_u32_e64 s0, 30, v14
	s_delay_alu instid0(VALU_DEP_3) | instskip(NEXT) | instid1(VALU_DEP_1)
	v_lshlrev_b32_e32 v5, 2, v5
	v_add_lshl_u32 v12, v5, v14, 2
	ds_bpermute_b32 v5, v12, v3
	ds_bpermute_b32 v6, v12, v4
	;; [unrolled: 1-line block ×4, first 2 shown]
	s_waitcnt lgkmcnt(2)
	v_add_f64 v[3:4], v[3:4], v[5:6]
	s_waitcnt lgkmcnt(0)
	v_add_f64 v[5:6], v[1:2], v[7:8]
	v_cndmask_b32_e64 v1, 0, 1, s0
	v_cmp_ne_u32_e64 s0, 31, v14
	s_delay_alu instid0(VALU_DEP_2) | instskip(NEXT) | instid1(VALU_DEP_1)
	v_lshlrev_b32_e32 v1, 1, v1
	v_add_lshl_u32 v13, v1, v14, 2
	ds_bpermute_b32 v1, v13, v3
	ds_bpermute_b32 v2, v13, v4
	;; [unrolled: 1-line block ×4, first 2 shown]
	s_waitcnt lgkmcnt(2)
	v_add_f64 v[1:2], v[3:4], v[1:2]
	v_add_co_ci_u32_e64 v3, s0, 0, v14, s0
	s_waitcnt lgkmcnt(0)
	v_add_f64 v[5:6], v[5:6], v[7:8]
	s_delay_alu instid0(VALU_DEP_2)
	v_lshlrev_b32_e32 v14, 2, v3
	ds_bpermute_b32 v3, v14, v1
	ds_bpermute_b32 v4, v14, v2
	;; [unrolled: 1-line block ×4, first 2 shown]
	v_cmpx_eq_u32_e32 0, v15
	s_cbranch_execz .LBB135_8
; %bb.7:
	s_waitcnt lgkmcnt(0)
	v_add_f64 v[5:6], v[5:6], v[7:8]
	v_add_f64 v[3:4], v[1:2], v[3:4]
	v_lshrrev_b32_e32 v1, 1, v0
	s_delay_alu instid0(VALU_DEP_1)
	v_and_b32_e32 v1, 0x1f0, v1
	ds_store_b128 v1, v[3:6]
.LBB135_8:
	s_or_b32 exec_lo, exec_lo, s1
	s_waitcnt lgkmcnt(2)
	v_mov_b32_e32 v3, 0
	v_mov_b32_e32 v4, 0
	s_delay_alu instid0(VALU_DEP_2)
	v_mov_b32_e32 v1, v3
	s_waitcnt lgkmcnt(0)
	s_barrier
	buffer_gl0_inv
	v_mov_b32_e32 v2, v4
	s_and_saveexec_b32 s0, vcc_lo
	s_cbranch_execz .LBB135_10
; %bb.9:
	ds_load_b128 v[1:4], v11
.LBB135_10:
	s_or_b32 exec_lo, exec_lo, s0
	s_and_saveexec_b32 s0, vcc_lo
	s_cbranch_execz .LBB135_12
; %bb.11:
	s_waitcnt lgkmcnt(0)
	ds_bpermute_b32 v5, v9, v1
	ds_bpermute_b32 v6, v9, v2
	ds_bpermute_b32 v7, v9, v3
	ds_bpermute_b32 v8, v9, v4
	s_waitcnt lgkmcnt(2)
	v_add_f64 v[1:2], v[1:2], v[5:6]
	s_waitcnt lgkmcnt(0)
	v_add_f64 v[3:4], v[3:4], v[7:8]
	ds_bpermute_b32 v5, v10, v1
	ds_bpermute_b32 v6, v10, v2
	ds_bpermute_b32 v7, v10, v3
	ds_bpermute_b32 v8, v10, v4
	s_waitcnt lgkmcnt(2)
	v_add_f64 v[1:2], v[1:2], v[5:6]
	s_waitcnt lgkmcnt(0)
	v_add_f64 v[3:4], v[3:4], v[7:8]
	;; [unrolled: 8-line block ×5, first 2 shown]
.LBB135_12:
	s_or_b32 exec_lo, exec_lo, s0
	s_delay_alu instid0(SALU_CYCLE_1)
	s_mov_b32 s0, exec_lo
	v_cmpx_eq_u32_e32 0, v0
	s_cbranch_execz .LBB135_14
; %bb.13:
	s_lshl_b64 s[0:1], s[8:9], 4
	v_mov_b32_e32 v0, 0
	s_add_u32 s0, s2, s0
	s_addc_u32 s1, s3, s1
	s_waitcnt lgkmcnt(0)
	global_store_b128 v0, v[1:4], s[0:1]
.LBB135_14:
	s_nop 0
	s_sendmsg sendmsg(MSG_DEALLOC_VGPRS)
	s_endpgm
	.section	.rodata,"a",@progbits
	.p2align	6, 0x0
	.amdhsa_kernel _ZL24rocblas_dot_kernel_magsqIlLb1ELi1024ELi32ELb1E19rocblas_complex_numIdEPKS1_S1_EviT5_lT_liPT6_PT4_
		.amdhsa_group_segment_fixed_size 512
		.amdhsa_private_segment_fixed_size 0
		.amdhsa_kernarg_size 320
		.amdhsa_user_sgpr_count 14
		.amdhsa_user_sgpr_dispatch_ptr 0
		.amdhsa_user_sgpr_queue_ptr 0
		.amdhsa_user_sgpr_kernarg_segment_ptr 1
		.amdhsa_user_sgpr_dispatch_id 0
		.amdhsa_user_sgpr_private_segment_size 0
		.amdhsa_wavefront_size32 1
		.amdhsa_uses_dynamic_stack 0
		.amdhsa_enable_private_segment 0
		.amdhsa_system_sgpr_workgroup_id_x 1
		.amdhsa_system_sgpr_workgroup_id_y 0
		.amdhsa_system_sgpr_workgroup_id_z 1
		.amdhsa_system_sgpr_workgroup_info 0
		.amdhsa_system_vgpr_workitem_id 0
		.amdhsa_next_free_vgpr 16
		.amdhsa_next_free_sgpr 17
		.amdhsa_reserve_vcc 1
		.amdhsa_float_round_mode_32 0
		.amdhsa_float_round_mode_16_64 0
		.amdhsa_float_denorm_mode_32 3
		.amdhsa_float_denorm_mode_16_64 3
		.amdhsa_dx10_clamp 1
		.amdhsa_ieee_mode 1
		.amdhsa_fp16_overflow 0
		.amdhsa_workgroup_processor_mode 1
		.amdhsa_memory_ordered 1
		.amdhsa_forward_progress 0
		.amdhsa_shared_vgpr_count 0
		.amdhsa_exception_fp_ieee_invalid_op 0
		.amdhsa_exception_fp_denorm_src 0
		.amdhsa_exception_fp_ieee_div_zero 0
		.amdhsa_exception_fp_ieee_overflow 0
		.amdhsa_exception_fp_ieee_underflow 0
		.amdhsa_exception_fp_ieee_inexact 0
		.amdhsa_exception_int_div_zero 0
	.end_amdhsa_kernel
	.section	.text._ZL24rocblas_dot_kernel_magsqIlLb1ELi1024ELi32ELb1E19rocblas_complex_numIdEPKS1_S1_EviT5_lT_liPT6_PT4_,"axG",@progbits,_ZL24rocblas_dot_kernel_magsqIlLb1ELi1024ELi32ELb1E19rocblas_complex_numIdEPKS1_S1_EviT5_lT_liPT6_PT4_,comdat
.Lfunc_end135:
	.size	_ZL24rocblas_dot_kernel_magsqIlLb1ELi1024ELi32ELb1E19rocblas_complex_numIdEPKS1_S1_EviT5_lT_liPT6_PT4_, .Lfunc_end135-_ZL24rocblas_dot_kernel_magsqIlLb1ELi1024ELi32ELb1E19rocblas_complex_numIdEPKS1_S1_EviT5_lT_liPT6_PT4_
                                        ; -- End function
	.section	.AMDGPU.csdata,"",@progbits
; Kernel info:
; codeLenInByte = 1360
; NumSgprs: 19
; NumVgprs: 16
; ScratchSize: 0
; MemoryBound: 0
; FloatMode: 240
; IeeeMode: 1
; LDSByteSize: 512 bytes/workgroup (compile time only)
; SGPRBlocks: 2
; VGPRBlocks: 1
; NumSGPRsForWavesPerEU: 19
; NumVGPRsForWavesPerEU: 16
; Occupancy: 16
; WaveLimiterHint : 0
; COMPUTE_PGM_RSRC2:SCRATCH_EN: 0
; COMPUTE_PGM_RSRC2:USER_SGPR: 14
; COMPUTE_PGM_RSRC2:TRAP_HANDLER: 0
; COMPUTE_PGM_RSRC2:TGID_X_EN: 1
; COMPUTE_PGM_RSRC2:TGID_Y_EN: 0
; COMPUTE_PGM_RSRC2:TGID_Z_EN: 1
; COMPUTE_PGM_RSRC2:TIDIG_COMP_CNT: 0
	.section	.text._ZL18rocblas_dot_kernelIlLb0ELi512ELi2ELb1E19rocblas_complex_numIdEPKS1_S1_EviT5_lT_lS4_lS5_liPT6_PT4_,"axG",@progbits,_ZL18rocblas_dot_kernelIlLb0ELi512ELi2ELb1E19rocblas_complex_numIdEPKS1_S1_EviT5_lT_lS4_lS5_liPT6_PT4_,comdat
	.globl	_ZL18rocblas_dot_kernelIlLb0ELi512ELi2ELb1E19rocblas_complex_numIdEPKS1_S1_EviT5_lT_lS4_lS5_liPT6_PT4_ ; -- Begin function _ZL18rocblas_dot_kernelIlLb0ELi512ELi2ELb1E19rocblas_complex_numIdEPKS1_S1_EviT5_lT_lS4_lS5_liPT6_PT4_
	.p2align	8
	.type	_ZL18rocblas_dot_kernelIlLb0ELi512ELi2ELb1E19rocblas_complex_numIdEPKS1_S1_EviT5_lT_lS4_lS5_liPT6_PT4_,@function
_ZL18rocblas_dot_kernelIlLb0ELi512ELi2ELb1E19rocblas_complex_numIdEPKS1_S1_EviT5_lT_lS4_lS5_liPT6_PT4_: ; @_ZL18rocblas_dot_kernelIlLb0ELi512ELi2ELb1E19rocblas_complex_numIdEPKS1_S1_EviT5_lT_lS4_lS5_liPT6_PT4_
; %bb.0:
	s_mov_b32 s12, s15
	s_clause 0x1
	s_load_b32 s15, s[0:1], 0x0
	s_load_b32 s3, s[0:1], 0x60
	v_mov_b32_e32 v1, 0
	v_mov_b32_e32 v2, 0
	v_lshl_or_b32 v5, s14, 9, v0
	s_mov_b32 s13, 0
	s_mov_b32 s2, exec_lo
	s_delay_alu instid0(VALU_DEP_2)
	v_dual_mov_b32 v4, v2 :: v_dual_mov_b32 v3, v1
	s_waitcnt lgkmcnt(0)
	v_cmpx_gt_i32_e64 s15, v5
	s_cbranch_execz .LBB136_4
; %bb.1:
	s_clause 0x3
	s_load_b256 s[4:11], s[0:1], 0x20
	s_load_b64 s[20:21], s[0:1], 0x40
	s_load_b128 s[16:19], s[0:1], 0x10
	s_load_b64 s[22:23], s[0:1], 0x8
	v_ashrrev_i32_e32 v3, 31, v5
	s_waitcnt lgkmcnt(0)
	s_mul_i32 s5, s12, s5
	s_mul_hi_u32 s24, s12, s4
	v_mul_lo_u32 v7, v5, s19
	v_mul_lo_u32 v8, v3, s18
	v_mad_u64_u32 v[1:2], null, v5, s18, 0
	v_mul_lo_u32 v6, v5, s11
	v_mul_lo_u32 v9, v3, s10
	v_mad_u64_u32 v[3:4], null, v5, s10, 0
	s_mul_i32 s4, s12, s4
	s_add_i32 s5, s24, s5
	s_delay_alu instid0(VALU_DEP_4)
	v_add3_u32 v2, v2, v7, v8
	s_lshl_b64 s[4:5], s[4:5], 4
	s_mul_i32 s21, s12, s21
	s_add_u32 s22, s22, s4
	s_addc_u32 s23, s23, s5
	s_lshl_b64 s[4:5], s[16:17], 4
	s_mul_hi_u32 s25, s12, s20
	v_add3_u32 v4, v4, v6, v9
	s_add_u32 s4, s22, s4
	s_mul_i32 s20, s12, s20
	s_addc_u32 s5, s23, s5
	s_add_i32 s21, s25, s21
	v_lshlrev_b64 v[1:2], 4, v[1:2]
	s_lshl_b64 s[16:17], s[20:21], 4
	v_lshlrev_b64 v[3:4], 4, v[3:4]
	s_add_u32 s16, s6, s16
	s_addc_u32 s17, s7, s17
	s_lshl_b64 s[6:7], s[8:9], 4
	v_add_co_u32 v1, vcc_lo, s4, v1
	s_add_u32 s6, s16, s6
	v_add_co_ci_u32_e32 v2, vcc_lo, s5, v2, vcc_lo
	s_addc_u32 s7, s17, s7
	v_add_co_u32 v5, vcc_lo, s6, v3
	v_add_co_ci_u32_e32 v6, vcc_lo, s7, v4, vcc_lo
	global_load_b128 v[1:4], v[1:2], off
	global_load_b128 v[5:8], v[5:6], off
	s_add_i32 s8, s14, s3
	s_waitcnt vmcnt(0)
	v_mul_f64 v[9:10], v[7:8], v[3:4]
	v_mul_f64 v[3:4], v[5:6], v[3:4]
	s_delay_alu instid0(VALU_DEP_2) | instskip(NEXT) | instid1(VALU_DEP_2)
	v_fma_f64 v[5:6], v[5:6], v[1:2], v[9:10]
	v_fma_f64 v[3:4], v[7:8], v[1:2], -v[3:4]
	s_delay_alu instid0(VALU_DEP_2) | instskip(NEXT) | instid1(VALU_DEP_2)
	v_add_f64 v[1:2], v[5:6], 0
	v_add_f64 v[3:4], v[3:4], 0
	v_lshl_or_b32 v5, s8, 9, v0
	s_mov_b32 s8, exec_lo
	s_delay_alu instid0(VALU_DEP_1)
	v_cmpx_gt_i32_e64 s15, v5
	s_cbranch_execz .LBB136_3
; %bb.2:
	v_ashrrev_i32_e32 v10, 31, v5
	v_mul_lo_u32 v11, v5, s11
	v_mad_u64_u32 v[6:7], null, v5, s10, 0
	v_mul_lo_u32 v13, v5, s19
	s_delay_alu instid0(VALU_DEP_4) | instskip(SKIP_2) | instid1(VALU_DEP_3)
	v_mul_lo_u32 v12, v10, s10
	v_mad_u64_u32 v[8:9], null, v5, s18, 0
	v_mul_lo_u32 v5, v10, s18
	v_add3_u32 v7, v7, v11, v12
	s_delay_alu instid0(VALU_DEP_2) | instskip(NEXT) | instid1(VALU_DEP_2)
	v_add3_u32 v9, v9, v13, v5
	v_lshlrev_b64 v[5:6], 4, v[6:7]
	s_delay_alu instid0(VALU_DEP_2) | instskip(NEXT) | instid1(VALU_DEP_2)
	v_lshlrev_b64 v[7:8], 4, v[8:9]
	v_add_co_u32 v5, vcc_lo, s6, v5
	s_delay_alu instid0(VALU_DEP_3) | instskip(NEXT) | instid1(VALU_DEP_3)
	v_add_co_ci_u32_e32 v6, vcc_lo, s7, v6, vcc_lo
	v_add_co_u32 v9, vcc_lo, s4, v7
	s_delay_alu instid0(VALU_DEP_4)
	v_add_co_ci_u32_e32 v10, vcc_lo, s5, v8, vcc_lo
	global_load_b128 v[5:8], v[5:6], off
	global_load_b128 v[9:12], v[9:10], off
	s_waitcnt vmcnt(0)
	v_mul_f64 v[13:14], v[5:6], v[11:12]
	v_mul_f64 v[11:12], v[7:8], v[11:12]
	s_delay_alu instid0(VALU_DEP_2) | instskip(NEXT) | instid1(VALU_DEP_2)
	v_fma_f64 v[7:8], v[7:8], v[9:10], -v[13:14]
	v_fma_f64 v[5:6], v[5:6], v[9:10], v[11:12]
	s_delay_alu instid0(VALU_DEP_2) | instskip(NEXT) | instid1(VALU_DEP_2)
	v_add_f64 v[3:4], v[3:4], v[7:8]
	v_add_f64 v[1:2], v[1:2], v[5:6]
.LBB136_3:
	s_or_b32 exec_lo, exec_lo, s8
.LBB136_4:
	s_delay_alu instid0(SALU_CYCLE_1) | instskip(SKIP_2) | instid1(VALU_DEP_2)
	s_or_b32 exec_lo, exec_lo, s2
	v_and_b32_e32 v14, 31, v0
	v_cmp_gt_u32_e32 vcc_lo, 32, v0
	v_lshlrev_b32_e32 v9, 4, v14
	s_and_saveexec_b32 s2, vcc_lo
	s_cbranch_execz .LBB136_6
; %bb.5:
	v_mov_b32_e32 v5, 0
	s_delay_alu instid0(VALU_DEP_1)
	v_mov_b32_e32 v6, v5
	v_mov_b32_e32 v7, v5
	;; [unrolled: 1-line block ×3, first 2 shown]
	ds_store_b128 v9, v[5:8]
.LBB136_6:
	s_or_b32 exec_lo, exec_lo, s2
	v_mbcnt_lo_u32_b32 v13, -1, 0
	s_mov_b32 s4, exec_lo
	s_waitcnt lgkmcnt(0)
	s_barrier
	buffer_gl0_inv
	v_cmp_gt_u32_e64 s2, 16, v13
	s_delay_alu instid0(VALU_DEP_1) | instskip(SKIP_1) | instid1(VALU_DEP_2)
	v_cndmask_b32_e64 v5, 0, 1, s2
	v_cmp_gt_u32_e64 s2, 24, v13
	v_lshlrev_b32_e32 v5, 4, v5
	s_delay_alu instid0(VALU_DEP_1)
	v_add_lshl_u32 v8, v5, v13, 2
	ds_bpermute_b32 v5, v8, v1
	ds_bpermute_b32 v6, v8, v2
	;; [unrolled: 1-line block ×4, first 2 shown]
	s_waitcnt lgkmcnt(2)
	v_add_f64 v[1:2], v[1:2], v[5:6]
	v_cndmask_b32_e64 v5, 0, 1, s2
	s_waitcnt lgkmcnt(0)
	v_add_f64 v[3:4], v[3:4], v[7:8]
	v_cmp_gt_u32_e64 s2, 28, v13
	s_delay_alu instid0(VALU_DEP_3) | instskip(NEXT) | instid1(VALU_DEP_1)
	v_lshlrev_b32_e32 v5, 3, v5
	v_add_lshl_u32 v10, v5, v13, 2
	ds_bpermute_b32 v5, v10, v1
	ds_bpermute_b32 v6, v10, v2
	;; [unrolled: 1-line block ×4, first 2 shown]
	s_waitcnt lgkmcnt(2)
	v_add_f64 v[1:2], v[1:2], v[5:6]
	v_cndmask_b32_e64 v5, 0, 1, s2
	s_waitcnt lgkmcnt(0)
	v_add_f64 v[3:4], v[3:4], v[7:8]
	v_cmp_gt_u32_e64 s2, 30, v13
	s_delay_alu instid0(VALU_DEP_3) | instskip(NEXT) | instid1(VALU_DEP_1)
	v_lshlrev_b32_e32 v5, 2, v5
	v_add_lshl_u32 v11, v5, v13, 2
	ds_bpermute_b32 v5, v11, v1
	ds_bpermute_b32 v6, v11, v2
	;; [unrolled: 1-line block ×4, first 2 shown]
	s_waitcnt lgkmcnt(2)
	v_add_f64 v[1:2], v[1:2], v[5:6]
	v_cndmask_b32_e64 v5, 0, 1, s2
	s_waitcnt lgkmcnt(0)
	v_add_f64 v[3:4], v[3:4], v[7:8]
	v_cmp_ne_u32_e64 s2, 31, v13
	s_delay_alu instid0(VALU_DEP_3) | instskip(NEXT) | instid1(VALU_DEP_1)
	v_lshlrev_b32_e32 v5, 1, v5
	v_add_lshl_u32 v12, v5, v13, 2
	ds_bpermute_b32 v5, v12, v1
	ds_bpermute_b32 v6, v12, v2
	;; [unrolled: 1-line block ×4, first 2 shown]
	s_waitcnt lgkmcnt(2)
	v_add_f64 v[1:2], v[1:2], v[5:6]
	s_waitcnt lgkmcnt(0)
	v_add_f64 v[5:6], v[3:4], v[7:8]
	v_add_co_ci_u32_e64 v3, s2, 0, v13, s2
	s_delay_alu instid0(VALU_DEP_1)
	v_lshlrev_b32_e32 v13, 2, v3
	ds_bpermute_b32 v3, v13, v1
	ds_bpermute_b32 v4, v13, v2
	ds_bpermute_b32 v7, v13, v5
	ds_bpermute_b32 v8, v13, v6
	v_cmpx_eq_u32_e32 0, v14
	s_cbranch_execz .LBB136_8
; %bb.7:
	s_waitcnt lgkmcnt(0)
	v_add_f64 v[5:6], v[5:6], v[7:8]
	v_add_f64 v[3:4], v[1:2], v[3:4]
	v_lshrrev_b32_e32 v1, 1, v0
	s_delay_alu instid0(VALU_DEP_1)
	v_and_b32_e32 v1, 0xf0, v1
	ds_store_b128 v1, v[3:6]
.LBB136_8:
	s_or_b32 exec_lo, exec_lo, s4
	s_waitcnt lgkmcnt(2)
	v_mov_b32_e32 v3, 0
	v_mov_b32_e32 v4, 0
	s_delay_alu instid0(VALU_DEP_2)
	v_mov_b32_e32 v1, v3
	s_mov_b32 s4, exec_lo
	s_waitcnt lgkmcnt(0)
	s_barrier
	v_mov_b32_e32 v2, v4
	buffer_gl0_inv
	v_cmpx_gt_u32_e32 16, v0
	s_cbranch_execz .LBB136_10
; %bb.9:
	ds_load_b128 v[1:4], v9
.LBB136_10:
	s_or_b32 exec_lo, exec_lo, s4
	s_and_saveexec_b32 s2, vcc_lo
	s_cbranch_execz .LBB136_12
; %bb.11:
	s_waitcnt lgkmcnt(0)
	ds_bpermute_b32 v5, v10, v1
	ds_bpermute_b32 v6, v10, v2
	ds_bpermute_b32 v7, v10, v3
	ds_bpermute_b32 v8, v10, v4
	s_waitcnt lgkmcnt(2)
	v_add_f64 v[1:2], v[1:2], v[5:6]
	s_waitcnt lgkmcnt(0)
	v_add_f64 v[3:4], v[3:4], v[7:8]
	ds_bpermute_b32 v5, v11, v1
	ds_bpermute_b32 v6, v11, v2
	ds_bpermute_b32 v7, v11, v3
	ds_bpermute_b32 v8, v11, v4
	s_waitcnt lgkmcnt(2)
	v_add_f64 v[1:2], v[1:2], v[5:6]
	s_waitcnt lgkmcnt(0)
	v_add_f64 v[3:4], v[3:4], v[7:8]
	;; [unrolled: 8-line block ×4, first 2 shown]
.LBB136_12:
	s_or_b32 exec_lo, exec_lo, s2
	s_delay_alu instid0(SALU_CYCLE_1)
	s_mov_b32 s2, exec_lo
	v_cmpx_eq_u32_e32 0, v0
	s_cbranch_execz .LBB136_18
; %bb.13:
	s_cmp_lg_u32 s3, 1
	s_cbranch_scc0 .LBB136_15
; %bb.14:
	s_load_b64 s[4:5], s[0:1], 0x50
	s_mul_hi_u32 s7, s3, s12
	s_mul_i32 s6, s3, s12
	s_mov_b32 s15, 0
	s_lshl_b64 s[2:3], s[6:7], 4
	s_waitcnt lgkmcnt(0)
	s_add_u32 s4, s4, s2
	s_addc_u32 s5, s5, s3
	s_lshl_b64 s[2:3], s[14:15], 4
	s_delay_alu instid0(SALU_CYCLE_1)
	s_add_u32 s2, s4, s2
	s_addc_u32 s3, s5, s3
	s_cbranch_execz .LBB136_16
	s_branch .LBB136_17
.LBB136_15:
                                        ; implicit-def: $sgpr2_sgpr3
.LBB136_16:
	s_load_b64 s[0:1], s[0:1], 0x58
	s_lshl_b64 s[2:3], s[12:13], 4
	s_waitcnt lgkmcnt(0)
	s_add_u32 s2, s0, s2
	s_addc_u32 s3, s1, s3
.LBB136_17:
	v_mov_b32_e32 v0, 0
	s_waitcnt lgkmcnt(0)
	global_store_b128 v0, v[1:4], s[2:3]
.LBB136_18:
	s_nop 0
	s_sendmsg sendmsg(MSG_DEALLOC_VGPRS)
	s_endpgm
	.section	.rodata,"a",@progbits
	.p2align	6, 0x0
	.amdhsa_kernel _ZL18rocblas_dot_kernelIlLb0ELi512ELi2ELb1E19rocblas_complex_numIdEPKS1_S1_EviT5_lT_lS4_lS5_liPT6_PT4_
		.amdhsa_group_segment_fixed_size 512
		.amdhsa_private_segment_fixed_size 0
		.amdhsa_kernarg_size 352
		.amdhsa_user_sgpr_count 14
		.amdhsa_user_sgpr_dispatch_ptr 0
		.amdhsa_user_sgpr_queue_ptr 0
		.amdhsa_user_sgpr_kernarg_segment_ptr 1
		.amdhsa_user_sgpr_dispatch_id 0
		.amdhsa_user_sgpr_private_segment_size 0
		.amdhsa_wavefront_size32 1
		.amdhsa_uses_dynamic_stack 0
		.amdhsa_enable_private_segment 0
		.amdhsa_system_sgpr_workgroup_id_x 1
		.amdhsa_system_sgpr_workgroup_id_y 0
		.amdhsa_system_sgpr_workgroup_id_z 1
		.amdhsa_system_sgpr_workgroup_info 0
		.amdhsa_system_vgpr_workitem_id 0
		.amdhsa_next_free_vgpr 15
		.amdhsa_next_free_sgpr 26
		.amdhsa_reserve_vcc 1
		.amdhsa_float_round_mode_32 0
		.amdhsa_float_round_mode_16_64 0
		.amdhsa_float_denorm_mode_32 3
		.amdhsa_float_denorm_mode_16_64 3
		.amdhsa_dx10_clamp 1
		.amdhsa_ieee_mode 1
		.amdhsa_fp16_overflow 0
		.amdhsa_workgroup_processor_mode 1
		.amdhsa_memory_ordered 1
		.amdhsa_forward_progress 0
		.amdhsa_shared_vgpr_count 0
		.amdhsa_exception_fp_ieee_invalid_op 0
		.amdhsa_exception_fp_denorm_src 0
		.amdhsa_exception_fp_ieee_div_zero 0
		.amdhsa_exception_fp_ieee_overflow 0
		.amdhsa_exception_fp_ieee_underflow 0
		.amdhsa_exception_fp_ieee_inexact 0
		.amdhsa_exception_int_div_zero 0
	.end_amdhsa_kernel
	.section	.text._ZL18rocblas_dot_kernelIlLb0ELi512ELi2ELb1E19rocblas_complex_numIdEPKS1_S1_EviT5_lT_lS4_lS5_liPT6_PT4_,"axG",@progbits,_ZL18rocblas_dot_kernelIlLb0ELi512ELi2ELb1E19rocblas_complex_numIdEPKS1_S1_EviT5_lT_lS4_lS5_liPT6_PT4_,comdat
.Lfunc_end136:
	.size	_ZL18rocblas_dot_kernelIlLb0ELi512ELi2ELb1E19rocblas_complex_numIdEPKS1_S1_EviT5_lT_lS4_lS5_liPT6_PT4_, .Lfunc_end136-_ZL18rocblas_dot_kernelIlLb0ELi512ELi2ELb1E19rocblas_complex_numIdEPKS1_S1_EviT5_lT_lS4_lS5_liPT6_PT4_
                                        ; -- End function
	.section	.AMDGPU.csdata,"",@progbits
; Kernel info:
; codeLenInByte = 1620
; NumSgprs: 28
; NumVgprs: 15
; ScratchSize: 0
; MemoryBound: 0
; FloatMode: 240
; IeeeMode: 1
; LDSByteSize: 512 bytes/workgroup (compile time only)
; SGPRBlocks: 3
; VGPRBlocks: 1
; NumSGPRsForWavesPerEU: 28
; NumVGPRsForWavesPerEU: 15
; Occupancy: 16
; WaveLimiterHint : 0
; COMPUTE_PGM_RSRC2:SCRATCH_EN: 0
; COMPUTE_PGM_RSRC2:USER_SGPR: 14
; COMPUTE_PGM_RSRC2:TRAP_HANDLER: 0
; COMPUTE_PGM_RSRC2:TGID_X_EN: 1
; COMPUTE_PGM_RSRC2:TGID_Y_EN: 0
; COMPUTE_PGM_RSRC2:TGID_Z_EN: 1
; COMPUTE_PGM_RSRC2:TIDIG_COMP_CNT: 0
	.section	.text._ZL24rocblas_dot_kernel_magsqIlLb0ELi512ELi2ELb1E19rocblas_complex_numIdEPKS1_S1_EviT5_lT_liPT6_PT4_,"axG",@progbits,_ZL24rocblas_dot_kernel_magsqIlLb0ELi512ELi2ELb1E19rocblas_complex_numIdEPKS1_S1_EviT5_lT_liPT6_PT4_,comdat
	.globl	_ZL24rocblas_dot_kernel_magsqIlLb0ELi512ELi2ELb1E19rocblas_complex_numIdEPKS1_S1_EviT5_lT_liPT6_PT4_ ; -- Begin function _ZL24rocblas_dot_kernel_magsqIlLb0ELi512ELi2ELb1E19rocblas_complex_numIdEPKS1_S1_EviT5_lT_liPT6_PT4_
	.p2align	8
	.type	_ZL24rocblas_dot_kernel_magsqIlLb0ELi512ELi2ELb1E19rocblas_complex_numIdEPKS1_S1_EviT5_lT_liPT6_PT4_,@function
_ZL24rocblas_dot_kernel_magsqIlLb0ELi512ELi2ELb1E19rocblas_complex_numIdEPKS1_S1_EviT5_lT_liPT6_PT4_: ; @_ZL24rocblas_dot_kernel_magsqIlLb0ELi512ELi2ELb1E19rocblas_complex_numIdEPKS1_S1_EviT5_lT_liPT6_PT4_
; %bb.0:
	s_clause 0x1
	s_load_b32 s10, s[0:1], 0x0
	s_load_b32 s3, s[0:1], 0x40
	v_mov_b32_e32 v1, 0
	v_mov_b32_e32 v2, 0
	v_lshl_or_b32 v5, s14, 9, v0
	s_mov_b32 s8, s15
	s_mov_b32 s9, 0
	s_mov_b32 s2, exec_lo
	v_dual_mov_b32 v4, v2 :: v_dual_mov_b32 v3, v1
	s_waitcnt lgkmcnt(0)
	v_cmpx_gt_i32_e64 s10, v5
	s_cbranch_execz .LBB137_4
; %bb.1:
	s_clause 0x2
	s_load_b128 s[4:7], s[0:1], 0x10
	s_load_b64 s[12:13], s[0:1], 0x20
	s_load_b64 s[16:17], s[0:1], 0x8
	v_ashrrev_i32_e32 v1, 31, v5
	s_waitcnt lgkmcnt(0)
	v_mul_lo_u32 v3, v5, s7
	s_delay_alu instid0(VALU_DEP_2)
	v_mul_lo_u32 v4, v1, s6
	v_mad_u64_u32 v[1:2], null, v5, s6, 0
	s_mul_i32 s11, s8, s13
	s_mul_hi_u32 s13, s8, s12
	s_mul_i32 s12, s8, s12
	s_add_i32 s13, s13, s11
	s_delay_alu instid0(SALU_CYCLE_1) | instskip(NEXT) | instid1(VALU_DEP_1)
	s_lshl_b64 s[12:13], s[12:13], 4
	v_add3_u32 v2, v2, v3, v4
	s_add_u32 s11, s16, s12
	s_addc_u32 s12, s17, s13
	s_lshl_b64 s[4:5], s[4:5], 4
	s_delay_alu instid0(VALU_DEP_1) | instskip(SKIP_3) | instid1(VALU_DEP_1)
	v_lshlrev_b64 v[1:2], 4, v[1:2]
	s_add_u32 s4, s11, s4
	s_addc_u32 s5, s12, s5
	s_add_i32 s11, s14, s3
	v_add_co_u32 v1, vcc_lo, s4, v1
	s_delay_alu instid0(VALU_DEP_2) | instskip(SKIP_4) | instid1(VALU_DEP_2)
	v_add_co_ci_u32_e32 v2, vcc_lo, s5, v2, vcc_lo
	global_load_b128 v[1:4], v[1:2], off
	s_waitcnt vmcnt(0)
	v_mul_f64 v[5:6], v[1:2], v[3:4]
	v_mul_f64 v[7:8], v[3:4], v[3:4]
	v_fma_f64 v[3:4], v[1:2], v[3:4], -v[5:6]
	s_delay_alu instid0(VALU_DEP_2) | instskip(SKIP_1) | instid1(VALU_DEP_1)
	v_fma_f64 v[1:2], v[1:2], v[1:2], v[7:8]
	v_lshl_or_b32 v5, s11, 9, v0
	v_cmp_gt_i32_e32 vcc_lo, s10, v5
	s_delay_alu instid0(VALU_DEP_4)
	v_add_f64 v[3:4], v[3:4], 0
	s_and_saveexec_b32 s10, vcc_lo
	s_cbranch_execz .LBB137_3
; %bb.2:
	v_ashrrev_i32_e32 v8, 31, v5
	v_mul_lo_u32 v9, v5, s7
	v_mad_u64_u32 v[6:7], null, v5, s6, 0
	s_delay_alu instid0(VALU_DEP_3) | instskip(NEXT) | instid1(VALU_DEP_1)
	v_mul_lo_u32 v5, v8, s6
	v_add3_u32 v7, v7, v9, v5
	s_delay_alu instid0(VALU_DEP_1) | instskip(NEXT) | instid1(VALU_DEP_1)
	v_lshlrev_b64 v[5:6], 4, v[6:7]
	v_add_co_u32 v5, vcc_lo, s4, v5
	s_delay_alu instid0(VALU_DEP_2) | instskip(SKIP_4) | instid1(VALU_DEP_2)
	v_add_co_ci_u32_e32 v6, vcc_lo, s5, v6, vcc_lo
	global_load_b128 v[5:8], v[5:6], off
	s_waitcnt vmcnt(0)
	v_mul_f64 v[9:10], v[5:6], v[7:8]
	v_mul_f64 v[11:12], v[7:8], v[7:8]
	v_fma_f64 v[7:8], v[5:6], v[7:8], -v[9:10]
	s_delay_alu instid0(VALU_DEP_2) | instskip(NEXT) | instid1(VALU_DEP_2)
	v_fma_f64 v[5:6], v[5:6], v[5:6], v[11:12]
	v_add_f64 v[3:4], v[3:4], v[7:8]
	s_delay_alu instid0(VALU_DEP_2)
	v_add_f64 v[1:2], v[1:2], v[5:6]
.LBB137_3:
	s_or_b32 exec_lo, exec_lo, s10
.LBB137_4:
	s_delay_alu instid0(SALU_CYCLE_1) | instskip(SKIP_2) | instid1(VALU_DEP_2)
	s_or_b32 exec_lo, exec_lo, s2
	v_and_b32_e32 v14, 31, v0
	v_cmp_gt_u32_e32 vcc_lo, 32, v0
	v_lshlrev_b32_e32 v9, 4, v14
	s_and_saveexec_b32 s2, vcc_lo
	s_cbranch_execz .LBB137_6
; %bb.5:
	v_mov_b32_e32 v5, 0
	s_delay_alu instid0(VALU_DEP_1)
	v_mov_b32_e32 v6, v5
	v_mov_b32_e32 v7, v5
	;; [unrolled: 1-line block ×3, first 2 shown]
	ds_store_b128 v9, v[5:8]
.LBB137_6:
	s_or_b32 exec_lo, exec_lo, s2
	v_mbcnt_lo_u32_b32 v13, -1, 0
	s_mov_b32 s4, exec_lo
	s_waitcnt lgkmcnt(0)
	s_barrier
	buffer_gl0_inv
	v_cmp_gt_u32_e64 s2, 16, v13
	s_delay_alu instid0(VALU_DEP_1) | instskip(SKIP_1) | instid1(VALU_DEP_2)
	v_cndmask_b32_e64 v5, 0, 1, s2
	v_cmp_gt_u32_e64 s2, 24, v13
	v_lshlrev_b32_e32 v5, 4, v5
	s_delay_alu instid0(VALU_DEP_1)
	v_add_lshl_u32 v8, v5, v13, 2
	ds_bpermute_b32 v5, v8, v1
	ds_bpermute_b32 v6, v8, v2
	ds_bpermute_b32 v7, v8, v3
	ds_bpermute_b32 v8, v8, v4
	s_waitcnt lgkmcnt(2)
	v_add_f64 v[1:2], v[1:2], v[5:6]
	v_cndmask_b32_e64 v5, 0, 1, s2
	s_waitcnt lgkmcnt(0)
	v_add_f64 v[3:4], v[3:4], v[7:8]
	v_cmp_gt_u32_e64 s2, 28, v13
	s_delay_alu instid0(VALU_DEP_3) | instskip(NEXT) | instid1(VALU_DEP_1)
	v_lshlrev_b32_e32 v5, 3, v5
	v_add_lshl_u32 v10, v5, v13, 2
	ds_bpermute_b32 v5, v10, v1
	ds_bpermute_b32 v6, v10, v2
	ds_bpermute_b32 v7, v10, v3
	ds_bpermute_b32 v8, v10, v4
	s_waitcnt lgkmcnt(2)
	v_add_f64 v[1:2], v[1:2], v[5:6]
	v_cndmask_b32_e64 v5, 0, 1, s2
	s_waitcnt lgkmcnt(0)
	v_add_f64 v[3:4], v[3:4], v[7:8]
	v_cmp_gt_u32_e64 s2, 30, v13
	s_delay_alu instid0(VALU_DEP_3) | instskip(NEXT) | instid1(VALU_DEP_1)
	v_lshlrev_b32_e32 v5, 2, v5
	v_add_lshl_u32 v11, v5, v13, 2
	ds_bpermute_b32 v5, v11, v1
	ds_bpermute_b32 v6, v11, v2
	;; [unrolled: 1-line block ×4, first 2 shown]
	s_waitcnt lgkmcnt(2)
	v_add_f64 v[1:2], v[1:2], v[5:6]
	v_cndmask_b32_e64 v5, 0, 1, s2
	s_waitcnt lgkmcnt(0)
	v_add_f64 v[3:4], v[3:4], v[7:8]
	v_cmp_ne_u32_e64 s2, 31, v13
	s_delay_alu instid0(VALU_DEP_3) | instskip(NEXT) | instid1(VALU_DEP_1)
	v_lshlrev_b32_e32 v5, 1, v5
	v_add_lshl_u32 v12, v5, v13, 2
	ds_bpermute_b32 v5, v12, v1
	ds_bpermute_b32 v6, v12, v2
	;; [unrolled: 1-line block ×4, first 2 shown]
	s_waitcnt lgkmcnt(2)
	v_add_f64 v[1:2], v[1:2], v[5:6]
	s_waitcnt lgkmcnt(0)
	v_add_f64 v[5:6], v[3:4], v[7:8]
	v_add_co_ci_u32_e64 v3, s2, 0, v13, s2
	s_delay_alu instid0(VALU_DEP_1)
	v_lshlrev_b32_e32 v13, 2, v3
	ds_bpermute_b32 v3, v13, v1
	ds_bpermute_b32 v4, v13, v2
	;; [unrolled: 1-line block ×4, first 2 shown]
	v_cmpx_eq_u32_e32 0, v14
	s_cbranch_execz .LBB137_8
; %bb.7:
	s_waitcnt lgkmcnt(0)
	v_add_f64 v[5:6], v[5:6], v[7:8]
	v_add_f64 v[3:4], v[1:2], v[3:4]
	v_lshrrev_b32_e32 v1, 1, v0
	s_delay_alu instid0(VALU_DEP_1)
	v_and_b32_e32 v1, 0xf0, v1
	ds_store_b128 v1, v[3:6]
.LBB137_8:
	s_or_b32 exec_lo, exec_lo, s4
	s_waitcnt lgkmcnt(2)
	v_mov_b32_e32 v3, 0
	v_mov_b32_e32 v4, 0
	s_delay_alu instid0(VALU_DEP_2)
	v_mov_b32_e32 v1, v3
	s_mov_b32 s4, exec_lo
	s_waitcnt lgkmcnt(0)
	s_barrier
	v_mov_b32_e32 v2, v4
	buffer_gl0_inv
	v_cmpx_gt_u32_e32 16, v0
	s_cbranch_execz .LBB137_10
; %bb.9:
	ds_load_b128 v[1:4], v9
.LBB137_10:
	s_or_b32 exec_lo, exec_lo, s4
	s_and_saveexec_b32 s2, vcc_lo
	s_cbranch_execz .LBB137_12
; %bb.11:
	s_waitcnt lgkmcnt(0)
	ds_bpermute_b32 v5, v10, v1
	ds_bpermute_b32 v6, v10, v2
	ds_bpermute_b32 v7, v10, v3
	ds_bpermute_b32 v8, v10, v4
	s_waitcnt lgkmcnt(2)
	v_add_f64 v[1:2], v[1:2], v[5:6]
	s_waitcnt lgkmcnt(0)
	v_add_f64 v[3:4], v[3:4], v[7:8]
	ds_bpermute_b32 v5, v11, v1
	ds_bpermute_b32 v6, v11, v2
	ds_bpermute_b32 v7, v11, v3
	ds_bpermute_b32 v8, v11, v4
	s_waitcnt lgkmcnt(2)
	v_add_f64 v[1:2], v[1:2], v[5:6]
	s_waitcnt lgkmcnt(0)
	v_add_f64 v[3:4], v[3:4], v[7:8]
	ds_bpermute_b32 v5, v12, v1
	ds_bpermute_b32 v6, v12, v2
	ds_bpermute_b32 v7, v12, v3
	ds_bpermute_b32 v8, v12, v4
	s_waitcnt lgkmcnt(2)
	v_add_f64 v[1:2], v[1:2], v[5:6]
	s_waitcnt lgkmcnt(0)
	v_add_f64 v[3:4], v[3:4], v[7:8]
	ds_bpermute_b32 v5, v13, v1
	ds_bpermute_b32 v6, v13, v2
	ds_bpermute_b32 v7, v13, v3
	ds_bpermute_b32 v8, v13, v4
	s_waitcnt lgkmcnt(2)
	v_add_f64 v[1:2], v[1:2], v[5:6]
	s_waitcnt lgkmcnt(0)
	v_add_f64 v[3:4], v[3:4], v[7:8]
.LBB137_12:
	s_or_b32 exec_lo, exec_lo, s2
	s_delay_alu instid0(SALU_CYCLE_1)
	s_mov_b32 s2, exec_lo
	v_cmpx_eq_u32_e32 0, v0
	s_cbranch_execz .LBB137_18
; %bb.13:
	s_cmp_lg_u32 s3, 1
	s_cbranch_scc0 .LBB137_15
; %bb.14:
	s_load_b64 s[4:5], s[0:1], 0x30
	s_mul_hi_u32 s7, s3, s8
	s_mul_i32 s6, s3, s8
	s_mov_b32 s15, 0
	s_lshl_b64 s[2:3], s[6:7], 4
	s_waitcnt lgkmcnt(0)
	s_add_u32 s4, s4, s2
	s_addc_u32 s5, s5, s3
	s_lshl_b64 s[2:3], s[14:15], 4
	s_delay_alu instid0(SALU_CYCLE_1)
	s_add_u32 s2, s4, s2
	s_addc_u32 s3, s5, s3
	s_cbranch_execz .LBB137_16
	s_branch .LBB137_17
.LBB137_15:
                                        ; implicit-def: $sgpr2_sgpr3
.LBB137_16:
	s_load_b64 s[0:1], s[0:1], 0x38
	s_lshl_b64 s[2:3], s[8:9], 4
	s_waitcnt lgkmcnt(0)
	s_add_u32 s2, s0, s2
	s_addc_u32 s3, s1, s3
.LBB137_17:
	v_mov_b32_e32 v0, 0
	s_waitcnt lgkmcnt(0)
	global_store_b128 v0, v[1:4], s[2:3]
.LBB137_18:
	s_nop 0
	s_sendmsg sendmsg(MSG_DEALLOC_VGPRS)
	s_endpgm
	.section	.rodata,"a",@progbits
	.p2align	6, 0x0
	.amdhsa_kernel _ZL24rocblas_dot_kernel_magsqIlLb0ELi512ELi2ELb1E19rocblas_complex_numIdEPKS1_S1_EviT5_lT_liPT6_PT4_
		.amdhsa_group_segment_fixed_size 512
		.amdhsa_private_segment_fixed_size 0
		.amdhsa_kernarg_size 320
		.amdhsa_user_sgpr_count 14
		.amdhsa_user_sgpr_dispatch_ptr 0
		.amdhsa_user_sgpr_queue_ptr 0
		.amdhsa_user_sgpr_kernarg_segment_ptr 1
		.amdhsa_user_sgpr_dispatch_id 0
		.amdhsa_user_sgpr_private_segment_size 0
		.amdhsa_wavefront_size32 1
		.amdhsa_uses_dynamic_stack 0
		.amdhsa_enable_private_segment 0
		.amdhsa_system_sgpr_workgroup_id_x 1
		.amdhsa_system_sgpr_workgroup_id_y 0
		.amdhsa_system_sgpr_workgroup_id_z 1
		.amdhsa_system_sgpr_workgroup_info 0
		.amdhsa_system_vgpr_workitem_id 0
		.amdhsa_next_free_vgpr 15
		.amdhsa_next_free_sgpr 18
		.amdhsa_reserve_vcc 1
		.amdhsa_float_round_mode_32 0
		.amdhsa_float_round_mode_16_64 0
		.amdhsa_float_denorm_mode_32 3
		.amdhsa_float_denorm_mode_16_64 3
		.amdhsa_dx10_clamp 1
		.amdhsa_ieee_mode 1
		.amdhsa_fp16_overflow 0
		.amdhsa_workgroup_processor_mode 1
		.amdhsa_memory_ordered 1
		.amdhsa_forward_progress 0
		.amdhsa_shared_vgpr_count 0
		.amdhsa_exception_fp_ieee_invalid_op 0
		.amdhsa_exception_fp_denorm_src 0
		.amdhsa_exception_fp_ieee_div_zero 0
		.amdhsa_exception_fp_ieee_overflow 0
		.amdhsa_exception_fp_ieee_underflow 0
		.amdhsa_exception_fp_ieee_inexact 0
		.amdhsa_exception_int_div_zero 0
	.end_amdhsa_kernel
	.section	.text._ZL24rocblas_dot_kernel_magsqIlLb0ELi512ELi2ELb1E19rocblas_complex_numIdEPKS1_S1_EviT5_lT_liPT6_PT4_,"axG",@progbits,_ZL24rocblas_dot_kernel_magsqIlLb0ELi512ELi2ELb1E19rocblas_complex_numIdEPKS1_S1_EviT5_lT_liPT6_PT4_,comdat
.Lfunc_end137:
	.size	_ZL24rocblas_dot_kernel_magsqIlLb0ELi512ELi2ELb1E19rocblas_complex_numIdEPKS1_S1_EviT5_lT_liPT6_PT4_, .Lfunc_end137-_ZL24rocblas_dot_kernel_magsqIlLb0ELi512ELi2ELb1E19rocblas_complex_numIdEPKS1_S1_EviT5_lT_liPT6_PT4_
                                        ; -- End function
	.section	.AMDGPU.csdata,"",@progbits
; Kernel info:
; codeLenInByte = 1436
; NumSgprs: 20
; NumVgprs: 15
; ScratchSize: 0
; MemoryBound: 0
; FloatMode: 240
; IeeeMode: 1
; LDSByteSize: 512 bytes/workgroup (compile time only)
; SGPRBlocks: 2
; VGPRBlocks: 1
; NumSGPRsForWavesPerEU: 20
; NumVGPRsForWavesPerEU: 15
; Occupancy: 16
; WaveLimiterHint : 0
; COMPUTE_PGM_RSRC2:SCRATCH_EN: 0
; COMPUTE_PGM_RSRC2:USER_SGPR: 14
; COMPUTE_PGM_RSRC2:TRAP_HANDLER: 0
; COMPUTE_PGM_RSRC2:TGID_X_EN: 1
; COMPUTE_PGM_RSRC2:TGID_Y_EN: 0
; COMPUTE_PGM_RSRC2:TGID_Z_EN: 1
; COMPUTE_PGM_RSRC2:TIDIG_COMP_CNT: 0
	.section	.text._ZL28rocblas_dot_batched_4_kernelIiLi32ELi4ELb0EDF16_DF16_PKPKDF16_EviT5_lT_lS4_lS5_liPT4_,"axG",@progbits,_ZL28rocblas_dot_batched_4_kernelIiLi32ELi4ELb0EDF16_DF16_PKPKDF16_EviT5_lT_lS4_lS5_liPT4_,comdat
	.globl	_ZL28rocblas_dot_batched_4_kernelIiLi32ELi4ELb0EDF16_DF16_PKPKDF16_EviT5_lT_lS4_lS5_liPT4_ ; -- Begin function _ZL28rocblas_dot_batched_4_kernelIiLi32ELi4ELb0EDF16_DF16_PKPKDF16_EviT5_lT_lS4_lS5_liPT4_
	.p2align	8
	.type	_ZL28rocblas_dot_batched_4_kernelIiLi32ELi4ELb0EDF16_DF16_PKPKDF16_EviT5_lT_lS4_lS5_liPT4_,@function
_ZL28rocblas_dot_batched_4_kernelIiLi32ELi4ELb0EDF16_DF16_PKPKDF16_EviT5_lT_lS4_lS5_liPT4_: ; @_ZL28rocblas_dot_batched_4_kernelIiLi32ELi4ELb0EDF16_DF16_PKPKDF16_EviT5_lT_lS4_lS5_liPT4_
; %bb.0:
	s_load_b32 s2, s[0:1], 0x48
	v_bfe_u32 v1, v0, 10, 10
	s_delay_alu instid0(VALU_DEP_1) | instskip(SKIP_1) | instid1(VALU_DEP_1)
	v_lshl_add_u32 v1, s15, 2, v1
	s_waitcnt lgkmcnt(0)
	v_cmp_gt_u32_e32 vcc_lo, s2, v1
	s_and_saveexec_b32 s2, vcc_lo
	s_cbranch_execz .LBB138_7
; %bb.1:
	s_clause 0x1
	s_load_b32 s12, s[0:1], 0x0
	s_load_b64 s[2:3], s[0:1], 0x50
	v_mov_b32_e32 v2, 0
	v_and_b32_e32 v0, 0x3ff, v0
	s_mov_b32 s13, exec_lo
	s_delay_alu instid0(VALU_DEP_2) | instskip(SKIP_1) | instid1(VALU_DEP_2)
	v_mov_b32_e32 v7, v2
	s_waitcnt lgkmcnt(0)
	v_cmpx_gt_i32_e64 s12, v0
	s_cbranch_execz .LBB138_5
; %bb.2:
	s_clause 0x1
	s_load_b128 s[4:7], s[0:1], 0x8
	s_load_b128 s[8:11], s[0:1], 0x28
	v_lshlrev_b64 v[3:4], 3, v[1:2]
	s_clause 0x1
	s_load_b32 s14, s[0:1], 0x18
	s_load_b32 s0, s[0:1], 0x38
	v_mov_b32_e32 v7, 0
	s_waitcnt lgkmcnt(0)
	v_add_co_u32 v5, vcc_lo, s4, v3
	v_add_co_ci_u32_e32 v6, vcc_lo, s5, v4, vcc_lo
	v_add_co_u32 v3, vcc_lo, s8, v3
	v_add_co_ci_u32_e32 v4, vcc_lo, s9, v4, vcc_lo
	v_mad_i64_i32 v[10:11], null, s0, v0, 0
	global_load_b64 v[5:6], v[5:6], off
	global_load_b64 v[8:9], v[3:4], off
	v_mad_i64_i32 v[3:4], null, s14, v0, 0
	s_lshl_b64 s[4:5], s[6:7], 1
	s_lshl_b64 s[6:7], s[10:11], 1
	s_ashr_i32 s15, s14, 31
	v_lshlrev_b64 v[10:11], 1, v[10:11]
	s_ashr_i32 s1, s0, 31
	s_delay_alu instid0(VALU_DEP_2) | instskip(NEXT) | instid1(VALU_DEP_1)
	v_lshlrev_b64 v[3:4], 1, v[3:4]
	v_add_co_u32 v3, vcc_lo, v3, s4
	s_delay_alu instid0(VALU_DEP_2) | instskip(NEXT) | instid1(VALU_DEP_4)
	v_add_co_ci_u32_e32 v4, vcc_lo, s5, v4, vcc_lo
	v_add_co_u32 v10, vcc_lo, v10, s6
	v_add_co_ci_u32_e32 v11, vcc_lo, s7, v11, vcc_lo
	s_lshl_b64 s[4:5], s[14:15], 6
	s_lshl_b64 s[6:7], s[0:1], 6
	s_mov_b32 s1, 0
	s_waitcnt vmcnt(1)
	v_add_co_u32 v3, vcc_lo, v5, v3
	v_add_co_ci_u32_e32 v4, vcc_lo, v6, v4, vcc_lo
	s_waitcnt vmcnt(0)
	v_add_co_u32 v5, vcc_lo, v8, v10
	v_mov_b32_e32 v8, v0
	v_add_co_ci_u32_e32 v6, vcc_lo, v9, v11, vcc_lo
	.p2align	6
.LBB138_3:                              ; =>This Inner Loop Header: Depth=1
	global_load_u16 v9, v[3:4], off
	global_load_u16 v10, v[5:6], off
	v_add_nc_u32_e32 v8, 32, v8
	v_add_co_u32 v3, vcc_lo, v3, s4
	v_add_co_ci_u32_e32 v4, vcc_lo, s5, v4, vcc_lo
	v_add_co_u32 v5, vcc_lo, v5, s6
	s_delay_alu instid0(VALU_DEP_4) | instskip(SKIP_1) | instid1(VALU_DEP_2)
	v_cmp_le_i32_e64 s0, s12, v8
	v_add_co_ci_u32_e32 v6, vcc_lo, s7, v6, vcc_lo
	s_or_b32 s1, s0, s1
	s_waitcnt vmcnt(0)
	v_fmac_f16_e32 v7, v9, v10
	s_and_not1_b32 exec_lo, exec_lo, s1
	s_cbranch_execnz .LBB138_3
; %bb.4:
	s_or_b32 exec_lo, exec_lo, s1
.LBB138_5:
	s_delay_alu instid0(SALU_CYCLE_1)
	s_or_b32 exec_lo, exec_lo, s13
	v_mbcnt_lo_u32_b32 v4, -1, 0
	v_and_b32_e32 v5, 0xffff, v7
	s_barrier
	buffer_gl0_inv
	v_cmp_gt_u32_e32 vcc_lo, 16, v4
	v_cndmask_b32_e64 v3, 0, 1, vcc_lo
	v_cmp_gt_u32_e32 vcc_lo, 24, v4
	s_delay_alu instid0(VALU_DEP_2) | instskip(NEXT) | instid1(VALU_DEP_1)
	v_lshlrev_b32_e32 v3, 4, v3
	v_add_lshl_u32 v3, v3, v4, 2
	ds_bpermute_b32 v3, v3, v5
	v_cndmask_b32_e64 v5, 0, 1, vcc_lo
	v_cmp_gt_u32_e32 vcc_lo, 28, v4
	s_delay_alu instid0(VALU_DEP_2) | instskip(NEXT) | instid1(VALU_DEP_1)
	v_lshlrev_b32_e32 v5, 3, v5
	v_add_lshl_u32 v5, v5, v4, 2
	s_waitcnt lgkmcnt(0)
	v_add_f16_e32 v6, v7, v3
	s_delay_alu instid0(VALU_DEP_1) | instskip(NEXT) | instid1(VALU_DEP_1)
	v_and_b32_e32 v7, 0xffff, v6
	v_and_or_b32 v3, 0xffff0000, v3, v7
	ds_bpermute_b32 v3, v5, v3
	v_cndmask_b32_e64 v5, 0, 1, vcc_lo
	v_cmp_gt_u32_e32 vcc_lo, 30, v4
	s_delay_alu instid0(VALU_DEP_2) | instskip(NEXT) | instid1(VALU_DEP_1)
	v_lshlrev_b32_e32 v5, 2, v5
	v_add_lshl_u32 v5, v5, v4, 2
	s_waitcnt lgkmcnt(0)
	v_add_f16_e32 v6, v6, v3
	s_delay_alu instid0(VALU_DEP_1) | instskip(NEXT) | instid1(VALU_DEP_1)
	v_and_b32_e32 v7, 0xffff, v6
	v_and_or_b32 v3, 0xffff0000, v3, v7
	ds_bpermute_b32 v3, v5, v3
	v_cndmask_b32_e64 v5, 0, 1, vcc_lo
	v_cmp_ne_u32_e32 vcc_lo, 31, v4
	s_delay_alu instid0(VALU_DEP_2) | instskip(NEXT) | instid1(VALU_DEP_1)
	v_lshlrev_b32_e32 v5, 1, v5
	v_add_lshl_u32 v5, v5, v4, 2
	v_add_co_ci_u32_e32 v4, vcc_lo, 0, v4, vcc_lo
	v_cmp_eq_u32_e32 vcc_lo, 0, v0
	s_delay_alu instid0(VALU_DEP_2) | instskip(SKIP_2) | instid1(VALU_DEP_1)
	v_lshlrev_b32_e32 v4, 2, v4
	s_waitcnt lgkmcnt(0)
	v_add_f16_e32 v6, v6, v3
	v_and_b32_e32 v7, 0xffff, v6
	s_delay_alu instid0(VALU_DEP_1) | instskip(SKIP_3) | instid1(VALU_DEP_1)
	v_and_or_b32 v3, 0xffff0000, v3, v7
	ds_bpermute_b32 v5, v5, v3
	s_waitcnt lgkmcnt(0)
	v_add_f16_e32 v3, v6, v5
	v_and_b32_e32 v6, 0xffff, v3
	s_delay_alu instid0(VALU_DEP_1)
	v_and_or_b32 v5, 0xffff0000, v5, v6
	ds_bpermute_b32 v4, v4, v5
	s_and_b32 exec_lo, exec_lo, vcc_lo
	s_cbranch_execz .LBB138_7
; %bb.6:
	v_lshlrev_b64 v[0:1], 1, v[1:2]
	s_waitcnt lgkmcnt(0)
	v_add_f16_e32 v2, v3, v4
	s_delay_alu instid0(VALU_DEP_2) | instskip(NEXT) | instid1(VALU_DEP_3)
	v_add_co_u32 v0, vcc_lo, s2, v0
	v_add_co_ci_u32_e32 v1, vcc_lo, s3, v1, vcc_lo
	global_store_b16 v[0:1], v2, off
.LBB138_7:
	s_nop 0
	s_sendmsg sendmsg(MSG_DEALLOC_VGPRS)
	s_endpgm
	.section	.rodata,"a",@progbits
	.p2align	6, 0x0
	.amdhsa_kernel _ZL28rocblas_dot_batched_4_kernelIiLi32ELi4ELb0EDF16_DF16_PKPKDF16_EviT5_lT_lS4_lS5_liPT4_
		.amdhsa_group_segment_fixed_size 0
		.amdhsa_private_segment_fixed_size 0
		.amdhsa_kernarg_size 88
		.amdhsa_user_sgpr_count 15
		.amdhsa_user_sgpr_dispatch_ptr 0
		.amdhsa_user_sgpr_queue_ptr 0
		.amdhsa_user_sgpr_kernarg_segment_ptr 1
		.amdhsa_user_sgpr_dispatch_id 0
		.amdhsa_user_sgpr_private_segment_size 0
		.amdhsa_wavefront_size32 1
		.amdhsa_uses_dynamic_stack 0
		.amdhsa_enable_private_segment 0
		.amdhsa_system_sgpr_workgroup_id_x 1
		.amdhsa_system_sgpr_workgroup_id_y 0
		.amdhsa_system_sgpr_workgroup_id_z 0
		.amdhsa_system_sgpr_workgroup_info 0
		.amdhsa_system_vgpr_workitem_id 1
		.amdhsa_next_free_vgpr 12
		.amdhsa_next_free_sgpr 16
		.amdhsa_reserve_vcc 1
		.amdhsa_float_round_mode_32 0
		.amdhsa_float_round_mode_16_64 0
		.amdhsa_float_denorm_mode_32 3
		.amdhsa_float_denorm_mode_16_64 3
		.amdhsa_dx10_clamp 1
		.amdhsa_ieee_mode 1
		.amdhsa_fp16_overflow 0
		.amdhsa_workgroup_processor_mode 1
		.amdhsa_memory_ordered 1
		.amdhsa_forward_progress 0
		.amdhsa_shared_vgpr_count 0
		.amdhsa_exception_fp_ieee_invalid_op 0
		.amdhsa_exception_fp_denorm_src 0
		.amdhsa_exception_fp_ieee_div_zero 0
		.amdhsa_exception_fp_ieee_overflow 0
		.amdhsa_exception_fp_ieee_underflow 0
		.amdhsa_exception_fp_ieee_inexact 0
		.amdhsa_exception_int_div_zero 0
	.end_amdhsa_kernel
	.section	.text._ZL28rocblas_dot_batched_4_kernelIiLi32ELi4ELb0EDF16_DF16_PKPKDF16_EviT5_lT_lS4_lS5_liPT4_,"axG",@progbits,_ZL28rocblas_dot_batched_4_kernelIiLi32ELi4ELb0EDF16_DF16_PKPKDF16_EviT5_lT_lS4_lS5_liPT4_,comdat
.Lfunc_end138:
	.size	_ZL28rocblas_dot_batched_4_kernelIiLi32ELi4ELb0EDF16_DF16_PKPKDF16_EviT5_lT_lS4_lS5_liPT4_, .Lfunc_end138-_ZL28rocblas_dot_batched_4_kernelIiLi32ELi4ELb0EDF16_DF16_PKPKDF16_EviT5_lT_lS4_lS5_liPT4_
                                        ; -- End function
	.section	.AMDGPU.csdata,"",@progbits
; Kernel info:
; codeLenInByte = 804
; NumSgprs: 18
; NumVgprs: 12
; ScratchSize: 0
; MemoryBound: 0
; FloatMode: 240
; IeeeMode: 1
; LDSByteSize: 0 bytes/workgroup (compile time only)
; SGPRBlocks: 2
; VGPRBlocks: 1
; NumSGPRsForWavesPerEU: 18
; NumVGPRsForWavesPerEU: 12
; Occupancy: 16
; WaveLimiterHint : 0
; COMPUTE_PGM_RSRC2:SCRATCH_EN: 0
; COMPUTE_PGM_RSRC2:USER_SGPR: 15
; COMPUTE_PGM_RSRC2:TRAP_HANDLER: 0
; COMPUTE_PGM_RSRC2:TGID_X_EN: 1
; COMPUTE_PGM_RSRC2:TGID_Y_EN: 0
; COMPUTE_PGM_RSRC2:TGID_Z_EN: 0
; COMPUTE_PGM_RSRC2:TIDIG_COMP_CNT: 1
	.section	.text._ZL28rocblas_dot_batched_4_kernelIiLi64ELi4ELb0EDF16_DF16_PKPKDF16_EviT5_lT_lS4_lS5_liPT4_,"axG",@progbits,_ZL28rocblas_dot_batched_4_kernelIiLi64ELi4ELb0EDF16_DF16_PKPKDF16_EviT5_lT_lS4_lS5_liPT4_,comdat
	.globl	_ZL28rocblas_dot_batched_4_kernelIiLi64ELi4ELb0EDF16_DF16_PKPKDF16_EviT5_lT_lS4_lS5_liPT4_ ; -- Begin function _ZL28rocblas_dot_batched_4_kernelIiLi64ELi4ELb0EDF16_DF16_PKPKDF16_EviT5_lT_lS4_lS5_liPT4_
	.p2align	8
	.type	_ZL28rocblas_dot_batched_4_kernelIiLi64ELi4ELb0EDF16_DF16_PKPKDF16_EviT5_lT_lS4_lS5_liPT4_,@function
_ZL28rocblas_dot_batched_4_kernelIiLi64ELi4ELb0EDF16_DF16_PKPKDF16_EviT5_lT_lS4_lS5_liPT4_: ; @_ZL28rocblas_dot_batched_4_kernelIiLi64ELi4ELb0EDF16_DF16_PKPKDF16_EviT5_lT_lS4_lS5_liPT4_
; %bb.0:
	s_load_b32 s2, s[0:1], 0x48
	v_bfe_u32 v1, v0, 10, 10
	s_delay_alu instid0(VALU_DEP_1) | instskip(SKIP_1) | instid1(VALU_DEP_1)
	v_lshl_add_u32 v1, s15, 2, v1
	s_waitcnt lgkmcnt(0)
	v_cmp_gt_u32_e32 vcc_lo, s2, v1
	s_and_saveexec_b32 s2, vcc_lo
	s_cbranch_execz .LBB139_7
; %bb.1:
	s_clause 0x1
	s_load_b32 s12, s[0:1], 0x0
	s_load_b64 s[2:3], s[0:1], 0x50
	v_mov_b32_e32 v2, 0
	v_and_b32_e32 v0, 0x3ff, v0
	s_mov_b32 s13, exec_lo
	s_delay_alu instid0(VALU_DEP_2) | instskip(SKIP_1) | instid1(VALU_DEP_2)
	v_mov_b32_e32 v7, v2
	s_waitcnt lgkmcnt(0)
	v_cmpx_gt_i32_e64 s12, v0
	s_cbranch_execz .LBB139_5
; %bb.2:
	s_clause 0x1
	s_load_b128 s[4:7], s[0:1], 0x8
	s_load_b128 s[8:11], s[0:1], 0x28
	v_lshlrev_b64 v[3:4], 3, v[1:2]
	s_clause 0x1
	s_load_b32 s14, s[0:1], 0x18
	s_load_b32 s0, s[0:1], 0x38
	v_mov_b32_e32 v7, 0
	s_waitcnt lgkmcnt(0)
	v_add_co_u32 v5, vcc_lo, s4, v3
	v_add_co_ci_u32_e32 v6, vcc_lo, s5, v4, vcc_lo
	v_add_co_u32 v3, vcc_lo, s8, v3
	v_add_co_ci_u32_e32 v4, vcc_lo, s9, v4, vcc_lo
	v_mad_i64_i32 v[10:11], null, s0, v0, 0
	global_load_b64 v[5:6], v[5:6], off
	global_load_b64 v[8:9], v[3:4], off
	v_mad_i64_i32 v[3:4], null, s14, v0, 0
	s_lshl_b64 s[4:5], s[6:7], 1
	s_lshl_b64 s[6:7], s[10:11], 1
	s_ashr_i32 s15, s14, 31
	v_lshlrev_b64 v[10:11], 1, v[10:11]
	s_ashr_i32 s1, s0, 31
	s_delay_alu instid0(VALU_DEP_2) | instskip(NEXT) | instid1(VALU_DEP_1)
	v_lshlrev_b64 v[3:4], 1, v[3:4]
	v_add_co_u32 v3, vcc_lo, v3, s4
	s_delay_alu instid0(VALU_DEP_2) | instskip(NEXT) | instid1(VALU_DEP_4)
	v_add_co_ci_u32_e32 v4, vcc_lo, s5, v4, vcc_lo
	v_add_co_u32 v10, vcc_lo, v10, s6
	v_add_co_ci_u32_e32 v11, vcc_lo, s7, v11, vcc_lo
	s_lshl_b64 s[4:5], s[14:15], 7
	s_lshl_b64 s[6:7], s[0:1], 7
	s_mov_b32 s1, 0
	s_waitcnt vmcnt(1)
	v_add_co_u32 v3, vcc_lo, v5, v3
	v_add_co_ci_u32_e32 v4, vcc_lo, v6, v4, vcc_lo
	s_waitcnt vmcnt(0)
	v_add_co_u32 v5, vcc_lo, v8, v10
	v_mov_b32_e32 v8, v0
	v_add_co_ci_u32_e32 v6, vcc_lo, v9, v11, vcc_lo
	.p2align	6
.LBB139_3:                              ; =>This Inner Loop Header: Depth=1
	global_load_u16 v9, v[3:4], off
	global_load_u16 v10, v[5:6], off
	v_add_nc_u32_e32 v8, 64, v8
	v_add_co_u32 v3, vcc_lo, v3, s4
	v_add_co_ci_u32_e32 v4, vcc_lo, s5, v4, vcc_lo
	v_add_co_u32 v5, vcc_lo, v5, s6
	s_delay_alu instid0(VALU_DEP_4) | instskip(SKIP_1) | instid1(VALU_DEP_2)
	v_cmp_le_i32_e64 s0, s12, v8
	v_add_co_ci_u32_e32 v6, vcc_lo, s7, v6, vcc_lo
	s_or_b32 s1, s0, s1
	s_waitcnt vmcnt(0)
	v_fmac_f16_e32 v7, v9, v10
	s_and_not1_b32 exec_lo, exec_lo, s1
	s_cbranch_execnz .LBB139_3
; %bb.4:
	s_or_b32 exec_lo, exec_lo, s1
.LBB139_5:
	s_delay_alu instid0(SALU_CYCLE_1)
	s_or_b32 exec_lo, exec_lo, s13
	v_mbcnt_lo_u32_b32 v4, -1, 0
	v_and_b32_e32 v3, 0xffff, v7
	s_barrier
	buffer_gl0_inv
	v_lshlrev_b32_e32 v5, 2, v4
	v_cmp_gt_u32_e32 vcc_lo, 16, v4
	ds_bpermute_b32 v3, v5, v3
	v_cndmask_b32_e64 v5, 0, 1, vcc_lo
	v_cmp_gt_u32_e32 vcc_lo, 24, v4
	s_delay_alu instid0(VALU_DEP_2) | instskip(NEXT) | instid1(VALU_DEP_1)
	v_lshlrev_b32_e32 v5, 4, v5
	v_add_lshl_u32 v5, v5, v4, 2
	s_waitcnt lgkmcnt(0)
	v_add_f16_e32 v6, v7, v3
	s_delay_alu instid0(VALU_DEP_1) | instskip(NEXT) | instid1(VALU_DEP_1)
	v_and_b32_e32 v7, 0xffff, v6
	v_and_or_b32 v3, 0xffff0000, v3, v7
	ds_bpermute_b32 v3, v5, v3
	v_cndmask_b32_e64 v5, 0, 1, vcc_lo
	v_cmp_gt_u32_e32 vcc_lo, 28, v4
	s_delay_alu instid0(VALU_DEP_2) | instskip(NEXT) | instid1(VALU_DEP_1)
	v_lshlrev_b32_e32 v5, 3, v5
	v_add_lshl_u32 v5, v5, v4, 2
	s_waitcnt lgkmcnt(0)
	v_add_f16_e32 v6, v6, v3
	s_delay_alu instid0(VALU_DEP_1) | instskip(NEXT) | instid1(VALU_DEP_1)
	v_and_b32_e32 v7, 0xffff, v6
	v_and_or_b32 v3, 0xffff0000, v3, v7
	ds_bpermute_b32 v3, v5, v3
	v_cndmask_b32_e64 v5, 0, 1, vcc_lo
	v_cmp_gt_u32_e32 vcc_lo, 30, v4
	s_delay_alu instid0(VALU_DEP_2) | instskip(NEXT) | instid1(VALU_DEP_1)
	v_lshlrev_b32_e32 v5, 2, v5
	v_add_lshl_u32 v5, v5, v4, 2
	s_waitcnt lgkmcnt(0)
	v_add_f16_e32 v6, v6, v3
	s_delay_alu instid0(VALU_DEP_1) | instskip(NEXT) | instid1(VALU_DEP_1)
	v_and_b32_e32 v7, 0xffff, v6
	v_and_or_b32 v3, 0xffff0000, v3, v7
	ds_bpermute_b32 v3, v5, v3
	v_cndmask_b32_e64 v5, 0, 1, vcc_lo
	v_cmp_ne_u32_e32 vcc_lo, 31, v4
	s_delay_alu instid0(VALU_DEP_2) | instskip(NEXT) | instid1(VALU_DEP_1)
	v_lshlrev_b32_e32 v5, 1, v5
	v_add_lshl_u32 v5, v5, v4, 2
	v_add_co_ci_u32_e32 v4, vcc_lo, 0, v4, vcc_lo
	v_cmp_eq_u32_e32 vcc_lo, 0, v0
	s_delay_alu instid0(VALU_DEP_2) | instskip(SKIP_2) | instid1(VALU_DEP_1)
	v_lshlrev_b32_e32 v4, 2, v4
	s_waitcnt lgkmcnt(0)
	v_add_f16_e32 v6, v6, v3
	v_and_b32_e32 v7, 0xffff, v6
	s_delay_alu instid0(VALU_DEP_1) | instskip(SKIP_3) | instid1(VALU_DEP_1)
	v_and_or_b32 v3, 0xffff0000, v3, v7
	ds_bpermute_b32 v5, v5, v3
	s_waitcnt lgkmcnt(0)
	v_add_f16_e32 v3, v6, v5
	v_and_b32_e32 v6, 0xffff, v3
	s_delay_alu instid0(VALU_DEP_1)
	v_and_or_b32 v5, 0xffff0000, v5, v6
	ds_bpermute_b32 v4, v4, v5
	s_and_b32 exec_lo, exec_lo, vcc_lo
	s_cbranch_execz .LBB139_7
; %bb.6:
	v_lshlrev_b64 v[0:1], 1, v[1:2]
	s_waitcnt lgkmcnt(0)
	v_add_f16_e32 v2, v3, v4
	s_delay_alu instid0(VALU_DEP_2) | instskip(NEXT) | instid1(VALU_DEP_3)
	v_add_co_u32 v0, vcc_lo, s2, v0
	v_add_co_ci_u32_e32 v1, vcc_lo, s3, v1, vcc_lo
	global_store_b16 v[0:1], v2, off
.LBB139_7:
	s_nop 0
	s_sendmsg sendmsg(MSG_DEALLOC_VGPRS)
	s_endpgm
	.section	.rodata,"a",@progbits
	.p2align	6, 0x0
	.amdhsa_kernel _ZL28rocblas_dot_batched_4_kernelIiLi64ELi4ELb0EDF16_DF16_PKPKDF16_EviT5_lT_lS4_lS5_liPT4_
		.amdhsa_group_segment_fixed_size 0
		.amdhsa_private_segment_fixed_size 0
		.amdhsa_kernarg_size 88
		.amdhsa_user_sgpr_count 15
		.amdhsa_user_sgpr_dispatch_ptr 0
		.amdhsa_user_sgpr_queue_ptr 0
		.amdhsa_user_sgpr_kernarg_segment_ptr 1
		.amdhsa_user_sgpr_dispatch_id 0
		.amdhsa_user_sgpr_private_segment_size 0
		.amdhsa_wavefront_size32 1
		.amdhsa_uses_dynamic_stack 0
		.amdhsa_enable_private_segment 0
		.amdhsa_system_sgpr_workgroup_id_x 1
		.amdhsa_system_sgpr_workgroup_id_y 0
		.amdhsa_system_sgpr_workgroup_id_z 0
		.amdhsa_system_sgpr_workgroup_info 0
		.amdhsa_system_vgpr_workitem_id 1
		.amdhsa_next_free_vgpr 12
		.amdhsa_next_free_sgpr 16
		.amdhsa_reserve_vcc 1
		.amdhsa_float_round_mode_32 0
		.amdhsa_float_round_mode_16_64 0
		.amdhsa_float_denorm_mode_32 3
		.amdhsa_float_denorm_mode_16_64 3
		.amdhsa_dx10_clamp 1
		.amdhsa_ieee_mode 1
		.amdhsa_fp16_overflow 0
		.amdhsa_workgroup_processor_mode 1
		.amdhsa_memory_ordered 1
		.amdhsa_forward_progress 0
		.amdhsa_shared_vgpr_count 0
		.amdhsa_exception_fp_ieee_invalid_op 0
		.amdhsa_exception_fp_denorm_src 0
		.amdhsa_exception_fp_ieee_div_zero 0
		.amdhsa_exception_fp_ieee_overflow 0
		.amdhsa_exception_fp_ieee_underflow 0
		.amdhsa_exception_fp_ieee_inexact 0
		.amdhsa_exception_int_div_zero 0
	.end_amdhsa_kernel
	.section	.text._ZL28rocblas_dot_batched_4_kernelIiLi64ELi4ELb0EDF16_DF16_PKPKDF16_EviT5_lT_lS4_lS5_liPT4_,"axG",@progbits,_ZL28rocblas_dot_batched_4_kernelIiLi64ELi4ELb0EDF16_DF16_PKPKDF16_EviT5_lT_lS4_lS5_liPT4_,comdat
.Lfunc_end139:
	.size	_ZL28rocblas_dot_batched_4_kernelIiLi64ELi4ELb0EDF16_DF16_PKPKDF16_EviT5_lT_lS4_lS5_liPT4_, .Lfunc_end139-_ZL28rocblas_dot_batched_4_kernelIiLi64ELi4ELb0EDF16_DF16_PKPKDF16_EviT5_lT_lS4_lS5_liPT4_
                                        ; -- End function
	.section	.AMDGPU.csdata,"",@progbits
; Kernel info:
; codeLenInByte = 848
; NumSgprs: 18
; NumVgprs: 12
; ScratchSize: 0
; MemoryBound: 0
; FloatMode: 240
; IeeeMode: 1
; LDSByteSize: 0 bytes/workgroup (compile time only)
; SGPRBlocks: 2
; VGPRBlocks: 1
; NumSGPRsForWavesPerEU: 18
; NumVGPRsForWavesPerEU: 12
; Occupancy: 16
; WaveLimiterHint : 0
; COMPUTE_PGM_RSRC2:SCRATCH_EN: 0
; COMPUTE_PGM_RSRC2:USER_SGPR: 15
; COMPUTE_PGM_RSRC2:TRAP_HANDLER: 0
; COMPUTE_PGM_RSRC2:TGID_X_EN: 1
; COMPUTE_PGM_RSRC2:TGID_Y_EN: 0
; COMPUTE_PGM_RSRC2:TGID_Z_EN: 0
; COMPUTE_PGM_RSRC2:TIDIG_COMP_CNT: 1
	.section	.text._ZL26rocblas_dot_kernel_inc1by2ILb1ELi1024ELi32ELb0EDF16_PKPKDF16_DF16_EviT4_llS4_lliPT5_PT3_,"axG",@progbits,_ZL26rocblas_dot_kernel_inc1by2ILb1ELi1024ELi32ELb0EDF16_PKPKDF16_DF16_EviT4_llS4_lliPT5_PT3_,comdat
	.globl	_ZL26rocblas_dot_kernel_inc1by2ILb1ELi1024ELi32ELb0EDF16_PKPKDF16_DF16_EviT4_llS4_lliPT5_PT3_ ; -- Begin function _ZL26rocblas_dot_kernel_inc1by2ILb1ELi1024ELi32ELb0EDF16_PKPKDF16_DF16_EviT4_llS4_lliPT5_PT3_
	.p2align	8
	.type	_ZL26rocblas_dot_kernel_inc1by2ILb1ELi1024ELi32ELb0EDF16_PKPKDF16_DF16_EviT4_llS4_lliPT5_PT3_,@function
_ZL26rocblas_dot_kernel_inc1by2ILb1ELi1024ELi32ELb0EDF16_PKPKDF16_DF16_EviT4_llS4_lliPT5_PT3_: ; @_ZL26rocblas_dot_kernel_inc1by2ILb1ELi1024ELi32ELb0EDF16_PKPKDF16_DF16_EviT4_llS4_lliPT5_PT3_
; %bb.0:
	s_clause 0x1
	s_load_b128 s[8:11], s[0:1], 0x8
	s_load_b128 s[4:7], s[0:1], 0x20
	s_mov_b32 s2, s15
	s_mov_b32 s3, 0
	s_clause 0x1
	s_load_b32 s14, s[0:1], 0x0
	s_load_b64 s[12:13], s[0:1], 0x48
	s_lshl_b64 s[16:17], s[2:3], 3
	v_dual_mov_b32 v5, 0 :: v_dual_lshlrev_b32 v6, 1, v0
	s_waitcnt lgkmcnt(0)
	s_add_u32 s0, s8, s16
	s_addc_u32 s1, s9, s17
	s_add_u32 s4, s4, s16
	s_addc_u32 s5, s5, s17
	s_load_b64 s[8:9], s[0:1], 0x0
	s_load_b64 s[4:5], s[4:5], 0x0
	s_add_i32 s0, s14, -1
	s_mov_b32 s1, exec_lo
	v_cmpx_gt_i32_e64 s0, v6
	s_cbranch_execz .LBB140_4
; %bb.1:
	v_lshlrev_b32_e32 v3, 2, v0
	s_lshl_b64 s[16:17], s[6:7], 1
	v_mov_b32_e32 v5, 0
	s_waitcnt lgkmcnt(0)
	s_add_u32 s15, s4, s16
	s_addc_u32 s18, s5, s17
	s_lshl_b64 s[16:17], s[10:11], 1
	v_add_co_u32 v1, s15, s15, v3
	s_delay_alu instid0(VALU_DEP_1) | instskip(SKIP_3) | instid1(VALU_DEP_1)
	v_add_co_ci_u32_e64 v2, null, s18, 0, s15
	s_add_u32 s15, s8, s16
	s_addc_u32 s16, s9, s17
	v_add_co_u32 v3, s15, s15, v3
	v_add_co_ci_u32_e64 v4, null, s16, 0, s15
	s_mov_b32 s15, s3
	s_mov_b32 s16, s3
	.p2align	6
.LBB140_2:                              ; =>This Inner Loop Header: Depth=1
	global_load_b32 v7, v[1:2], off
	global_load_b32 v8, v[3:4], off
	v_add_co_u32 v1, vcc_lo, 0x1000, v1
	v_add_nc_u32_e32 v6, 0x800, v6
	v_add_co_ci_u32_e32 v2, vcc_lo, 0, v2, vcc_lo
	v_add_co_u32 v3, vcc_lo, 0x1000, v3
	v_add_co_ci_u32_e32 v4, vcc_lo, 0, v4, vcc_lo
	s_add_i32 s17, s16, 1
	v_cmp_le_i32_e32 vcc_lo, s0, v6
	s_cmp_gt_u32 s16, 30
	s_cselect_b32 s16, -1, 0
	s_delay_alu instid0(SALU_CYCLE_1) | instskip(NEXT) | instid1(SALU_CYCLE_1)
	s_or_b32 s16, s16, vcc_lo
	s_and_b32 s16, exec_lo, s16
	s_delay_alu instid0(SALU_CYCLE_1) | instskip(SKIP_3) | instid1(VALU_DEP_1)
	s_or_b32 s15, s16, s15
	s_mov_b32 s16, s17
	s_waitcnt vmcnt(0)
	v_pk_mul_f16 v7, v7, v8
	v_add_f16_e32 v5, v5, v7
	v_lshrrev_b32_e32 v7, 16, v7
	s_delay_alu instid0(VALU_DEP_1)
	v_add_f16_e32 v5, v5, v7
	s_and_not1_b32 exec_lo, exec_lo, s15
	s_cbranch_execnz .LBB140_2
; %bb.3:
	s_or_b32 exec_lo, exec_lo, s15
.LBB140_4:
	s_delay_alu instid0(SALU_CYCLE_1) | instskip(SKIP_3) | instid1(SALU_CYCLE_1)
	s_or_b32 exec_lo, exec_lo, s1
	v_cmp_eq_u32_e32 vcc_lo, s0, v6
	s_bitcmp1_b32 s14, 0
	s_cselect_b32 s1, -1, 0
	s_and_b32 s1, s1, vcc_lo
	s_delay_alu instid0(SALU_CYCLE_1)
	s_and_saveexec_b32 s14, s1
	s_cbranch_execz .LBB140_6
; %bb.5:
	s_lshl_b64 s[10:11], s[10:11], 1
	s_mov_b32 s1, 0
	s_waitcnt lgkmcnt(0)
	s_add_u32 s8, s8, s10
	s_addc_u32 s9, s9, s11
	s_lshl_b64 s[6:7], s[6:7], 1
	v_mov_b32_e32 v1, 0
	s_add_u32 s6, s4, s6
	s_addc_u32 s7, s5, s7
	s_lshl_b64 s[0:1], s[0:1], 1
	s_delay_alu instid0(SALU_CYCLE_1)
	s_add_u32 s4, s8, s0
	s_addc_u32 s5, s9, s1
	s_add_u32 s0, s6, s0
	s_addc_u32 s1, s7, s1
	s_clause 0x1
	global_load_u16 v2, v1, s[0:1]
	global_load_u16 v1, v1, s[4:5]
	s_waitcnt vmcnt(0)
	v_fmac_f16_e32 v5, v2, v1
.LBB140_6:
	s_or_b32 exec_lo, exec_lo, s14
	v_and_b32_e32 v6, 31, v0
	v_cmp_gt_u32_e32 vcc_lo, 32, v0
	s_delay_alu instid0(VALU_DEP_2)
	v_lshlrev_b32_e32 v1, 1, v6
	s_and_saveexec_b32 s0, vcc_lo
	s_cbranch_execz .LBB140_8
; %bb.7:
	v_mov_b32_e32 v2, 0
	ds_store_b16 v1, v2
.LBB140_8:
	s_or_b32 exec_lo, exec_lo, s0
	v_mbcnt_lo_u32_b32 v7, -1, 0
	v_and_b32_e32 v3, 0xffff, v5
	s_mov_b32 s1, exec_lo
	s_waitcnt lgkmcnt(0)
	s_barrier
	v_cmp_gt_u32_e64 s0, 16, v7
	buffer_gl0_inv
	v_cndmask_b32_e64 v2, 0, 1, s0
	v_cmp_gt_u32_e64 s0, 24, v7
	s_delay_alu instid0(VALU_DEP_2) | instskip(NEXT) | instid1(VALU_DEP_1)
	v_lshlrev_b32_e32 v2, 4, v2
	v_add_lshl_u32 v2, v2, v7, 2
	ds_bpermute_b32 v4, v2, v3
	v_cndmask_b32_e64 v3, 0, 1, s0
	v_cmp_gt_u32_e64 s0, 28, v7
	s_delay_alu instid0(VALU_DEP_2) | instskip(NEXT) | instid1(VALU_DEP_1)
	v_lshlrev_b32_e32 v3, 3, v3
	v_add_lshl_u32 v3, v3, v7, 2
	s_waitcnt lgkmcnt(0)
	v_add_f16_e32 v5, v5, v4
	s_delay_alu instid0(VALU_DEP_1) | instskip(NEXT) | instid1(VALU_DEP_1)
	v_and_b32_e32 v8, 0xffff, v5
	v_and_or_b32 v4, 0xffff0000, v4, v8
	ds_bpermute_b32 v8, v3, v4
	v_cndmask_b32_e64 v4, 0, 1, s0
	v_cmp_gt_u32_e64 s0, 30, v7
	s_delay_alu instid0(VALU_DEP_2) | instskip(NEXT) | instid1(VALU_DEP_1)
	v_lshlrev_b32_e32 v4, 2, v4
	v_add_lshl_u32 v4, v4, v7, 2
	s_waitcnt lgkmcnt(0)
	v_add_f16_e32 v5, v5, v8
	s_delay_alu instid0(VALU_DEP_1) | instskip(NEXT) | instid1(VALU_DEP_1)
	v_and_b32_e32 v9, 0xffff, v5
	v_and_or_b32 v8, 0xffff0000, v8, v9
	v_cndmask_b32_e64 v9, 0, 1, s0
	v_cmp_ne_u32_e64 s0, 31, v7
	ds_bpermute_b32 v8, v4, v8
	s_waitcnt lgkmcnt(0)
	v_add_f16_e32 v10, v5, v8
	v_lshlrev_b32_e32 v5, 1, v9
	s_delay_alu instid0(VALU_DEP_2) | instskip(NEXT) | instid1(VALU_DEP_2)
	v_and_b32_e32 v9, 0xffff, v10
	v_add_lshl_u32 v5, v5, v7, 2
	v_add_co_ci_u32_e64 v7, s0, 0, v7, s0
	s_delay_alu instid0(VALU_DEP_3) | instskip(NEXT) | instid1(VALU_DEP_2)
	v_and_or_b32 v8, 0xffff0000, v8, v9
	v_lshlrev_b32_e32 v7, 2, v7
	ds_bpermute_b32 v9, v5, v8
	s_waitcnt lgkmcnt(0)
	v_add_f16_e32 v8, v10, v9
	s_delay_alu instid0(VALU_DEP_1) | instskip(NEXT) | instid1(VALU_DEP_1)
	v_and_b32_e32 v10, 0xffff, v8
	v_and_or_b32 v9, 0xffff0000, v9, v10
	ds_bpermute_b32 v9, v7, v9
	v_cmpx_eq_u32_e32 0, v6
	s_cbranch_execz .LBB140_10
; %bb.9:
	v_lshrrev_b32_e32 v6, 4, v0
	s_waitcnt lgkmcnt(0)
	v_add_f16_e32 v8, v8, v9
	s_delay_alu instid0(VALU_DEP_2)
	v_and_b32_e32 v6, 62, v6
	ds_store_b16 v6, v8
.LBB140_10:
	s_or_b32 exec_lo, exec_lo, s1
	v_mov_b32_e32 v6, 0
	s_waitcnt lgkmcnt(0)
	s_barrier
	buffer_gl0_inv
	s_and_saveexec_b32 s0, vcc_lo
	s_cbranch_execz .LBB140_12
; %bb.11:
	ds_load_u16 v6, v1
.LBB140_12:
	s_or_b32 exec_lo, exec_lo, s0
	s_and_saveexec_b32 s0, vcc_lo
	s_cbranch_execz .LBB140_14
; %bb.13:
	s_waitcnt lgkmcnt(0)
	v_and_b32_e32 v1, 0xffff, v6
	ds_bpermute_b32 v1, v2, v1
	s_waitcnt lgkmcnt(0)
	v_add_f16_e32 v2, v6, v1
	s_delay_alu instid0(VALU_DEP_1) | instskip(NEXT) | instid1(VALU_DEP_1)
	v_and_b32_e32 v6, 0xffff, v2
	v_and_or_b32 v1, 0xffff0000, v1, v6
	ds_bpermute_b32 v1, v3, v1
	s_waitcnt lgkmcnt(0)
	v_add_f16_e32 v2, v2, v1
	s_delay_alu instid0(VALU_DEP_1) | instskip(NEXT) | instid1(VALU_DEP_1)
	v_and_b32_e32 v3, 0xffff, v2
	v_and_or_b32 v1, 0xffff0000, v1, v3
	;; [unrolled: 6-line block ×4, first 2 shown]
	ds_bpermute_b32 v1, v7, v1
	s_waitcnt lgkmcnt(0)
	v_add_f16_e32 v6, v2, v1
.LBB140_14:
	s_or_b32 exec_lo, exec_lo, s0
	s_delay_alu instid0(SALU_CYCLE_1)
	s_mov_b32 s0, exec_lo
	v_cmpx_eq_u32_e32 0, v0
	s_cbranch_execz .LBB140_16
; %bb.15:
	s_lshl_b64 s[0:1], s[2:3], 1
	v_mov_b32_e32 v0, 0
	s_add_u32 s0, s12, s0
	s_addc_u32 s1, s13, s1
	s_waitcnt lgkmcnt(0)
	global_store_b16 v0, v6, s[0:1]
.LBB140_16:
	s_nop 0
	s_sendmsg sendmsg(MSG_DEALLOC_VGPRS)
	s_endpgm
	.section	.rodata,"a",@progbits
	.p2align	6, 0x0
	.amdhsa_kernel _ZL26rocblas_dot_kernel_inc1by2ILb1ELi1024ELi32ELb0EDF16_PKPKDF16_DF16_EviT4_llS4_lliPT5_PT3_
		.amdhsa_group_segment_fixed_size 64
		.amdhsa_private_segment_fixed_size 0
		.amdhsa_kernarg_size 80
		.amdhsa_user_sgpr_count 14
		.amdhsa_user_sgpr_dispatch_ptr 0
		.amdhsa_user_sgpr_queue_ptr 0
		.amdhsa_user_sgpr_kernarg_segment_ptr 1
		.amdhsa_user_sgpr_dispatch_id 0
		.amdhsa_user_sgpr_private_segment_size 0
		.amdhsa_wavefront_size32 1
		.amdhsa_uses_dynamic_stack 0
		.amdhsa_enable_private_segment 0
		.amdhsa_system_sgpr_workgroup_id_x 1
		.amdhsa_system_sgpr_workgroup_id_y 0
		.amdhsa_system_sgpr_workgroup_id_z 1
		.amdhsa_system_sgpr_workgroup_info 0
		.amdhsa_system_vgpr_workitem_id 0
		.amdhsa_next_free_vgpr 11
		.amdhsa_next_free_sgpr 19
		.amdhsa_reserve_vcc 1
		.amdhsa_float_round_mode_32 0
		.amdhsa_float_round_mode_16_64 0
		.amdhsa_float_denorm_mode_32 3
		.amdhsa_float_denorm_mode_16_64 3
		.amdhsa_dx10_clamp 1
		.amdhsa_ieee_mode 1
		.amdhsa_fp16_overflow 0
		.amdhsa_workgroup_processor_mode 1
		.amdhsa_memory_ordered 1
		.amdhsa_forward_progress 0
		.amdhsa_shared_vgpr_count 0
		.amdhsa_exception_fp_ieee_invalid_op 0
		.amdhsa_exception_fp_denorm_src 0
		.amdhsa_exception_fp_ieee_div_zero 0
		.amdhsa_exception_fp_ieee_overflow 0
		.amdhsa_exception_fp_ieee_underflow 0
		.amdhsa_exception_fp_ieee_inexact 0
		.amdhsa_exception_int_div_zero 0
	.end_amdhsa_kernel
	.section	.text._ZL26rocblas_dot_kernel_inc1by2ILb1ELi1024ELi32ELb0EDF16_PKPKDF16_DF16_EviT4_llS4_lliPT5_PT3_,"axG",@progbits,_ZL26rocblas_dot_kernel_inc1by2ILb1ELi1024ELi32ELb0EDF16_PKPKDF16_DF16_EviT4_llS4_lliPT5_PT3_,comdat
.Lfunc_end140:
	.size	_ZL26rocblas_dot_kernel_inc1by2ILb1ELi1024ELi32ELb0EDF16_PKPKDF16_DF16_EviT4_llS4_lliPT5_PT3_, .Lfunc_end140-_ZL26rocblas_dot_kernel_inc1by2ILb1ELi1024ELi32ELb0EDF16_PKPKDF16_DF16_EviT4_llS4_lliPT5_PT3_
                                        ; -- End function
	.section	.AMDGPU.csdata,"",@progbits
; Kernel info:
; codeLenInByte = 1188
; NumSgprs: 21
; NumVgprs: 11
; ScratchSize: 0
; MemoryBound: 0
; FloatMode: 240
; IeeeMode: 1
; LDSByteSize: 64 bytes/workgroup (compile time only)
; SGPRBlocks: 2
; VGPRBlocks: 1
; NumSGPRsForWavesPerEU: 21
; NumVGPRsForWavesPerEU: 11
; Occupancy: 16
; WaveLimiterHint : 1
; COMPUTE_PGM_RSRC2:SCRATCH_EN: 0
; COMPUTE_PGM_RSRC2:USER_SGPR: 14
; COMPUTE_PGM_RSRC2:TRAP_HANDLER: 0
; COMPUTE_PGM_RSRC2:TGID_X_EN: 1
; COMPUTE_PGM_RSRC2:TGID_Y_EN: 0
; COMPUTE_PGM_RSRC2:TGID_Z_EN: 1
; COMPUTE_PGM_RSRC2:TIDIG_COMP_CNT: 0
	.section	.text._ZL18rocblas_dot_kernelIiLb1ELi1024ELi32ELb0EDF16_PKPKDF16_DF16_EviT5_lT_lS4_lS5_liPT6_PT4_,"axG",@progbits,_ZL18rocblas_dot_kernelIiLb1ELi1024ELi32ELb0EDF16_PKPKDF16_DF16_EviT5_lT_lS4_lS5_liPT6_PT4_,comdat
	.globl	_ZL18rocblas_dot_kernelIiLb1ELi1024ELi32ELb0EDF16_PKPKDF16_DF16_EviT5_lT_lS4_lS5_liPT6_PT4_ ; -- Begin function _ZL18rocblas_dot_kernelIiLb1ELi1024ELi32ELb0EDF16_PKPKDF16_DF16_EviT5_lT_lS4_lS5_liPT6_PT4_
	.p2align	8
	.type	_ZL18rocblas_dot_kernelIiLb1ELi1024ELi32ELb0EDF16_PKPKDF16_DF16_EviT5_lT_lS4_lS5_liPT6_PT4_,@function
_ZL18rocblas_dot_kernelIiLb1ELi1024ELi32ELb0EDF16_PKPKDF16_DF16_EviT5_lT_lS4_lS5_liPT6_PT4_: ; @_ZL18rocblas_dot_kernelIiLb1ELi1024ELi32ELb0EDF16_PKPKDF16_DF16_EviT5_lT_lS4_lS5_liPT6_PT4_
; %bb.0:
	s_clause 0x1
	s_load_b32 s10, s[0:1], 0x0
	s_load_b64 s[2:3], s[0:1], 0x58
	v_mov_b32_e32 v5, 0
	s_mov_b32 s8, s15
	s_mov_b32 s9, 0
	s_mov_b32 s11, exec_lo
	s_waitcnt lgkmcnt(0)
	v_cmpx_gt_i32_e64 s10, v0
	s_cbranch_execz .LBB141_4
; %bb.1:
	s_clause 0x4
	s_load_b128 s[12:15], s[0:1], 0x8
	s_load_b128 s[4:7], s[0:1], 0x28
	s_load_b32 s18, s[0:1], 0x18
	s_load_b32 s20, s[0:1], 0x38
	s_load_b32 s19, s[0:1], 0x60
	s_lshl_b64 s[0:1], s[8:9], 3
	v_mov_b32_e32 v5, 0
	s_waitcnt lgkmcnt(0)
	s_add_u32 s12, s12, s0
	s_addc_u32 s13, s13, s1
	s_add_u32 s0, s4, s0
	s_load_b64 s[12:13], s[12:13], 0x0
	s_addc_u32 s1, s5, s1
	v_mad_i64_i32 v[1:2], null, s18, v0, 0
	s_load_b64 s[16:17], s[0:1], 0x0
	v_mad_i64_i32 v[3:4], null, s20, v0, 0
	s_lshl_b32 s1, s19, 10
	s_lshl_b64 s[4:5], s[14:15], 1
	s_mul_hi_i32 s15, s18, s1
	s_delay_alu instid0(VALU_DEP_2) | instskip(SKIP_2) | instid1(VALU_DEP_3)
	v_lshlrev_b64 v[1:2], 1, v[1:2]
	s_mul_i32 s14, s18, s1
	v_or_b32_e32 v6, s1, v0
	v_lshlrev_b64 v[3:4], 1, v[3:4]
	s_mul_hi_i32 s19, s20, s1
	s_mul_i32 s18, s20, s1
	s_waitcnt lgkmcnt(0)
	s_add_u32 s0, s12, s4
	s_addc_u32 s12, s13, s5
	s_lshl_b64 s[6:7], s[6:7], 1
	s_lshl_b64 s[4:5], s[14:15], 1
	v_add_co_u32 v1, vcc_lo, s0, v1
	s_add_u32 s0, s16, s6
	v_add_co_ci_u32_e32 v2, vcc_lo, s12, v2, vcc_lo
	s_addc_u32 s6, s17, s7
	v_add_co_u32 v3, vcc_lo, s0, v3
	v_add_co_ci_u32_e32 v4, vcc_lo, s6, v4, vcc_lo
	s_lshl_b64 s[6:7], s[18:19], 1
	s_mov_b32 s12, s9
	s_mov_b32 s13, s9
	.p2align	6
.LBB141_2:                              ; =>This Inner Loop Header: Depth=1
	global_load_u16 v7, v[3:4], off
	global_load_u16 v8, v[1:2], off
	v_add_co_u32 v1, s0, v1, s4
	s_delay_alu instid0(VALU_DEP_1)
	v_add_co_ci_u32_e64 v2, s0, s5, v2, s0
	s_add_i32 s14, s13, 1
	v_cmp_le_i32_e32 vcc_lo, s10, v6
	v_add_co_u32 v3, s0, v3, s6
	s_cmp_gt_u32 s13, 30
	v_add_co_ci_u32_e64 v4, s0, s7, v4, s0
	s_cselect_b32 s0, -1, 0
	v_add_nc_u32_e32 v6, s1, v6
	s_or_b32 s0, s0, vcc_lo
	s_mov_b32 s13, s14
	s_and_b32 s0, exec_lo, s0
	s_delay_alu instid0(SALU_CYCLE_1)
	s_or_b32 s12, s0, s12
	s_waitcnt vmcnt(0)
	v_fmac_f16_e32 v5, v7, v8
	s_and_not1_b32 exec_lo, exec_lo, s12
	s_cbranch_execnz .LBB141_2
; %bb.3:
	s_or_b32 exec_lo, exec_lo, s12
.LBB141_4:
	s_delay_alu instid0(SALU_CYCLE_1) | instskip(SKIP_2) | instid1(VALU_DEP_2)
	s_or_b32 exec_lo, exec_lo, s11
	v_and_b32_e32 v6, 31, v0
	v_cmp_gt_u32_e32 vcc_lo, 32, v0
	v_lshlrev_b32_e32 v1, 1, v6
	s_and_saveexec_b32 s0, vcc_lo
	s_cbranch_execz .LBB141_6
; %bb.5:
	v_mov_b32_e32 v2, 0
	ds_store_b16 v1, v2
.LBB141_6:
	s_or_b32 exec_lo, exec_lo, s0
	v_mbcnt_lo_u32_b32 v7, -1, 0
	v_and_b32_e32 v3, 0xffff, v5
	s_mov_b32 s1, exec_lo
	s_waitcnt lgkmcnt(0)
	s_barrier
	v_cmp_gt_u32_e64 s0, 16, v7
	buffer_gl0_inv
	v_cndmask_b32_e64 v2, 0, 1, s0
	v_cmp_gt_u32_e64 s0, 24, v7
	s_delay_alu instid0(VALU_DEP_2) | instskip(NEXT) | instid1(VALU_DEP_1)
	v_lshlrev_b32_e32 v2, 4, v2
	v_add_lshl_u32 v2, v2, v7, 2
	ds_bpermute_b32 v4, v2, v3
	v_cndmask_b32_e64 v3, 0, 1, s0
	v_cmp_gt_u32_e64 s0, 28, v7
	s_delay_alu instid0(VALU_DEP_2) | instskip(NEXT) | instid1(VALU_DEP_1)
	v_lshlrev_b32_e32 v3, 3, v3
	v_add_lshl_u32 v3, v3, v7, 2
	s_waitcnt lgkmcnt(0)
	v_add_f16_e32 v5, v5, v4
	s_delay_alu instid0(VALU_DEP_1) | instskip(NEXT) | instid1(VALU_DEP_1)
	v_and_b32_e32 v8, 0xffff, v5
	v_and_or_b32 v4, 0xffff0000, v4, v8
	ds_bpermute_b32 v8, v3, v4
	v_cndmask_b32_e64 v4, 0, 1, s0
	v_cmp_gt_u32_e64 s0, 30, v7
	s_delay_alu instid0(VALU_DEP_2) | instskip(NEXT) | instid1(VALU_DEP_1)
	v_lshlrev_b32_e32 v4, 2, v4
	v_add_lshl_u32 v4, v4, v7, 2
	s_waitcnt lgkmcnt(0)
	v_add_f16_e32 v5, v5, v8
	s_delay_alu instid0(VALU_DEP_1) | instskip(NEXT) | instid1(VALU_DEP_1)
	v_and_b32_e32 v9, 0xffff, v5
	v_and_or_b32 v8, 0xffff0000, v8, v9
	v_cndmask_b32_e64 v9, 0, 1, s0
	v_cmp_ne_u32_e64 s0, 31, v7
	ds_bpermute_b32 v8, v4, v8
	s_waitcnt lgkmcnt(0)
	v_add_f16_e32 v10, v5, v8
	v_lshlrev_b32_e32 v5, 1, v9
	s_delay_alu instid0(VALU_DEP_2) | instskip(NEXT) | instid1(VALU_DEP_2)
	v_and_b32_e32 v9, 0xffff, v10
	v_add_lshl_u32 v5, v5, v7, 2
	v_add_co_ci_u32_e64 v7, s0, 0, v7, s0
	s_delay_alu instid0(VALU_DEP_3) | instskip(NEXT) | instid1(VALU_DEP_2)
	v_and_or_b32 v8, 0xffff0000, v8, v9
	v_lshlrev_b32_e32 v7, 2, v7
	ds_bpermute_b32 v9, v5, v8
	s_waitcnt lgkmcnt(0)
	v_add_f16_e32 v8, v10, v9
	s_delay_alu instid0(VALU_DEP_1) | instskip(NEXT) | instid1(VALU_DEP_1)
	v_and_b32_e32 v10, 0xffff, v8
	v_and_or_b32 v9, 0xffff0000, v9, v10
	ds_bpermute_b32 v9, v7, v9
	v_cmpx_eq_u32_e32 0, v6
	s_cbranch_execz .LBB141_8
; %bb.7:
	v_lshrrev_b32_e32 v6, 4, v0
	s_waitcnt lgkmcnt(0)
	v_add_f16_e32 v8, v8, v9
	s_delay_alu instid0(VALU_DEP_2)
	v_and_b32_e32 v6, 62, v6
	ds_store_b16 v6, v8
.LBB141_8:
	s_or_b32 exec_lo, exec_lo, s1
	v_mov_b32_e32 v6, 0
	s_waitcnt lgkmcnt(0)
	s_barrier
	buffer_gl0_inv
	s_and_saveexec_b32 s0, vcc_lo
	s_cbranch_execz .LBB141_10
; %bb.9:
	ds_load_u16 v6, v1
.LBB141_10:
	s_or_b32 exec_lo, exec_lo, s0
	s_and_saveexec_b32 s0, vcc_lo
	s_cbranch_execz .LBB141_12
; %bb.11:
	s_waitcnt lgkmcnt(0)
	v_and_b32_e32 v1, 0xffff, v6
	ds_bpermute_b32 v1, v2, v1
	s_waitcnt lgkmcnt(0)
	v_add_f16_e32 v2, v6, v1
	s_delay_alu instid0(VALU_DEP_1) | instskip(NEXT) | instid1(VALU_DEP_1)
	v_and_b32_e32 v6, 0xffff, v2
	v_and_or_b32 v1, 0xffff0000, v1, v6
	ds_bpermute_b32 v1, v3, v1
	s_waitcnt lgkmcnt(0)
	v_add_f16_e32 v2, v2, v1
	s_delay_alu instid0(VALU_DEP_1) | instskip(NEXT) | instid1(VALU_DEP_1)
	v_and_b32_e32 v3, 0xffff, v2
	v_and_or_b32 v1, 0xffff0000, v1, v3
	;; [unrolled: 6-line block ×4, first 2 shown]
	ds_bpermute_b32 v1, v7, v1
	s_waitcnt lgkmcnt(0)
	v_add_f16_e32 v6, v2, v1
.LBB141_12:
	s_or_b32 exec_lo, exec_lo, s0
	s_delay_alu instid0(SALU_CYCLE_1)
	s_mov_b32 s0, exec_lo
	v_cmpx_eq_u32_e32 0, v0
	s_cbranch_execz .LBB141_14
; %bb.13:
	s_lshl_b64 s[0:1], s[8:9], 1
	v_mov_b32_e32 v0, 0
	s_add_u32 s0, s2, s0
	s_addc_u32 s1, s3, s1
	s_waitcnt lgkmcnt(0)
	global_store_b16 v0, v6, s[0:1]
.LBB141_14:
	s_nop 0
	s_sendmsg sendmsg(MSG_DEALLOC_VGPRS)
	s_endpgm
	.section	.rodata,"a",@progbits
	.p2align	6, 0x0
	.amdhsa_kernel _ZL18rocblas_dot_kernelIiLb1ELi1024ELi32ELb0EDF16_PKPKDF16_DF16_EviT5_lT_lS4_lS5_liPT6_PT4_
		.amdhsa_group_segment_fixed_size 64
		.amdhsa_private_segment_fixed_size 0
		.amdhsa_kernarg_size 352
		.amdhsa_user_sgpr_count 14
		.amdhsa_user_sgpr_dispatch_ptr 0
		.amdhsa_user_sgpr_queue_ptr 0
		.amdhsa_user_sgpr_kernarg_segment_ptr 1
		.amdhsa_user_sgpr_dispatch_id 0
		.amdhsa_user_sgpr_private_segment_size 0
		.amdhsa_wavefront_size32 1
		.amdhsa_uses_dynamic_stack 0
		.amdhsa_enable_private_segment 0
		.amdhsa_system_sgpr_workgroup_id_x 1
		.amdhsa_system_sgpr_workgroup_id_y 0
		.amdhsa_system_sgpr_workgroup_id_z 1
		.amdhsa_system_sgpr_workgroup_info 0
		.amdhsa_system_vgpr_workitem_id 0
		.amdhsa_next_free_vgpr 11
		.amdhsa_next_free_sgpr 21
		.amdhsa_reserve_vcc 1
		.amdhsa_float_round_mode_32 0
		.amdhsa_float_round_mode_16_64 0
		.amdhsa_float_denorm_mode_32 3
		.amdhsa_float_denorm_mode_16_64 3
		.amdhsa_dx10_clamp 1
		.amdhsa_ieee_mode 1
		.amdhsa_fp16_overflow 0
		.amdhsa_workgroup_processor_mode 1
		.amdhsa_memory_ordered 1
		.amdhsa_forward_progress 0
		.amdhsa_shared_vgpr_count 0
		.amdhsa_exception_fp_ieee_invalid_op 0
		.amdhsa_exception_fp_denorm_src 0
		.amdhsa_exception_fp_ieee_div_zero 0
		.amdhsa_exception_fp_ieee_overflow 0
		.amdhsa_exception_fp_ieee_underflow 0
		.amdhsa_exception_fp_ieee_inexact 0
		.amdhsa_exception_int_div_zero 0
	.end_amdhsa_kernel
	.section	.text._ZL18rocblas_dot_kernelIiLb1ELi1024ELi32ELb0EDF16_PKPKDF16_DF16_EviT5_lT_lS4_lS5_liPT6_PT4_,"axG",@progbits,_ZL18rocblas_dot_kernelIiLb1ELi1024ELi32ELb0EDF16_PKPKDF16_DF16_EviT5_lT_lS4_lS5_liPT6_PT4_,comdat
.Lfunc_end141:
	.size	_ZL18rocblas_dot_kernelIiLb1ELi1024ELi32ELb0EDF16_PKPKDF16_DF16_EviT5_lT_lS4_lS5_liPT6_PT4_, .Lfunc_end141-_ZL18rocblas_dot_kernelIiLb1ELi1024ELi32ELb0EDF16_PKPKDF16_DF16_EviT5_lT_lS4_lS5_liPT6_PT4_
                                        ; -- End function
	.section	.AMDGPU.csdata,"",@progbits
; Kernel info:
; codeLenInByte = 1112
; NumSgprs: 23
; NumVgprs: 11
; ScratchSize: 0
; MemoryBound: 0
; FloatMode: 240
; IeeeMode: 1
; LDSByteSize: 64 bytes/workgroup (compile time only)
; SGPRBlocks: 2
; VGPRBlocks: 1
; NumSGPRsForWavesPerEU: 23
; NumVGPRsForWavesPerEU: 11
; Occupancy: 16
; WaveLimiterHint : 0
; COMPUTE_PGM_RSRC2:SCRATCH_EN: 0
; COMPUTE_PGM_RSRC2:USER_SGPR: 14
; COMPUTE_PGM_RSRC2:TRAP_HANDLER: 0
; COMPUTE_PGM_RSRC2:TGID_X_EN: 1
; COMPUTE_PGM_RSRC2:TGID_Y_EN: 0
; COMPUTE_PGM_RSRC2:TGID_Z_EN: 1
; COMPUTE_PGM_RSRC2:TIDIG_COMP_CNT: 0
	.section	.text._ZL24rocblas_dot_kernel_magsqIiLb1ELi1024ELi32ELb0EDF16_PKPKDF16_DF16_EviT5_lT_liPT6_PT4_,"axG",@progbits,_ZL24rocblas_dot_kernel_magsqIiLb1ELi1024ELi32ELb0EDF16_PKPKDF16_DF16_EviT5_lT_liPT6_PT4_,comdat
	.globl	_ZL24rocblas_dot_kernel_magsqIiLb1ELi1024ELi32ELb0EDF16_PKPKDF16_DF16_EviT5_lT_liPT6_PT4_ ; -- Begin function _ZL24rocblas_dot_kernel_magsqIiLb1ELi1024ELi32ELb0EDF16_PKPKDF16_DF16_EviT5_lT_liPT6_PT4_
	.p2align	8
	.type	_ZL24rocblas_dot_kernel_magsqIiLb1ELi1024ELi32ELb0EDF16_PKPKDF16_DF16_EviT5_lT_liPT6_PT4_,@function
_ZL24rocblas_dot_kernel_magsqIiLb1ELi1024ELi32ELb0EDF16_PKPKDF16_DF16_EviT5_lT_liPT6_PT4_: ; @_ZL24rocblas_dot_kernel_magsqIiLb1ELi1024ELi32ELb0EDF16_PKPKDF16_DF16_EviT5_lT_liPT6_PT4_
; %bb.0:
	s_clause 0x1
	s_load_b32 s8, s[0:1], 0x0
	s_load_b64 s[2:3], s[0:1], 0x38
	v_mov_b32_e32 v3, 0
	s_mov_b32 s4, s15
	s_mov_b32 s5, 0
	s_mov_b32 s9, exec_lo
	s_waitcnt lgkmcnt(0)
	v_cmpx_gt_i32_e64 s8, v0
	s_cbranch_execz .LBB142_4
; %bb.1:
	s_clause 0x2
	s_load_b128 s[12:15], s[0:1], 0x8
	s_load_b32 s16, s[0:1], 0x18
	s_load_b32 s10, s[0:1], 0x40
	s_lshl_b64 s[0:1], s[4:5], 3
	v_mov_b32_e32 v3, 0
	s_waitcnt lgkmcnt(0)
	s_add_u32 s0, s12, s0
	s_addc_u32 s1, s13, s1
	v_mad_i64_i32 v[1:2], null, s16, v0, 0
	s_load_b64 s[6:7], s[0:1], 0x0
	s_lshl_b32 s1, s10, 10
	s_lshl_b64 s[10:11], s[14:15], 1
	v_or_b32_e32 v4, s1, v0
	s_mul_hi_i32 s13, s16, s1
	s_mul_i32 s12, s16, s1
	s_delay_alu instid0(VALU_DEP_2) | instskip(SKIP_3) | instid1(VALU_DEP_1)
	v_lshlrev_b64 v[1:2], 1, v[1:2]
	s_waitcnt lgkmcnt(0)
	s_add_u32 s0, s6, s10
	s_addc_u32 s6, s7, s11
	v_add_co_u32 v1, vcc_lo, s0, v1
	s_delay_alu instid0(VALU_DEP_2)
	v_add_co_ci_u32_e32 v2, vcc_lo, s6, v2, vcc_lo
	s_lshl_b64 s[6:7], s[12:13], 1
	s_mov_b32 s10, s5
	s_mov_b32 s11, s5
	.p2align	6
.LBB142_2:                              ; =>This Inner Loop Header: Depth=1
	global_load_u16 v5, v[1:2], off
	s_add_i32 s12, s11, 1
	v_cmp_le_i32_e32 vcc_lo, s8, v4
	v_add_co_u32 v1, s0, v1, s6
	s_cmp_gt_u32 s11, 30
	v_add_co_ci_u32_e64 v2, s0, s7, v2, s0
	s_cselect_b32 s0, -1, 0
	v_add_nc_u32_e32 v4, s1, v4
	s_or_b32 s0, s0, vcc_lo
	s_mov_b32 s11, s12
	s_and_b32 s0, exec_lo, s0
	s_delay_alu instid0(SALU_CYCLE_1)
	s_or_b32 s10, s0, s10
	s_waitcnt vmcnt(0)
	v_fmac_f16_e32 v3, v5, v5
	s_and_not1_b32 exec_lo, exec_lo, s10
	s_cbranch_execnz .LBB142_2
; %bb.3:
	s_or_b32 exec_lo, exec_lo, s10
.LBB142_4:
	s_delay_alu instid0(SALU_CYCLE_1) | instskip(SKIP_2) | instid1(VALU_DEP_2)
	s_or_b32 exec_lo, exec_lo, s9
	v_and_b32_e32 v5, 31, v0
	v_cmp_gt_u32_e32 vcc_lo, 32, v0
	v_lshlrev_b32_e32 v1, 1, v5
	s_and_saveexec_b32 s0, vcc_lo
	s_cbranch_execz .LBB142_6
; %bb.5:
	v_mov_b32_e32 v2, 0
	ds_store_b16 v1, v2
.LBB142_6:
	s_or_b32 exec_lo, exec_lo, s0
	v_mbcnt_lo_u32_b32 v7, -1, 0
	v_and_b32_e32 v4, 0xffff, v3
	s_mov_b32 s1, exec_lo
	s_waitcnt lgkmcnt(0)
	s_barrier
	v_cmp_gt_u32_e64 s0, 16, v7
	buffer_gl0_inv
	v_cndmask_b32_e64 v2, 0, 1, s0
	v_cmp_gt_u32_e64 s0, 24, v7
	s_delay_alu instid0(VALU_DEP_2) | instskip(NEXT) | instid1(VALU_DEP_2)
	v_lshlrev_b32_e32 v2, 4, v2
	v_cndmask_b32_e64 v6, 0, 1, s0
	v_cmp_gt_u32_e64 s0, 28, v7
	s_delay_alu instid0(VALU_DEP_3) | instskip(SKIP_4) | instid1(VALU_DEP_2)
	v_add_lshl_u32 v2, v2, v7, 2
	ds_bpermute_b32 v4, v2, v4
	s_waitcnt lgkmcnt(0)
	v_add_f16_e32 v8, v3, v4
	v_lshlrev_b32_e32 v3, 3, v6
	v_and_b32_e32 v6, 0xffff, v8
	s_delay_alu instid0(VALU_DEP_2) | instskip(NEXT) | instid1(VALU_DEP_2)
	v_add_lshl_u32 v3, v3, v7, 2
	v_and_or_b32 v4, 0xffff0000, v4, v6
	ds_bpermute_b32 v6, v3, v4
	v_cndmask_b32_e64 v4, 0, 1, s0
	v_cmp_gt_u32_e64 s0, 30, v7
	s_delay_alu instid0(VALU_DEP_2) | instskip(NEXT) | instid1(VALU_DEP_1)
	v_lshlrev_b32_e32 v4, 2, v4
	v_add_lshl_u32 v4, v4, v7, 2
	s_waitcnt lgkmcnt(0)
	v_add_f16_e32 v8, v8, v6
	s_delay_alu instid0(VALU_DEP_1) | instskip(NEXT) | instid1(VALU_DEP_1)
	v_and_b32_e32 v9, 0xffff, v8
	v_and_or_b32 v6, 0xffff0000, v6, v9
	ds_bpermute_b32 v9, v4, v6
	v_cndmask_b32_e64 v6, 0, 1, s0
	v_cmp_ne_u32_e64 s0, 31, v7
	s_delay_alu instid0(VALU_DEP_2) | instskip(NEXT) | instid1(VALU_DEP_1)
	v_lshlrev_b32_e32 v6, 1, v6
	v_add_lshl_u32 v6, v6, v7, 2
	s_delay_alu instid0(VALU_DEP_3) | instskip(NEXT) | instid1(VALU_DEP_1)
	v_add_co_ci_u32_e64 v7, s0, 0, v7, s0
	v_lshlrev_b32_e32 v7, 2, v7
	s_waitcnt lgkmcnt(0)
	v_add_f16_e32 v8, v8, v9
	s_delay_alu instid0(VALU_DEP_1) | instskip(NEXT) | instid1(VALU_DEP_1)
	v_and_b32_e32 v10, 0xffff, v8
	v_and_or_b32 v9, 0xffff0000, v9, v10
	ds_bpermute_b32 v9, v6, v9
	s_waitcnt lgkmcnt(0)
	v_add_f16_e32 v8, v8, v9
	s_delay_alu instid0(VALU_DEP_1) | instskip(NEXT) | instid1(VALU_DEP_1)
	v_and_b32_e32 v10, 0xffff, v8
	v_and_or_b32 v9, 0xffff0000, v9, v10
	ds_bpermute_b32 v9, v7, v9
	v_cmpx_eq_u32_e32 0, v5
	s_cbranch_execz .LBB142_8
; %bb.7:
	v_lshrrev_b32_e32 v5, 4, v0
	s_waitcnt lgkmcnt(0)
	v_add_f16_e32 v8, v8, v9
	s_delay_alu instid0(VALU_DEP_2)
	v_and_b32_e32 v5, 62, v5
	ds_store_b16 v5, v8
.LBB142_8:
	s_or_b32 exec_lo, exec_lo, s1
	v_mov_b32_e32 v5, 0
	s_waitcnt lgkmcnt(0)
	s_barrier
	buffer_gl0_inv
	s_and_saveexec_b32 s0, vcc_lo
	s_cbranch_execz .LBB142_10
; %bb.9:
	ds_load_u16 v5, v1
.LBB142_10:
	s_or_b32 exec_lo, exec_lo, s0
	s_and_saveexec_b32 s0, vcc_lo
	s_cbranch_execz .LBB142_12
; %bb.11:
	s_waitcnt lgkmcnt(0)
	v_and_b32_e32 v1, 0xffff, v5
	ds_bpermute_b32 v1, v2, v1
	s_waitcnt lgkmcnt(0)
	v_add_f16_e32 v2, v5, v1
	s_delay_alu instid0(VALU_DEP_1) | instskip(NEXT) | instid1(VALU_DEP_1)
	v_and_b32_e32 v5, 0xffff, v2
	v_and_or_b32 v1, 0xffff0000, v1, v5
	ds_bpermute_b32 v1, v3, v1
	s_waitcnt lgkmcnt(0)
	v_add_f16_e32 v2, v2, v1
	s_delay_alu instid0(VALU_DEP_1) | instskip(NEXT) | instid1(VALU_DEP_1)
	v_and_b32_e32 v3, 0xffff, v2
	v_and_or_b32 v1, 0xffff0000, v1, v3
	;; [unrolled: 6-line block ×4, first 2 shown]
	ds_bpermute_b32 v1, v7, v1
	s_waitcnt lgkmcnt(0)
	v_add_f16_e32 v5, v2, v1
.LBB142_12:
	s_or_b32 exec_lo, exec_lo, s0
	s_delay_alu instid0(SALU_CYCLE_1)
	s_mov_b32 s0, exec_lo
	v_cmpx_eq_u32_e32 0, v0
	s_cbranch_execz .LBB142_14
; %bb.13:
	s_lshl_b64 s[0:1], s[4:5], 1
	v_mov_b32_e32 v0, 0
	s_add_u32 s0, s2, s0
	s_addc_u32 s1, s3, s1
	s_waitcnt lgkmcnt(0)
	global_store_b16 v0, v5, s[0:1]
.LBB142_14:
	s_nop 0
	s_sendmsg sendmsg(MSG_DEALLOC_VGPRS)
	s_endpgm
	.section	.rodata,"a",@progbits
	.p2align	6, 0x0
	.amdhsa_kernel _ZL24rocblas_dot_kernel_magsqIiLb1ELi1024ELi32ELb0EDF16_PKPKDF16_DF16_EviT5_lT_liPT6_PT4_
		.amdhsa_group_segment_fixed_size 64
		.amdhsa_private_segment_fixed_size 0
		.amdhsa_kernarg_size 320
		.amdhsa_user_sgpr_count 14
		.amdhsa_user_sgpr_dispatch_ptr 0
		.amdhsa_user_sgpr_queue_ptr 0
		.amdhsa_user_sgpr_kernarg_segment_ptr 1
		.amdhsa_user_sgpr_dispatch_id 0
		.amdhsa_user_sgpr_private_segment_size 0
		.amdhsa_wavefront_size32 1
		.amdhsa_uses_dynamic_stack 0
		.amdhsa_enable_private_segment 0
		.amdhsa_system_sgpr_workgroup_id_x 1
		.amdhsa_system_sgpr_workgroup_id_y 0
		.amdhsa_system_sgpr_workgroup_id_z 1
		.amdhsa_system_sgpr_workgroup_info 0
		.amdhsa_system_vgpr_workitem_id 0
		.amdhsa_next_free_vgpr 11
		.amdhsa_next_free_sgpr 17
		.amdhsa_reserve_vcc 1
		.amdhsa_float_round_mode_32 0
		.amdhsa_float_round_mode_16_64 0
		.amdhsa_float_denorm_mode_32 3
		.amdhsa_float_denorm_mode_16_64 3
		.amdhsa_dx10_clamp 1
		.amdhsa_ieee_mode 1
		.amdhsa_fp16_overflow 0
		.amdhsa_workgroup_processor_mode 1
		.amdhsa_memory_ordered 1
		.amdhsa_forward_progress 0
		.amdhsa_shared_vgpr_count 0
		.amdhsa_exception_fp_ieee_invalid_op 0
		.amdhsa_exception_fp_denorm_src 0
		.amdhsa_exception_fp_ieee_div_zero 0
		.amdhsa_exception_fp_ieee_overflow 0
		.amdhsa_exception_fp_ieee_underflow 0
		.amdhsa_exception_fp_ieee_inexact 0
		.amdhsa_exception_int_div_zero 0
	.end_amdhsa_kernel
	.section	.text._ZL24rocblas_dot_kernel_magsqIiLb1ELi1024ELi32ELb0EDF16_PKPKDF16_DF16_EviT5_lT_liPT6_PT4_,"axG",@progbits,_ZL24rocblas_dot_kernel_magsqIiLb1ELi1024ELi32ELb0EDF16_PKPKDF16_DF16_EviT5_lT_liPT6_PT4_,comdat
.Lfunc_end142:
	.size	_ZL24rocblas_dot_kernel_magsqIiLb1ELi1024ELi32ELb0EDF16_PKPKDF16_DF16_EviT5_lT_liPT6_PT4_, .Lfunc_end142-_ZL24rocblas_dot_kernel_magsqIiLb1ELi1024ELi32ELb0EDF16_PKPKDF16_DF16_EviT5_lT_liPT6_PT4_
                                        ; -- End function
	.section	.AMDGPU.csdata,"",@progbits
; Kernel info:
; codeLenInByte = 1008
; NumSgprs: 19
; NumVgprs: 11
; ScratchSize: 0
; MemoryBound: 0
; FloatMode: 240
; IeeeMode: 1
; LDSByteSize: 64 bytes/workgroup (compile time only)
; SGPRBlocks: 2
; VGPRBlocks: 1
; NumSGPRsForWavesPerEU: 19
; NumVGPRsForWavesPerEU: 11
; Occupancy: 16
; WaveLimiterHint : 0
; COMPUTE_PGM_RSRC2:SCRATCH_EN: 0
; COMPUTE_PGM_RSRC2:USER_SGPR: 14
; COMPUTE_PGM_RSRC2:TRAP_HANDLER: 0
; COMPUTE_PGM_RSRC2:TGID_X_EN: 1
; COMPUTE_PGM_RSRC2:TGID_Y_EN: 0
; COMPUTE_PGM_RSRC2:TGID_Z_EN: 1
; COMPUTE_PGM_RSRC2:TIDIG_COMP_CNT: 0
	.section	.text._ZL38rocblas_dot_kernel_gfx942_float_doubleIiLi1024EDF16_PKPKDF16_DF16_EviT2_lT_lS4_lS5_lPT3_PT1_,"axG",@progbits,_ZL38rocblas_dot_kernel_gfx942_float_doubleIiLi1024EDF16_PKPKDF16_DF16_EviT2_lT_lS4_lS5_lPT3_PT1_,comdat
	.globl	_ZL38rocblas_dot_kernel_gfx942_float_doubleIiLi1024EDF16_PKPKDF16_DF16_EviT2_lT_lS4_lS5_lPT3_PT1_ ; -- Begin function _ZL38rocblas_dot_kernel_gfx942_float_doubleIiLi1024EDF16_PKPKDF16_DF16_EviT2_lT_lS4_lS5_lPT3_PT1_
	.p2align	8
	.type	_ZL38rocblas_dot_kernel_gfx942_float_doubleIiLi1024EDF16_PKPKDF16_DF16_EviT2_lT_lS4_lS5_lPT3_PT1_,@function
_ZL38rocblas_dot_kernel_gfx942_float_doubleIiLi1024EDF16_PKPKDF16_DF16_EviT2_lT_lS4_lS5_lPT3_PT1_: ; @_ZL38rocblas_dot_kernel_gfx942_float_doubleIiLi1024EDF16_PKPKDF16_DF16_EviT2_lT_lS4_lS5_lPT3_PT1_
; %bb.0:
	s_endpgm
	.section	.rodata,"a",@progbits
	.p2align	6, 0x0
	.amdhsa_kernel _ZL38rocblas_dot_kernel_gfx942_float_doubleIiLi1024EDF16_PKPKDF16_DF16_EviT2_lT_lS4_lS5_lPT3_PT1_
		.amdhsa_group_segment_fixed_size 0
		.amdhsa_private_segment_fixed_size 0
		.amdhsa_kernarg_size 88
		.amdhsa_user_sgpr_count 15
		.amdhsa_user_sgpr_dispatch_ptr 0
		.amdhsa_user_sgpr_queue_ptr 0
		.amdhsa_user_sgpr_kernarg_segment_ptr 1
		.amdhsa_user_sgpr_dispatch_id 0
		.amdhsa_user_sgpr_private_segment_size 0
		.amdhsa_wavefront_size32 1
		.amdhsa_uses_dynamic_stack 0
		.amdhsa_enable_private_segment 0
		.amdhsa_system_sgpr_workgroup_id_x 1
		.amdhsa_system_sgpr_workgroup_id_y 0
		.amdhsa_system_sgpr_workgroup_id_z 0
		.amdhsa_system_sgpr_workgroup_info 0
		.amdhsa_system_vgpr_workitem_id 0
		.amdhsa_next_free_vgpr 1
		.amdhsa_next_free_sgpr 1
		.amdhsa_reserve_vcc 0
		.amdhsa_float_round_mode_32 0
		.amdhsa_float_round_mode_16_64 0
		.amdhsa_float_denorm_mode_32 3
		.amdhsa_float_denorm_mode_16_64 3
		.amdhsa_dx10_clamp 1
		.amdhsa_ieee_mode 1
		.amdhsa_fp16_overflow 0
		.amdhsa_workgroup_processor_mode 1
		.amdhsa_memory_ordered 1
		.amdhsa_forward_progress 0
		.amdhsa_shared_vgpr_count 0
		.amdhsa_exception_fp_ieee_invalid_op 0
		.amdhsa_exception_fp_denorm_src 0
		.amdhsa_exception_fp_ieee_div_zero 0
		.amdhsa_exception_fp_ieee_overflow 0
		.amdhsa_exception_fp_ieee_underflow 0
		.amdhsa_exception_fp_ieee_inexact 0
		.amdhsa_exception_int_div_zero 0
	.end_amdhsa_kernel
	.section	.text._ZL38rocblas_dot_kernel_gfx942_float_doubleIiLi1024EDF16_PKPKDF16_DF16_EviT2_lT_lS4_lS5_lPT3_PT1_,"axG",@progbits,_ZL38rocblas_dot_kernel_gfx942_float_doubleIiLi1024EDF16_PKPKDF16_DF16_EviT2_lT_lS4_lS5_lPT3_PT1_,comdat
.Lfunc_end143:
	.size	_ZL38rocblas_dot_kernel_gfx942_float_doubleIiLi1024EDF16_PKPKDF16_DF16_EviT2_lT_lS4_lS5_lPT3_PT1_, .Lfunc_end143-_ZL38rocblas_dot_kernel_gfx942_float_doubleIiLi1024EDF16_PKPKDF16_DF16_EviT2_lT_lS4_lS5_lPT3_PT1_
                                        ; -- End function
	.section	.AMDGPU.csdata,"",@progbits
; Kernel info:
; codeLenInByte = 4
; NumSgprs: 0
; NumVgprs: 0
; ScratchSize: 0
; MemoryBound: 0
; FloatMode: 240
; IeeeMode: 1
; LDSByteSize: 0 bytes/workgroup (compile time only)
; SGPRBlocks: 0
; VGPRBlocks: 0
; NumSGPRsForWavesPerEU: 1
; NumVGPRsForWavesPerEU: 1
; Occupancy: 16
; WaveLimiterHint : 0
; COMPUTE_PGM_RSRC2:SCRATCH_EN: 0
; COMPUTE_PGM_RSRC2:USER_SGPR: 15
; COMPUTE_PGM_RSRC2:TRAP_HANDLER: 0
; COMPUTE_PGM_RSRC2:TGID_X_EN: 1
; COMPUTE_PGM_RSRC2:TGID_Y_EN: 0
; COMPUTE_PGM_RSRC2:TGID_Z_EN: 0
; COMPUTE_PGM_RSRC2:TIDIG_COMP_CNT: 0
	.section	.text._ZL23rocblas_dot_kernel_inc1ILb0ELi512ELi8ELb0EDF16_PKPKDF16_DF16_EviT4_llS4_lliPT5_PT3_,"axG",@progbits,_ZL23rocblas_dot_kernel_inc1ILb0ELi512ELi8ELb0EDF16_PKPKDF16_DF16_EviT4_llS4_lliPT5_PT3_,comdat
	.globl	_ZL23rocblas_dot_kernel_inc1ILb0ELi512ELi8ELb0EDF16_PKPKDF16_DF16_EviT4_llS4_lliPT5_PT3_ ; -- Begin function _ZL23rocblas_dot_kernel_inc1ILb0ELi512ELi8ELb0EDF16_PKPKDF16_DF16_EviT4_llS4_lliPT5_PT3_
	.p2align	8
	.type	_ZL23rocblas_dot_kernel_inc1ILb0ELi512ELi8ELb0EDF16_PKPKDF16_DF16_EviT4_llS4_lliPT5_PT3_,@function
_ZL23rocblas_dot_kernel_inc1ILb0ELi512ELi8ELb0EDF16_PKPKDF16_DF16_EviT4_llS4_lliPT5_PT3_: ; @_ZL23rocblas_dot_kernel_inc1ILb0ELi512ELi8ELb0EDF16_PKPKDF16_DF16_EviT4_llS4_lliPT5_PT3_
; %bb.0:
	s_clause 0x2
	s_load_b32 s12, s[0:1], 0x50
	s_load_b32 s13, s[0:1], 0x0
	s_load_b128 s[4:7], s[0:1], 0x40
	v_lshl_or_b32 v3, s14, 9, v0
	v_mov_b32_e32 v5, 0
	s_mov_b32 s2, s15
	s_mov_b32 s3, 0
	s_mov_b32 s15, exec_lo
	s_waitcnt lgkmcnt(0)
	v_cmpx_gt_i32_e64 s13, v3
	s_cbranch_execz .LBB144_4
; %bb.1:
	s_clause 0x1
	s_load_b128 s[8:11], s[0:1], 0x8
	s_load_b128 s[20:23], s[0:1], 0x20
	s_lshl_b64 s[18:19], s[2:3], 3
	v_ashrrev_i32_e32 v4, 31, v3
	v_mov_b32_e32 v5, 0
	s_delay_alu instid0(VALU_DEP_2)
	v_lshlrev_b64 v[1:2], 1, v[3:4]
	s_waitcnt lgkmcnt(0)
	s_add_u32 s0, s8, s18
	s_addc_u32 s1, s9, s19
	s_lshl_b64 s[10:11], s[10:11], 1
	s_load_b64 s[8:9], s[0:1], 0x0
	s_waitcnt lgkmcnt(0)
	s_add_u32 s1, s8, s10
	s_addc_u32 s16, s9, s11
	s_add_u32 s8, s20, s18
	s_addc_u32 s9, s21, s19
	s_lshl_b64 s[10:11], s[22:23], 1
	s_load_b64 s[8:9], s[8:9], 0x0
	s_mov_b32 s19, s3
	s_waitcnt lgkmcnt(0)
	s_add_u32 s17, s8, s10
	s_addc_u32 s18, s9, s11
	s_lshl_b32 s8, s12, 9
	s_delay_alu instid0(SALU_CYCLE_1) | instskip(SKIP_1) | instid1(SALU_CYCLE_1)
	v_add_nc_u32_e32 v3, s8, v3
	s_ashr_i32 s9, s8, 31
	s_lshl_b64 s[10:11], s[8:9], 1
	s_mov_b32 s9, s3
	.p2align	6
.LBB144_2:                              ; =>This Inner Loop Header: Depth=1
	v_add_co_u32 v6, vcc_lo, s17, v1
	v_add_co_ci_u32_e32 v7, vcc_lo, s18, v2, vcc_lo
	v_add_co_u32 v8, vcc_lo, s1, v1
	v_add_co_ci_u32_e32 v9, vcc_lo, s16, v2, vcc_lo
	s_add_i32 s20, s19, 1
	global_load_u16 v4, v[6:7], off
	global_load_u16 v6, v[8:9], off
	v_cmp_le_i32_e32 vcc_lo, s13, v3
	v_add_co_u32 v1, s0, v1, s10
	s_cmp_gt_u32 s19, 6
	v_add_co_ci_u32_e64 v2, s0, s11, v2, s0
	s_cselect_b32 s0, -1, 0
	v_add_nc_u32_e32 v3, s8, v3
	s_or_b32 s0, s0, vcc_lo
	s_mov_b32 s19, s20
	s_and_b32 s0, exec_lo, s0
	s_delay_alu instid0(SALU_CYCLE_1)
	s_or_b32 s9, s0, s9
	s_waitcnt vmcnt(0)
	v_fmac_f16_e32 v5, v4, v6
	s_and_not1_b32 exec_lo, exec_lo, s9
	s_cbranch_execnz .LBB144_2
; %bb.3:
	s_or_b32 exec_lo, exec_lo, s9
.LBB144_4:
	s_delay_alu instid0(SALU_CYCLE_1) | instskip(SKIP_2) | instid1(VALU_DEP_2)
	s_or_b32 exec_lo, exec_lo, s15
	v_and_b32_e32 v2, 31, v0
	v_cmp_gt_u32_e32 vcc_lo, 32, v0
	v_lshlrev_b32_e32 v1, 1, v2
	s_and_saveexec_b32 s0, vcc_lo
	s_cbranch_execz .LBB144_6
; %bb.5:
	v_mov_b32_e32 v3, 0
	ds_store_b16 v1, v3
.LBB144_6:
	s_or_b32 exec_lo, exec_lo, s0
	v_mbcnt_lo_u32_b32 v6, -1, 0
	v_and_b32_e32 v4, 0xffff, v5
	s_mov_b32 s1, exec_lo
	s_waitcnt lgkmcnt(0)
	s_barrier
	v_cmp_gt_u32_e64 s0, 16, v6
	buffer_gl0_inv
	v_cndmask_b32_e64 v3, 0, 1, s0
	v_cmp_gt_u32_e64 s0, 24, v6
	s_delay_alu instid0(VALU_DEP_2) | instskip(NEXT) | instid1(VALU_DEP_1)
	v_lshlrev_b32_e32 v3, 4, v3
	v_add_lshl_u32 v3, v3, v6, 2
	ds_bpermute_b32 v4, v3, v4
	v_cndmask_b32_e64 v3, 0, 1, s0
	v_cmp_gt_u32_e64 s0, 28, v6
	s_delay_alu instid0(VALU_DEP_2) | instskip(NEXT) | instid1(VALU_DEP_1)
	v_lshlrev_b32_e32 v3, 3, v3
	v_add_lshl_u32 v3, v3, v6, 2
	s_waitcnt lgkmcnt(0)
	v_add_f16_e32 v5, v5, v4
	s_delay_alu instid0(VALU_DEP_1) | instskip(NEXT) | instid1(VALU_DEP_1)
	v_and_b32_e32 v7, 0xffff, v5
	v_and_or_b32 v4, 0xffff0000, v4, v7
	ds_bpermute_b32 v7, v3, v4
	v_cndmask_b32_e64 v4, 0, 1, s0
	v_cmp_gt_u32_e64 s0, 30, v6
	s_delay_alu instid0(VALU_DEP_2) | instskip(NEXT) | instid1(VALU_DEP_1)
	v_lshlrev_b32_e32 v4, 2, v4
	v_add_lshl_u32 v4, v4, v6, 2
	s_waitcnt lgkmcnt(0)
	v_add_f16_e32 v5, v5, v7
	s_delay_alu instid0(VALU_DEP_1) | instskip(NEXT) | instid1(VALU_DEP_1)
	v_and_b32_e32 v8, 0xffff, v5
	v_and_or_b32 v7, 0xffff0000, v7, v8
	v_cndmask_b32_e64 v8, 0, 1, s0
	v_cmp_ne_u32_e64 s0, 31, v6
	ds_bpermute_b32 v7, v4, v7
	s_waitcnt lgkmcnt(0)
	v_add_f16_e32 v9, v5, v7
	v_lshlrev_b32_e32 v5, 1, v8
	s_delay_alu instid0(VALU_DEP_2) | instskip(NEXT) | instid1(VALU_DEP_2)
	v_and_b32_e32 v8, 0xffff, v9
	v_add_lshl_u32 v5, v5, v6, 2
	v_add_co_ci_u32_e64 v6, s0, 0, v6, s0
	s_delay_alu instid0(VALU_DEP_3) | instskip(NEXT) | instid1(VALU_DEP_2)
	v_and_or_b32 v7, 0xffff0000, v7, v8
	v_lshlrev_b32_e32 v6, 2, v6
	ds_bpermute_b32 v8, v5, v7
	s_waitcnt lgkmcnt(0)
	v_add_f16_e32 v7, v9, v8
	s_delay_alu instid0(VALU_DEP_1) | instskip(NEXT) | instid1(VALU_DEP_1)
	v_and_b32_e32 v9, 0xffff, v7
	v_and_or_b32 v8, 0xffff0000, v8, v9
	ds_bpermute_b32 v8, v6, v8
	v_cmpx_eq_u32_e32 0, v2
	s_cbranch_execz .LBB144_8
; %bb.7:
	v_lshrrev_b32_e32 v2, 4, v0
	s_waitcnt lgkmcnt(0)
	v_add_f16_e32 v7, v7, v8
	s_delay_alu instid0(VALU_DEP_2)
	v_and_b32_e32 v2, 30, v2
	ds_store_b16 v2, v7
.LBB144_8:
	s_or_b32 exec_lo, exec_lo, s1
	v_mov_b32_e32 v2, 0
	s_mov_b32 s1, exec_lo
	s_waitcnt lgkmcnt(0)
	s_barrier
	buffer_gl0_inv
	v_cmpx_gt_u32_e32 16, v0
	s_cbranch_execz .LBB144_10
; %bb.9:
	ds_load_u16 v2, v1
.LBB144_10:
	s_or_b32 exec_lo, exec_lo, s1
	s_and_saveexec_b32 s0, vcc_lo
	s_cbranch_execz .LBB144_12
; %bb.11:
	s_waitcnt lgkmcnt(0)
	v_and_b32_e32 v1, 0xffff, v2
	ds_bpermute_b32 v1, v3, v1
	s_waitcnt lgkmcnt(0)
	v_add_f16_e32 v2, v2, v1
	s_delay_alu instid0(VALU_DEP_1) | instskip(NEXT) | instid1(VALU_DEP_1)
	v_and_b32_e32 v3, 0xffff, v2
	v_and_or_b32 v1, 0xffff0000, v1, v3
	ds_bpermute_b32 v1, v4, v1
	s_waitcnt lgkmcnt(0)
	v_add_f16_e32 v2, v2, v1
	s_delay_alu instid0(VALU_DEP_1) | instskip(NEXT) | instid1(VALU_DEP_1)
	v_and_b32_e32 v3, 0xffff, v2
	v_and_or_b32 v1, 0xffff0000, v1, v3
	ds_bpermute_b32 v1, v5, v1
	s_waitcnt lgkmcnt(0)
	v_add_f16_e32 v2, v2, v1
	s_delay_alu instid0(VALU_DEP_1) | instskip(NEXT) | instid1(VALU_DEP_1)
	v_and_b32_e32 v3, 0xffff, v2
	v_and_or_b32 v1, 0xffff0000, v1, v3
	ds_bpermute_b32 v1, v6, v1
	s_waitcnt lgkmcnt(0)
	v_add_f16_e32 v2, v2, v1
.LBB144_12:
	s_or_b32 exec_lo, exec_lo, s0
	s_delay_alu instid0(SALU_CYCLE_1)
	s_mov_b32 s0, exec_lo
	v_cmpx_eq_u32_e32 0, v0
	s_cbranch_execz .LBB144_18
; %bb.13:
	s_cmp_lg_u32 s12, 1
	s_cbranch_scc0 .LBB144_15
; %bb.14:
	s_mul_hi_u32 s1, s12, s2
	s_mul_i32 s0, s12, s2
	s_mov_b32 s15, 0
	s_lshl_b64 s[0:1], s[0:1], 1
	s_delay_alu instid0(SALU_CYCLE_1) | instskip(SKIP_2) | instid1(SALU_CYCLE_1)
	s_add_u32 s4, s4, s0
	s_addc_u32 s5, s5, s1
	s_lshl_b64 s[0:1], s[14:15], 1
	s_add_u32 s0, s4, s0
	s_addc_u32 s1, s5, s1
	s_cbranch_execz .LBB144_16
	s_branch .LBB144_17
.LBB144_15:
                                        ; implicit-def: $sgpr0_sgpr1
.LBB144_16:
	s_lshl_b64 s[0:1], s[2:3], 1
	s_delay_alu instid0(SALU_CYCLE_1)
	s_add_u32 s0, s6, s0
	s_addc_u32 s1, s7, s1
.LBB144_17:
	v_mov_b32_e32 v0, 0
	s_waitcnt lgkmcnt(0)
	global_store_b16 v0, v2, s[0:1]
.LBB144_18:
	s_nop 0
	s_sendmsg sendmsg(MSG_DEALLOC_VGPRS)
	s_endpgm
	.section	.rodata,"a",@progbits
	.p2align	6, 0x0
	.amdhsa_kernel _ZL23rocblas_dot_kernel_inc1ILb0ELi512ELi8ELb0EDF16_PKPKDF16_DF16_EviT4_llS4_lliPT5_PT3_
		.amdhsa_group_segment_fixed_size 64
		.amdhsa_private_segment_fixed_size 0
		.amdhsa_kernarg_size 336
		.amdhsa_user_sgpr_count 14
		.amdhsa_user_sgpr_dispatch_ptr 0
		.amdhsa_user_sgpr_queue_ptr 0
		.amdhsa_user_sgpr_kernarg_segment_ptr 1
		.amdhsa_user_sgpr_dispatch_id 0
		.amdhsa_user_sgpr_private_segment_size 0
		.amdhsa_wavefront_size32 1
		.amdhsa_uses_dynamic_stack 0
		.amdhsa_enable_private_segment 0
		.amdhsa_system_sgpr_workgroup_id_x 1
		.amdhsa_system_sgpr_workgroup_id_y 0
		.amdhsa_system_sgpr_workgroup_id_z 1
		.amdhsa_system_sgpr_workgroup_info 0
		.amdhsa_system_vgpr_workitem_id 0
		.amdhsa_next_free_vgpr 10
		.amdhsa_next_free_sgpr 24
		.amdhsa_reserve_vcc 1
		.amdhsa_float_round_mode_32 0
		.amdhsa_float_round_mode_16_64 0
		.amdhsa_float_denorm_mode_32 3
		.amdhsa_float_denorm_mode_16_64 3
		.amdhsa_dx10_clamp 1
		.amdhsa_ieee_mode 1
		.amdhsa_fp16_overflow 0
		.amdhsa_workgroup_processor_mode 1
		.amdhsa_memory_ordered 1
		.amdhsa_forward_progress 0
		.amdhsa_shared_vgpr_count 0
		.amdhsa_exception_fp_ieee_invalid_op 0
		.amdhsa_exception_fp_denorm_src 0
		.amdhsa_exception_fp_ieee_div_zero 0
		.amdhsa_exception_fp_ieee_overflow 0
		.amdhsa_exception_fp_ieee_underflow 0
		.amdhsa_exception_fp_ieee_inexact 0
		.amdhsa_exception_int_div_zero 0
	.end_amdhsa_kernel
	.section	.text._ZL23rocblas_dot_kernel_inc1ILb0ELi512ELi8ELb0EDF16_PKPKDF16_DF16_EviT4_llS4_lliPT5_PT3_,"axG",@progbits,_ZL23rocblas_dot_kernel_inc1ILb0ELi512ELi8ELb0EDF16_PKPKDF16_DF16_EviT4_llS4_lliPT5_PT3_,comdat
.Lfunc_end144:
	.size	_ZL23rocblas_dot_kernel_inc1ILb0ELi512ELi8ELb0EDF16_PKPKDF16_DF16_EviT4_llS4_lliPT5_PT3_, .Lfunc_end144-_ZL23rocblas_dot_kernel_inc1ILb0ELi512ELi8ELb0EDF16_PKPKDF16_DF16_EviT4_llS4_lliPT5_PT3_
                                        ; -- End function
	.section	.AMDGPU.csdata,"",@progbits
; Kernel info:
; codeLenInByte = 1080
; NumSgprs: 26
; NumVgprs: 10
; ScratchSize: 0
; MemoryBound: 0
; FloatMode: 240
; IeeeMode: 1
; LDSByteSize: 64 bytes/workgroup (compile time only)
; SGPRBlocks: 3
; VGPRBlocks: 1
; NumSGPRsForWavesPerEU: 26
; NumVGPRsForWavesPerEU: 10
; Occupancy: 16
; WaveLimiterHint : 1
; COMPUTE_PGM_RSRC2:SCRATCH_EN: 0
; COMPUTE_PGM_RSRC2:USER_SGPR: 14
; COMPUTE_PGM_RSRC2:TRAP_HANDLER: 0
; COMPUTE_PGM_RSRC2:TGID_X_EN: 1
; COMPUTE_PGM_RSRC2:TGID_Y_EN: 0
; COMPUTE_PGM_RSRC2:TGID_Z_EN: 1
; COMPUTE_PGM_RSRC2:TIDIG_COMP_CNT: 0
	.section	.text._ZL18rocblas_dot_kernelIiLb0ELi512ELi8ELb0EDF16_PKPKDF16_DF16_EviT5_lT_lS4_lS5_liPT6_PT4_,"axG",@progbits,_ZL18rocblas_dot_kernelIiLb0ELi512ELi8ELb0EDF16_PKPKDF16_DF16_EviT5_lT_lS4_lS5_liPT6_PT4_,comdat
	.globl	_ZL18rocblas_dot_kernelIiLb0ELi512ELi8ELb0EDF16_PKPKDF16_DF16_EviT5_lT_lS4_lS5_liPT6_PT4_ ; -- Begin function _ZL18rocblas_dot_kernelIiLb0ELi512ELi8ELb0EDF16_PKPKDF16_DF16_EviT5_lT_lS4_lS5_liPT6_PT4_
	.p2align	8
	.type	_ZL18rocblas_dot_kernelIiLb0ELi512ELi8ELb0EDF16_PKPKDF16_DF16_EviT5_lT_lS4_lS5_liPT6_PT4_,@function
_ZL18rocblas_dot_kernelIiLb0ELi512ELi8ELb0EDF16_PKPKDF16_DF16_EviT5_lT_lS4_lS5_liPT6_PT4_: ; @_ZL18rocblas_dot_kernelIiLb0ELi512ELi8ELb0EDF16_PKPKDF16_DF16_EviT5_lT_lS4_lS5_liPT6_PT4_
; %bb.0:
	s_clause 0x2
	s_load_b32 s12, s[0:1], 0x60
	s_load_b32 s13, s[0:1], 0x0
	s_load_b128 s[4:7], s[0:1], 0x50
	v_lshl_or_b32 v1, s14, 9, v0
	v_mov_b32_e32 v5, 0
	s_mov_b32 s2, s15
	s_mov_b32 s3, 0
	s_mov_b32 s15, exec_lo
	s_waitcnt lgkmcnt(0)
	v_cmpx_gt_i32_e64 s13, v1
	s_cbranch_execz .LBB145_4
; %bb.1:
	s_clause 0x3
	s_load_b128 s[16:19], s[0:1], 0x8
	s_load_b128 s[8:11], s[0:1], 0x28
	s_load_b32 s22, s[0:1], 0x18
	s_load_b32 s24, s[0:1], 0x38
	s_lshl_b64 s[0:1], s[2:3], 3
	s_waitcnt lgkmcnt(0)
	s_add_u32 s16, s16, s0
	s_addc_u32 s17, s17, s1
	s_add_u32 s0, s8, s0
	s_load_b64 s[16:17], s[16:17], 0x0
	s_addc_u32 s1, s9, s1
	v_mad_i64_i32 v[2:3], null, s22, v1, 0
	s_load_b64 s[20:21], s[0:1], 0x0
	v_mad_i64_i32 v[4:5], null, s24, v1, 0
	s_lshl_b32 s1, s12, 9
	s_lshl_b64 s[8:9], s[18:19], 1
	v_add_nc_u32_e32 v6, s1, v1
	s_delay_alu instid0(VALU_DEP_3) | instskip(SKIP_2) | instid1(VALU_DEP_3)
	v_lshlrev_b64 v[1:2], 1, v[2:3]
	s_mul_hi_i32 s19, s22, s1
	s_mul_i32 s18, s22, s1
	v_lshlrev_b64 v[3:4], 1, v[4:5]
	v_mov_b32_e32 v5, 0
	s_mul_hi_i32 s23, s24, s1
	s_mul_i32 s22, s24, s1
	s_waitcnt lgkmcnt(0)
	s_add_u32 s0, s16, s8
	s_addc_u32 s16, s17, s9
	s_lshl_b64 s[10:11], s[10:11], 1
	s_lshl_b64 s[8:9], s[18:19], 1
	v_add_co_u32 v1, vcc_lo, s0, v1
	s_add_u32 s0, s20, s10
	v_add_co_ci_u32_e32 v2, vcc_lo, s16, v2, vcc_lo
	s_addc_u32 s10, s21, s11
	v_add_co_u32 v3, vcc_lo, s0, v3
	v_add_co_ci_u32_e32 v4, vcc_lo, s10, v4, vcc_lo
	s_lshl_b64 s[10:11], s[22:23], 1
	s_mov_b32 s16, s3
	s_mov_b32 s17, s3
	.p2align	6
.LBB145_2:                              ; =>This Inner Loop Header: Depth=1
	global_load_u16 v7, v[3:4], off
	global_load_u16 v8, v[1:2], off
	v_add_co_u32 v1, s0, v1, s8
	s_delay_alu instid0(VALU_DEP_1)
	v_add_co_ci_u32_e64 v2, s0, s9, v2, s0
	s_add_i32 s18, s17, 1
	v_cmp_le_i32_e32 vcc_lo, s13, v6
	v_add_co_u32 v3, s0, v3, s10
	s_cmp_gt_u32 s17, 6
	v_add_co_ci_u32_e64 v4, s0, s11, v4, s0
	s_cselect_b32 s0, -1, 0
	v_add_nc_u32_e32 v6, s1, v6
	s_or_b32 s0, s0, vcc_lo
	s_mov_b32 s17, s18
	s_and_b32 s0, exec_lo, s0
	s_delay_alu instid0(SALU_CYCLE_1)
	s_or_b32 s16, s0, s16
	s_waitcnt vmcnt(0)
	v_fmac_f16_e32 v5, v7, v8
	s_and_not1_b32 exec_lo, exec_lo, s16
	s_cbranch_execnz .LBB145_2
; %bb.3:
	s_or_b32 exec_lo, exec_lo, s16
.LBB145_4:
	s_delay_alu instid0(SALU_CYCLE_1) | instskip(SKIP_2) | instid1(VALU_DEP_2)
	s_or_b32 exec_lo, exec_lo, s15
	v_and_b32_e32 v2, 31, v0
	v_cmp_gt_u32_e32 vcc_lo, 32, v0
	v_lshlrev_b32_e32 v1, 1, v2
	s_and_saveexec_b32 s0, vcc_lo
	s_cbranch_execz .LBB145_6
; %bb.5:
	v_mov_b32_e32 v3, 0
	ds_store_b16 v1, v3
.LBB145_6:
	s_or_b32 exec_lo, exec_lo, s0
	v_mbcnt_lo_u32_b32 v6, -1, 0
	v_and_b32_e32 v4, 0xffff, v5
	s_mov_b32 s1, exec_lo
	s_waitcnt lgkmcnt(0)
	s_barrier
	v_cmp_gt_u32_e64 s0, 16, v6
	buffer_gl0_inv
	v_cndmask_b32_e64 v3, 0, 1, s0
	v_cmp_gt_u32_e64 s0, 24, v6
	s_delay_alu instid0(VALU_DEP_2) | instskip(NEXT) | instid1(VALU_DEP_1)
	v_lshlrev_b32_e32 v3, 4, v3
	v_add_lshl_u32 v3, v3, v6, 2
	ds_bpermute_b32 v4, v3, v4
	v_cndmask_b32_e64 v3, 0, 1, s0
	v_cmp_gt_u32_e64 s0, 28, v6
	s_delay_alu instid0(VALU_DEP_2) | instskip(NEXT) | instid1(VALU_DEP_1)
	v_lshlrev_b32_e32 v3, 3, v3
	v_add_lshl_u32 v3, v3, v6, 2
	s_waitcnt lgkmcnt(0)
	v_add_f16_e32 v5, v5, v4
	s_delay_alu instid0(VALU_DEP_1) | instskip(NEXT) | instid1(VALU_DEP_1)
	v_and_b32_e32 v7, 0xffff, v5
	v_and_or_b32 v4, 0xffff0000, v4, v7
	ds_bpermute_b32 v7, v3, v4
	v_cndmask_b32_e64 v4, 0, 1, s0
	v_cmp_gt_u32_e64 s0, 30, v6
	s_delay_alu instid0(VALU_DEP_2) | instskip(NEXT) | instid1(VALU_DEP_1)
	v_lshlrev_b32_e32 v4, 2, v4
	v_add_lshl_u32 v4, v4, v6, 2
	s_waitcnt lgkmcnt(0)
	v_add_f16_e32 v5, v5, v7
	s_delay_alu instid0(VALU_DEP_1) | instskip(NEXT) | instid1(VALU_DEP_1)
	v_and_b32_e32 v8, 0xffff, v5
	v_and_or_b32 v7, 0xffff0000, v7, v8
	v_cndmask_b32_e64 v8, 0, 1, s0
	v_cmp_ne_u32_e64 s0, 31, v6
	ds_bpermute_b32 v7, v4, v7
	s_waitcnt lgkmcnt(0)
	v_add_f16_e32 v9, v5, v7
	v_lshlrev_b32_e32 v5, 1, v8
	s_delay_alu instid0(VALU_DEP_2) | instskip(NEXT) | instid1(VALU_DEP_2)
	v_and_b32_e32 v8, 0xffff, v9
	v_add_lshl_u32 v5, v5, v6, 2
	v_add_co_ci_u32_e64 v6, s0, 0, v6, s0
	s_delay_alu instid0(VALU_DEP_3) | instskip(NEXT) | instid1(VALU_DEP_2)
	v_and_or_b32 v7, 0xffff0000, v7, v8
	v_lshlrev_b32_e32 v6, 2, v6
	ds_bpermute_b32 v8, v5, v7
	s_waitcnt lgkmcnt(0)
	v_add_f16_e32 v7, v9, v8
	s_delay_alu instid0(VALU_DEP_1) | instskip(NEXT) | instid1(VALU_DEP_1)
	v_and_b32_e32 v9, 0xffff, v7
	v_and_or_b32 v8, 0xffff0000, v8, v9
	ds_bpermute_b32 v8, v6, v8
	v_cmpx_eq_u32_e32 0, v2
	s_cbranch_execz .LBB145_8
; %bb.7:
	v_lshrrev_b32_e32 v2, 4, v0
	s_waitcnt lgkmcnt(0)
	v_add_f16_e32 v7, v7, v8
	s_delay_alu instid0(VALU_DEP_2)
	v_and_b32_e32 v2, 30, v2
	ds_store_b16 v2, v7
.LBB145_8:
	s_or_b32 exec_lo, exec_lo, s1
	v_mov_b32_e32 v2, 0
	s_mov_b32 s1, exec_lo
	s_waitcnt lgkmcnt(0)
	s_barrier
	buffer_gl0_inv
	v_cmpx_gt_u32_e32 16, v0
	s_cbranch_execz .LBB145_10
; %bb.9:
	ds_load_u16 v2, v1
.LBB145_10:
	s_or_b32 exec_lo, exec_lo, s1
	s_and_saveexec_b32 s0, vcc_lo
	s_cbranch_execz .LBB145_12
; %bb.11:
	s_waitcnt lgkmcnt(0)
	v_and_b32_e32 v1, 0xffff, v2
	ds_bpermute_b32 v1, v3, v1
	s_waitcnt lgkmcnt(0)
	v_add_f16_e32 v2, v2, v1
	s_delay_alu instid0(VALU_DEP_1) | instskip(NEXT) | instid1(VALU_DEP_1)
	v_and_b32_e32 v3, 0xffff, v2
	v_and_or_b32 v1, 0xffff0000, v1, v3
	ds_bpermute_b32 v1, v4, v1
	s_waitcnt lgkmcnt(0)
	v_add_f16_e32 v2, v2, v1
	s_delay_alu instid0(VALU_DEP_1) | instskip(NEXT) | instid1(VALU_DEP_1)
	v_and_b32_e32 v3, 0xffff, v2
	v_and_or_b32 v1, 0xffff0000, v1, v3
	;; [unrolled: 6-line block ×3, first 2 shown]
	ds_bpermute_b32 v1, v6, v1
	s_waitcnt lgkmcnt(0)
	v_add_f16_e32 v2, v2, v1
.LBB145_12:
	s_or_b32 exec_lo, exec_lo, s0
	s_delay_alu instid0(SALU_CYCLE_1)
	s_mov_b32 s0, exec_lo
	v_cmpx_eq_u32_e32 0, v0
	s_cbranch_execz .LBB145_18
; %bb.13:
	s_cmp_lg_u32 s12, 1
	s_cbranch_scc0 .LBB145_15
; %bb.14:
	s_mul_hi_u32 s1, s12, s2
	s_mul_i32 s0, s12, s2
	s_mov_b32 s15, 0
	s_lshl_b64 s[0:1], s[0:1], 1
	s_delay_alu instid0(SALU_CYCLE_1) | instskip(SKIP_2) | instid1(SALU_CYCLE_1)
	s_add_u32 s4, s4, s0
	s_addc_u32 s5, s5, s1
	s_lshl_b64 s[0:1], s[14:15], 1
	s_add_u32 s0, s4, s0
	s_addc_u32 s1, s5, s1
	s_cbranch_execz .LBB145_16
	s_branch .LBB145_17
.LBB145_15:
                                        ; implicit-def: $sgpr0_sgpr1
.LBB145_16:
	s_lshl_b64 s[0:1], s[2:3], 1
	s_delay_alu instid0(SALU_CYCLE_1)
	s_add_u32 s0, s6, s0
	s_addc_u32 s1, s7, s1
.LBB145_17:
	v_mov_b32_e32 v0, 0
	s_waitcnt lgkmcnt(0)
	global_store_b16 v0, v2, s[0:1]
.LBB145_18:
	s_nop 0
	s_sendmsg sendmsg(MSG_DEALLOC_VGPRS)
	s_endpgm
	.section	.rodata,"a",@progbits
	.p2align	6, 0x0
	.amdhsa_kernel _ZL18rocblas_dot_kernelIiLb0ELi512ELi8ELb0EDF16_PKPKDF16_DF16_EviT5_lT_lS4_lS5_liPT6_PT4_
		.amdhsa_group_segment_fixed_size 64
		.amdhsa_private_segment_fixed_size 0
		.amdhsa_kernarg_size 352
		.amdhsa_user_sgpr_count 14
		.amdhsa_user_sgpr_dispatch_ptr 0
		.amdhsa_user_sgpr_queue_ptr 0
		.amdhsa_user_sgpr_kernarg_segment_ptr 1
		.amdhsa_user_sgpr_dispatch_id 0
		.amdhsa_user_sgpr_private_segment_size 0
		.amdhsa_wavefront_size32 1
		.amdhsa_uses_dynamic_stack 0
		.amdhsa_enable_private_segment 0
		.amdhsa_system_sgpr_workgroup_id_x 1
		.amdhsa_system_sgpr_workgroup_id_y 0
		.amdhsa_system_sgpr_workgroup_id_z 1
		.amdhsa_system_sgpr_workgroup_info 0
		.amdhsa_system_vgpr_workitem_id 0
		.amdhsa_next_free_vgpr 10
		.amdhsa_next_free_sgpr 25
		.amdhsa_reserve_vcc 1
		.amdhsa_float_round_mode_32 0
		.amdhsa_float_round_mode_16_64 0
		.amdhsa_float_denorm_mode_32 3
		.amdhsa_float_denorm_mode_16_64 3
		.amdhsa_dx10_clamp 1
		.amdhsa_ieee_mode 1
		.amdhsa_fp16_overflow 0
		.amdhsa_workgroup_processor_mode 1
		.amdhsa_memory_ordered 1
		.amdhsa_forward_progress 0
		.amdhsa_shared_vgpr_count 0
		.amdhsa_exception_fp_ieee_invalid_op 0
		.amdhsa_exception_fp_denorm_src 0
		.amdhsa_exception_fp_ieee_div_zero 0
		.amdhsa_exception_fp_ieee_overflow 0
		.amdhsa_exception_fp_ieee_underflow 0
		.amdhsa_exception_fp_ieee_inexact 0
		.amdhsa_exception_int_div_zero 0
	.end_amdhsa_kernel
	.section	.text._ZL18rocblas_dot_kernelIiLb0ELi512ELi8ELb0EDF16_PKPKDF16_DF16_EviT5_lT_lS4_lS5_liPT6_PT4_,"axG",@progbits,_ZL18rocblas_dot_kernelIiLb0ELi512ELi8ELb0EDF16_PKPKDF16_DF16_EviT5_lT_lS4_lS5_liPT6_PT4_,comdat
.Lfunc_end145:
	.size	_ZL18rocblas_dot_kernelIiLb0ELi512ELi8ELb0EDF16_PKPKDF16_DF16_EviT5_lT_lS4_lS5_liPT6_PT4_, .Lfunc_end145-_ZL18rocblas_dot_kernelIiLb0ELi512ELi8ELb0EDF16_PKPKDF16_DF16_EviT5_lT_lS4_lS5_liPT6_PT4_
                                        ; -- End function
	.section	.AMDGPU.csdata,"",@progbits
; Kernel info:
; codeLenInByte = 1144
; NumSgprs: 27
; NumVgprs: 10
; ScratchSize: 0
; MemoryBound: 0
; FloatMode: 240
; IeeeMode: 1
; LDSByteSize: 64 bytes/workgroup (compile time only)
; SGPRBlocks: 3
; VGPRBlocks: 1
; NumSGPRsForWavesPerEU: 27
; NumVGPRsForWavesPerEU: 10
; Occupancy: 16
; WaveLimiterHint : 0
; COMPUTE_PGM_RSRC2:SCRATCH_EN: 0
; COMPUTE_PGM_RSRC2:USER_SGPR: 14
; COMPUTE_PGM_RSRC2:TRAP_HANDLER: 0
; COMPUTE_PGM_RSRC2:TGID_X_EN: 1
; COMPUTE_PGM_RSRC2:TGID_Y_EN: 0
; COMPUTE_PGM_RSRC2:TGID_Z_EN: 1
; COMPUTE_PGM_RSRC2:TIDIG_COMP_CNT: 0
	.section	.text._ZL24rocblas_dot_kernel_magsqIiLb0ELi512ELi8ELb0EDF16_PKPKDF16_DF16_EviT5_lT_liPT6_PT4_,"axG",@progbits,_ZL24rocblas_dot_kernel_magsqIiLb0ELi512ELi8ELb0EDF16_PKPKDF16_DF16_EviT5_lT_liPT6_PT4_,comdat
	.globl	_ZL24rocblas_dot_kernel_magsqIiLb0ELi512ELi8ELb0EDF16_PKPKDF16_DF16_EviT5_lT_liPT6_PT4_ ; -- Begin function _ZL24rocblas_dot_kernel_magsqIiLb0ELi512ELi8ELb0EDF16_PKPKDF16_DF16_EviT5_lT_liPT6_PT4_
	.p2align	8
	.type	_ZL24rocblas_dot_kernel_magsqIiLb0ELi512ELi8ELb0EDF16_PKPKDF16_DF16_EviT5_lT_liPT6_PT4_,@function
_ZL24rocblas_dot_kernel_magsqIiLb0ELi512ELi8ELb0EDF16_PKPKDF16_DF16_EviT5_lT_liPT6_PT4_: ; @_ZL24rocblas_dot_kernel_magsqIiLb0ELi512ELi8ELb0EDF16_PKPKDF16_DF16_EviT5_lT_liPT6_PT4_
; %bb.0:
	s_clause 0x2
	s_load_b32 s11, s[0:1], 0x0
	s_load_b128 s[4:7], s[0:1], 0x30
	s_load_b32 s10, s[0:1], 0x40
	v_lshl_or_b32 v1, s14, 9, v0
	v_mov_b32_e32 v3, 0
	s_mov_b32 s2, s15
	s_mov_b32 s3, 0
	s_mov_b32 s12, exec_lo
	s_waitcnt lgkmcnt(0)
	v_cmpx_gt_i32_e64 s11, v1
	s_cbranch_execz .LBB146_4
; %bb.1:
	s_clause 0x1
	s_load_b128 s[16:19], s[0:1], 0x8
	s_load_b32 s13, s[0:1], 0x18
	s_lshl_b64 s[0:1], s[2:3], 3
	s_mov_b32 s15, s3
	s_waitcnt lgkmcnt(0)
	s_add_u32 s0, s16, s0
	s_addc_u32 s1, s17, s1
	v_mad_i64_i32 v[2:3], null, s13, v1, 0
	s_load_b64 s[8:9], s[0:1], 0x0
	s_lshl_b32 s1, s10, 9
	s_lshl_b64 s[16:17], s[18:19], 1
	v_add_nc_u32_e32 v4, s1, v1
	s_mul_hi_i32 s19, s13, s1
	s_mul_i32 s18, s13, s1
	s_delay_alu instid0(VALU_DEP_2)
	v_lshlrev_b64 v[1:2], 1, v[2:3]
	v_mov_b32_e32 v3, 0
	s_mov_b32 s13, s3
	s_waitcnt lgkmcnt(0)
	s_add_u32 s0, s8, s16
	s_addc_u32 s8, s9, s17
	v_add_co_u32 v1, vcc_lo, s0, v1
	v_add_co_ci_u32_e32 v2, vcc_lo, s8, v2, vcc_lo
	s_lshl_b64 s[8:9], s[18:19], 1
	.p2align	6
.LBB146_2:                              ; =>This Inner Loop Header: Depth=1
	global_load_u16 v5, v[1:2], off
	s_add_i32 s16, s15, 1
	v_cmp_le_i32_e32 vcc_lo, s11, v4
	v_add_co_u32 v1, s0, v1, s8
	s_cmp_gt_u32 s15, 6
	v_add_co_ci_u32_e64 v2, s0, s9, v2, s0
	s_cselect_b32 s0, -1, 0
	v_add_nc_u32_e32 v4, s1, v4
	s_or_b32 s0, s0, vcc_lo
	s_mov_b32 s15, s16
	s_and_b32 s0, exec_lo, s0
	s_delay_alu instid0(SALU_CYCLE_1)
	s_or_b32 s13, s0, s13
	s_waitcnt vmcnt(0)
	v_fmac_f16_e32 v3, v5, v5
	s_and_not1_b32 exec_lo, exec_lo, s13
	s_cbranch_execnz .LBB146_2
; %bb.3:
	s_or_b32 exec_lo, exec_lo, s13
.LBB146_4:
	s_delay_alu instid0(SALU_CYCLE_1) | instskip(SKIP_2) | instid1(VALU_DEP_2)
	s_or_b32 exec_lo, exec_lo, s12
	v_and_b32_e32 v2, 31, v0
	v_cmp_gt_u32_e32 vcc_lo, 32, v0
	v_lshlrev_b32_e32 v1, 1, v2
	s_and_saveexec_b32 s0, vcc_lo
	s_cbranch_execz .LBB146_6
; %bb.5:
	v_mov_b32_e32 v4, 0
	ds_store_b16 v1, v4
.LBB146_6:
	s_or_b32 exec_lo, exec_lo, s0
	v_mbcnt_lo_u32_b32 v6, -1, 0
	v_and_b32_e32 v5, 0xffff, v3
	s_mov_b32 s1, exec_lo
	s_waitcnt lgkmcnt(0)
	s_barrier
	v_cmp_gt_u32_e64 s0, 16, v6
	buffer_gl0_inv
	v_cndmask_b32_e64 v4, 0, 1, s0
	v_cmp_gt_u32_e64 s0, 24, v6
	s_delay_alu instid0(VALU_DEP_2) | instskip(NEXT) | instid1(VALU_DEP_1)
	v_lshlrev_b32_e32 v4, 4, v4
	v_add_lshl_u32 v4, v4, v6, 2
	ds_bpermute_b32 v4, v4, v5
	v_cndmask_b32_e64 v5, 0, 1, s0
	v_cmp_gt_u32_e64 s0, 28, v6
	s_waitcnt lgkmcnt(0)
	v_add_f16_e32 v7, v3, v4
	s_delay_alu instid0(VALU_DEP_3) | instskip(NEXT) | instid1(VALU_DEP_2)
	v_lshlrev_b32_e32 v3, 3, v5
	v_and_b32_e32 v5, 0xffff, v7
	s_delay_alu instid0(VALU_DEP_2) | instskip(NEXT) | instid1(VALU_DEP_2)
	v_add_lshl_u32 v3, v3, v6, 2
	v_and_or_b32 v4, 0xffff0000, v4, v5
	ds_bpermute_b32 v5, v3, v4
	v_cndmask_b32_e64 v4, 0, 1, s0
	v_cmp_gt_u32_e64 s0, 30, v6
	s_delay_alu instid0(VALU_DEP_2) | instskip(NEXT) | instid1(VALU_DEP_1)
	v_lshlrev_b32_e32 v4, 2, v4
	v_add_lshl_u32 v4, v4, v6, 2
	s_waitcnt lgkmcnt(0)
	v_add_f16_e32 v7, v7, v5
	s_delay_alu instid0(VALU_DEP_1) | instskip(NEXT) | instid1(VALU_DEP_1)
	v_and_b32_e32 v8, 0xffff, v7
	v_and_or_b32 v5, 0xffff0000, v5, v8
	ds_bpermute_b32 v8, v4, v5
	v_cndmask_b32_e64 v5, 0, 1, s0
	v_cmp_ne_u32_e64 s0, 31, v6
	s_delay_alu instid0(VALU_DEP_2) | instskip(NEXT) | instid1(VALU_DEP_1)
	v_lshlrev_b32_e32 v5, 1, v5
	v_add_lshl_u32 v5, v5, v6, 2
	s_delay_alu instid0(VALU_DEP_3) | instskip(NEXT) | instid1(VALU_DEP_1)
	v_add_co_ci_u32_e64 v6, s0, 0, v6, s0
	v_lshlrev_b32_e32 v6, 2, v6
	s_waitcnt lgkmcnt(0)
	v_add_f16_e32 v7, v7, v8
	s_delay_alu instid0(VALU_DEP_1) | instskip(NEXT) | instid1(VALU_DEP_1)
	v_and_b32_e32 v9, 0xffff, v7
	v_and_or_b32 v8, 0xffff0000, v8, v9
	ds_bpermute_b32 v8, v5, v8
	s_waitcnt lgkmcnt(0)
	v_add_f16_e32 v7, v7, v8
	s_delay_alu instid0(VALU_DEP_1) | instskip(NEXT) | instid1(VALU_DEP_1)
	v_and_b32_e32 v9, 0xffff, v7
	v_and_or_b32 v8, 0xffff0000, v8, v9
	ds_bpermute_b32 v8, v6, v8
	v_cmpx_eq_u32_e32 0, v2
	s_cbranch_execz .LBB146_8
; %bb.7:
	v_lshrrev_b32_e32 v2, 4, v0
	s_waitcnt lgkmcnt(0)
	v_add_f16_e32 v7, v7, v8
	s_delay_alu instid0(VALU_DEP_2)
	v_and_b32_e32 v2, 30, v2
	ds_store_b16 v2, v7
.LBB146_8:
	s_or_b32 exec_lo, exec_lo, s1
	v_mov_b32_e32 v2, 0
	s_mov_b32 s1, exec_lo
	s_waitcnt lgkmcnt(0)
	s_barrier
	buffer_gl0_inv
	v_cmpx_gt_u32_e32 16, v0
	s_cbranch_execz .LBB146_10
; %bb.9:
	ds_load_u16 v2, v1
.LBB146_10:
	s_or_b32 exec_lo, exec_lo, s1
	s_and_saveexec_b32 s0, vcc_lo
	s_cbranch_execz .LBB146_12
; %bb.11:
	s_waitcnt lgkmcnt(0)
	v_and_b32_e32 v1, 0xffff, v2
	ds_bpermute_b32 v1, v3, v1
	s_waitcnt lgkmcnt(0)
	v_add_f16_e32 v2, v2, v1
	s_delay_alu instid0(VALU_DEP_1) | instskip(NEXT) | instid1(VALU_DEP_1)
	v_and_b32_e32 v3, 0xffff, v2
	v_and_or_b32 v1, 0xffff0000, v1, v3
	ds_bpermute_b32 v1, v4, v1
	s_waitcnt lgkmcnt(0)
	v_add_f16_e32 v2, v2, v1
	s_delay_alu instid0(VALU_DEP_1) | instskip(NEXT) | instid1(VALU_DEP_1)
	v_and_b32_e32 v3, 0xffff, v2
	v_and_or_b32 v1, 0xffff0000, v1, v3
	;; [unrolled: 6-line block ×3, first 2 shown]
	ds_bpermute_b32 v1, v6, v1
	s_waitcnt lgkmcnt(0)
	v_add_f16_e32 v2, v2, v1
.LBB146_12:
	s_or_b32 exec_lo, exec_lo, s0
	s_delay_alu instid0(SALU_CYCLE_1)
	s_mov_b32 s0, exec_lo
	v_cmpx_eq_u32_e32 0, v0
	s_cbranch_execz .LBB146_18
; %bb.13:
	s_cmp_lg_u32 s10, 1
	s_cbranch_scc0 .LBB146_15
; %bb.14:
	s_mul_hi_u32 s1, s10, s2
	s_mul_i32 s0, s10, s2
	s_mov_b32 s15, 0
	s_lshl_b64 s[0:1], s[0:1], 1
	s_delay_alu instid0(SALU_CYCLE_1) | instskip(SKIP_2) | instid1(SALU_CYCLE_1)
	s_add_u32 s4, s4, s0
	s_addc_u32 s5, s5, s1
	s_lshl_b64 s[0:1], s[14:15], 1
	s_add_u32 s0, s4, s0
	s_addc_u32 s1, s5, s1
	s_cbranch_execz .LBB146_16
	s_branch .LBB146_17
.LBB146_15:
                                        ; implicit-def: $sgpr0_sgpr1
.LBB146_16:
	s_lshl_b64 s[0:1], s[2:3], 1
	s_delay_alu instid0(SALU_CYCLE_1)
	s_add_u32 s0, s6, s0
	s_addc_u32 s1, s7, s1
.LBB146_17:
	v_mov_b32_e32 v0, 0
	s_waitcnt lgkmcnt(0)
	global_store_b16 v0, v2, s[0:1]
.LBB146_18:
	s_nop 0
	s_sendmsg sendmsg(MSG_DEALLOC_VGPRS)
	s_endpgm
	.section	.rodata,"a",@progbits
	.p2align	6, 0x0
	.amdhsa_kernel _ZL24rocblas_dot_kernel_magsqIiLb0ELi512ELi8ELb0EDF16_PKPKDF16_DF16_EviT5_lT_liPT6_PT4_
		.amdhsa_group_segment_fixed_size 64
		.amdhsa_private_segment_fixed_size 0
		.amdhsa_kernarg_size 320
		.amdhsa_user_sgpr_count 14
		.amdhsa_user_sgpr_dispatch_ptr 0
		.amdhsa_user_sgpr_queue_ptr 0
		.amdhsa_user_sgpr_kernarg_segment_ptr 1
		.amdhsa_user_sgpr_dispatch_id 0
		.amdhsa_user_sgpr_private_segment_size 0
		.amdhsa_wavefront_size32 1
		.amdhsa_uses_dynamic_stack 0
		.amdhsa_enable_private_segment 0
		.amdhsa_system_sgpr_workgroup_id_x 1
		.amdhsa_system_sgpr_workgroup_id_y 0
		.amdhsa_system_sgpr_workgroup_id_z 1
		.amdhsa_system_sgpr_workgroup_info 0
		.amdhsa_system_vgpr_workitem_id 0
		.amdhsa_next_free_vgpr 10
		.amdhsa_next_free_sgpr 20
		.amdhsa_reserve_vcc 1
		.amdhsa_float_round_mode_32 0
		.amdhsa_float_round_mode_16_64 0
		.amdhsa_float_denorm_mode_32 3
		.amdhsa_float_denorm_mode_16_64 3
		.amdhsa_dx10_clamp 1
		.amdhsa_ieee_mode 1
		.amdhsa_fp16_overflow 0
		.amdhsa_workgroup_processor_mode 1
		.amdhsa_memory_ordered 1
		.amdhsa_forward_progress 0
		.amdhsa_shared_vgpr_count 0
		.amdhsa_exception_fp_ieee_invalid_op 0
		.amdhsa_exception_fp_denorm_src 0
		.amdhsa_exception_fp_ieee_div_zero 0
		.amdhsa_exception_fp_ieee_overflow 0
		.amdhsa_exception_fp_ieee_underflow 0
		.amdhsa_exception_fp_ieee_inexact 0
		.amdhsa_exception_int_div_zero 0
	.end_amdhsa_kernel
	.section	.text._ZL24rocblas_dot_kernel_magsqIiLb0ELi512ELi8ELb0EDF16_PKPKDF16_DF16_EviT5_lT_liPT6_PT4_,"axG",@progbits,_ZL24rocblas_dot_kernel_magsqIiLb0ELi512ELi8ELb0EDF16_PKPKDF16_DF16_EviT5_lT_liPT6_PT4_,comdat
.Lfunc_end146:
	.size	_ZL24rocblas_dot_kernel_magsqIiLb0ELi512ELi8ELb0EDF16_PKPKDF16_DF16_EviT5_lT_liPT6_PT4_, .Lfunc_end146-_ZL24rocblas_dot_kernel_magsqIiLb0ELi512ELi8ELb0EDF16_PKPKDF16_DF16_EviT5_lT_liPT6_PT4_
                                        ; -- End function
	.section	.AMDGPU.csdata,"",@progbits
; Kernel info:
; codeLenInByte = 1036
; NumSgprs: 22
; NumVgprs: 10
; ScratchSize: 0
; MemoryBound: 0
; FloatMode: 240
; IeeeMode: 1
; LDSByteSize: 64 bytes/workgroup (compile time only)
; SGPRBlocks: 2
; VGPRBlocks: 1
; NumSGPRsForWavesPerEU: 22
; NumVGPRsForWavesPerEU: 10
; Occupancy: 16
; WaveLimiterHint : 0
; COMPUTE_PGM_RSRC2:SCRATCH_EN: 0
; COMPUTE_PGM_RSRC2:USER_SGPR: 14
; COMPUTE_PGM_RSRC2:TRAP_HANDLER: 0
; COMPUTE_PGM_RSRC2:TGID_X_EN: 1
; COMPUTE_PGM_RSRC2:TGID_Y_EN: 0
; COMPUTE_PGM_RSRC2:TGID_Z_EN: 1
; COMPUTE_PGM_RSRC2:TIDIG_COMP_CNT: 0
	.section	.text._ZL28rocblas_dot_batched_4_kernelIlLi32ELi4ELb0EDF16_DF16_PKPKDF16_EviT5_lT_lS4_lS5_liPT4_,"axG",@progbits,_ZL28rocblas_dot_batched_4_kernelIlLi32ELi4ELb0EDF16_DF16_PKPKDF16_EviT5_lT_lS4_lS5_liPT4_,comdat
	.globl	_ZL28rocblas_dot_batched_4_kernelIlLi32ELi4ELb0EDF16_DF16_PKPKDF16_EviT5_lT_lS4_lS5_liPT4_ ; -- Begin function _ZL28rocblas_dot_batched_4_kernelIlLi32ELi4ELb0EDF16_DF16_PKPKDF16_EviT5_lT_lS4_lS5_liPT4_
	.p2align	8
	.type	_ZL28rocblas_dot_batched_4_kernelIlLi32ELi4ELb0EDF16_DF16_PKPKDF16_EviT5_lT_lS4_lS5_liPT4_,@function
_ZL28rocblas_dot_batched_4_kernelIlLi32ELi4ELb0EDF16_DF16_PKPKDF16_EviT5_lT_lS4_lS5_liPT4_: ; @_ZL28rocblas_dot_batched_4_kernelIlLi32ELi4ELb0EDF16_DF16_PKPKDF16_EviT5_lT_lS4_lS5_liPT4_
; %bb.0:
	s_load_b32 s2, s[0:1], 0x48
	v_bfe_u32 v1, v0, 10, 10
	s_delay_alu instid0(VALU_DEP_1) | instskip(SKIP_1) | instid1(VALU_DEP_1)
	v_lshl_add_u32 v1, s15, 2, v1
	s_waitcnt lgkmcnt(0)
	v_cmp_gt_u32_e32 vcc_lo, s2, v1
	s_and_saveexec_b32 s2, vcc_lo
	s_cbranch_execz .LBB147_7
; %bb.1:
	s_clause 0x1
	s_load_b32 s10, s[0:1], 0x0
	s_load_b64 s[8:9], s[0:1], 0x50
	v_mov_b32_e32 v2, 0
	v_and_b32_e32 v0, 0x3ff, v0
	s_mov_b32 s11, exec_lo
	s_delay_alu instid0(VALU_DEP_2) | instskip(SKIP_1) | instid1(VALU_DEP_2)
	v_mov_b32_e32 v7, v2
	s_waitcnt lgkmcnt(0)
	v_cmpx_gt_i32_e64 s10, v0
	s_cbranch_execz .LBB147_5
; %bb.2:
	s_clause 0x1
	s_load_b64 s[12:13], s[0:1], 0x8
	s_load_b64 s[14:15], s[0:1], 0x28
	v_lshlrev_b64 v[3:4], 3, v[1:2]
	s_clause 0x1
	s_load_b128 s[4:7], s[0:1], 0x10
	s_load_b128 s[0:3], s[0:1], 0x30
	s_waitcnt lgkmcnt(0)
	s_delay_alu instid0(VALU_DEP_1)
	v_add_co_u32 v5, vcc_lo, s12, v3
	v_add_co_ci_u32_e32 v6, vcc_lo, s13, v4, vcc_lo
	v_add_co_u32 v3, vcc_lo, s14, v3
	v_add_co_ci_u32_e32 v4, vcc_lo, s15, v4, vcc_lo
	v_mad_u64_u32 v[10:11], null, s2, v0, 0
	global_load_b64 v[5:6], v[5:6], off
	global_load_b64 v[8:9], v[3:4], off
	v_mad_u64_u32 v[3:4], null, s6, v0, 0
	s_lshl_b64 s[4:5], s[4:5], 1
	s_lshl_b64 s[0:1], s[0:1], 1
	v_mov_b32_e32 v7, v11
	s_waitcnt vmcnt(1)
	s_delay_alu instid0(VALU_DEP_2) | instskip(SKIP_1) | instid1(VALU_DEP_2)
	v_mad_u64_u32 v[11:12], null, s7, v0, v[4:5]
	s_waitcnt vmcnt(0)
	v_mad_u64_u32 v[12:13], null, s3, v0, v[7:8]
	v_mov_b32_e32 v7, 0
	s_lshl_b64 s[2:3], s[2:3], 6
	s_delay_alu instid0(VALU_DEP_2) | instskip(NEXT) | instid1(VALU_DEP_1)
	v_dual_mov_b32 v4, v11 :: v_dual_mov_b32 v11, v12
	v_lshlrev_b64 v[3:4], 1, v[3:4]
	s_delay_alu instid0(VALU_DEP_2) | instskip(NEXT) | instid1(VALU_DEP_2)
	v_lshlrev_b64 v[10:11], 1, v[10:11]
	v_add_co_u32 v3, vcc_lo, v3, s4
	s_delay_alu instid0(VALU_DEP_3) | instskip(NEXT) | instid1(VALU_DEP_3)
	v_add_co_ci_u32_e32 v4, vcc_lo, s5, v4, vcc_lo
	v_add_co_u32 v10, vcc_lo, v10, s0
	s_delay_alu instid0(VALU_DEP_4) | instskip(NEXT) | instid1(VALU_DEP_4)
	v_add_co_ci_u32_e32 v11, vcc_lo, s1, v11, vcc_lo
	v_add_co_u32 v3, vcc_lo, v5, v3
	s_delay_alu instid0(VALU_DEP_4) | instskip(NEXT) | instid1(VALU_DEP_4)
	v_add_co_ci_u32_e32 v4, vcc_lo, v6, v4, vcc_lo
	v_add_co_u32 v5, vcc_lo, v8, v10
	s_delay_alu instid0(VALU_DEP_4)
	v_add_co_ci_u32_e32 v6, vcc_lo, v9, v11, vcc_lo
	v_mov_b32_e32 v8, v0
	s_lshl_b64 s[4:5], s[6:7], 6
	s_mov_b32 s1, 0
	.p2align	6
.LBB147_3:                              ; =>This Inner Loop Header: Depth=1
	global_load_u16 v9, v[3:4], off
	global_load_u16 v10, v[5:6], off
	v_add_nc_u32_e32 v8, 32, v8
	v_add_co_u32 v3, vcc_lo, v3, s4
	v_add_co_ci_u32_e32 v4, vcc_lo, s5, v4, vcc_lo
	v_add_co_u32 v5, vcc_lo, v5, s2
	s_delay_alu instid0(VALU_DEP_4) | instskip(SKIP_1) | instid1(VALU_DEP_2)
	v_cmp_le_i32_e64 s0, s10, v8
	v_add_co_ci_u32_e32 v6, vcc_lo, s3, v6, vcc_lo
	s_or_b32 s1, s0, s1
	s_waitcnt vmcnt(0)
	v_fmac_f16_e32 v7, v9, v10
	s_and_not1_b32 exec_lo, exec_lo, s1
	s_cbranch_execnz .LBB147_3
; %bb.4:
	s_or_b32 exec_lo, exec_lo, s1
.LBB147_5:
	s_delay_alu instid0(SALU_CYCLE_1)
	s_or_b32 exec_lo, exec_lo, s11
	v_mbcnt_lo_u32_b32 v4, -1, 0
	v_and_b32_e32 v5, 0xffff, v7
	s_barrier
	buffer_gl0_inv
	v_cmp_gt_u32_e32 vcc_lo, 16, v4
	v_cndmask_b32_e64 v3, 0, 1, vcc_lo
	v_cmp_gt_u32_e32 vcc_lo, 24, v4
	s_delay_alu instid0(VALU_DEP_2) | instskip(NEXT) | instid1(VALU_DEP_1)
	v_lshlrev_b32_e32 v3, 4, v3
	v_add_lshl_u32 v3, v3, v4, 2
	ds_bpermute_b32 v3, v3, v5
	v_cndmask_b32_e64 v5, 0, 1, vcc_lo
	v_cmp_gt_u32_e32 vcc_lo, 28, v4
	s_delay_alu instid0(VALU_DEP_2) | instskip(NEXT) | instid1(VALU_DEP_1)
	v_lshlrev_b32_e32 v5, 3, v5
	v_add_lshl_u32 v5, v5, v4, 2
	s_waitcnt lgkmcnt(0)
	v_add_f16_e32 v6, v7, v3
	s_delay_alu instid0(VALU_DEP_1) | instskip(NEXT) | instid1(VALU_DEP_1)
	v_and_b32_e32 v7, 0xffff, v6
	v_and_or_b32 v3, 0xffff0000, v3, v7
	ds_bpermute_b32 v3, v5, v3
	v_cndmask_b32_e64 v5, 0, 1, vcc_lo
	v_cmp_gt_u32_e32 vcc_lo, 30, v4
	s_delay_alu instid0(VALU_DEP_2) | instskip(NEXT) | instid1(VALU_DEP_1)
	v_lshlrev_b32_e32 v5, 2, v5
	v_add_lshl_u32 v5, v5, v4, 2
	s_waitcnt lgkmcnt(0)
	v_add_f16_e32 v6, v6, v3
	s_delay_alu instid0(VALU_DEP_1) | instskip(NEXT) | instid1(VALU_DEP_1)
	v_and_b32_e32 v7, 0xffff, v6
	v_and_or_b32 v3, 0xffff0000, v3, v7
	ds_bpermute_b32 v3, v5, v3
	v_cndmask_b32_e64 v5, 0, 1, vcc_lo
	v_cmp_ne_u32_e32 vcc_lo, 31, v4
	s_delay_alu instid0(VALU_DEP_2) | instskip(NEXT) | instid1(VALU_DEP_1)
	v_lshlrev_b32_e32 v5, 1, v5
	v_add_lshl_u32 v5, v5, v4, 2
	v_add_co_ci_u32_e32 v4, vcc_lo, 0, v4, vcc_lo
	v_cmp_eq_u32_e32 vcc_lo, 0, v0
	s_delay_alu instid0(VALU_DEP_2) | instskip(SKIP_2) | instid1(VALU_DEP_1)
	v_lshlrev_b32_e32 v4, 2, v4
	s_waitcnt lgkmcnt(0)
	v_add_f16_e32 v6, v6, v3
	v_and_b32_e32 v7, 0xffff, v6
	s_delay_alu instid0(VALU_DEP_1) | instskip(SKIP_3) | instid1(VALU_DEP_1)
	v_and_or_b32 v3, 0xffff0000, v3, v7
	ds_bpermute_b32 v5, v5, v3
	s_waitcnt lgkmcnt(0)
	v_add_f16_e32 v3, v6, v5
	v_and_b32_e32 v6, 0xffff, v3
	s_delay_alu instid0(VALU_DEP_1)
	v_and_or_b32 v5, 0xffff0000, v5, v6
	ds_bpermute_b32 v4, v4, v5
	s_and_b32 exec_lo, exec_lo, vcc_lo
	s_cbranch_execz .LBB147_7
; %bb.6:
	v_lshlrev_b64 v[0:1], 1, v[1:2]
	s_waitcnt lgkmcnt(0)
	v_add_f16_e32 v2, v3, v4
	s_delay_alu instid0(VALU_DEP_2) | instskip(NEXT) | instid1(VALU_DEP_3)
	v_add_co_u32 v0, vcc_lo, s8, v0
	v_add_co_ci_u32_e32 v1, vcc_lo, s9, v1, vcc_lo
	global_store_b16 v[0:1], v2, off
.LBB147_7:
	s_nop 0
	s_sendmsg sendmsg(MSG_DEALLOC_VGPRS)
	s_endpgm
	.section	.rodata,"a",@progbits
	.p2align	6, 0x0
	.amdhsa_kernel _ZL28rocblas_dot_batched_4_kernelIlLi32ELi4ELb0EDF16_DF16_PKPKDF16_EviT5_lT_lS4_lS5_liPT4_
		.amdhsa_group_segment_fixed_size 0
		.amdhsa_private_segment_fixed_size 0
		.amdhsa_kernarg_size 88
		.amdhsa_user_sgpr_count 15
		.amdhsa_user_sgpr_dispatch_ptr 0
		.amdhsa_user_sgpr_queue_ptr 0
		.amdhsa_user_sgpr_kernarg_segment_ptr 1
		.amdhsa_user_sgpr_dispatch_id 0
		.amdhsa_user_sgpr_private_segment_size 0
		.amdhsa_wavefront_size32 1
		.amdhsa_uses_dynamic_stack 0
		.amdhsa_enable_private_segment 0
		.amdhsa_system_sgpr_workgroup_id_x 1
		.amdhsa_system_sgpr_workgroup_id_y 0
		.amdhsa_system_sgpr_workgroup_id_z 0
		.amdhsa_system_sgpr_workgroup_info 0
		.amdhsa_system_vgpr_workitem_id 1
		.amdhsa_next_free_vgpr 14
		.amdhsa_next_free_sgpr 16
		.amdhsa_reserve_vcc 1
		.amdhsa_float_round_mode_32 0
		.amdhsa_float_round_mode_16_64 0
		.amdhsa_float_denorm_mode_32 3
		.amdhsa_float_denorm_mode_16_64 3
		.amdhsa_dx10_clamp 1
		.amdhsa_ieee_mode 1
		.amdhsa_fp16_overflow 0
		.amdhsa_workgroup_processor_mode 1
		.amdhsa_memory_ordered 1
		.amdhsa_forward_progress 0
		.amdhsa_shared_vgpr_count 0
		.amdhsa_exception_fp_ieee_invalid_op 0
		.amdhsa_exception_fp_denorm_src 0
		.amdhsa_exception_fp_ieee_div_zero 0
		.amdhsa_exception_fp_ieee_overflow 0
		.amdhsa_exception_fp_ieee_underflow 0
		.amdhsa_exception_fp_ieee_inexact 0
		.amdhsa_exception_int_div_zero 0
	.end_amdhsa_kernel
	.section	.text._ZL28rocblas_dot_batched_4_kernelIlLi32ELi4ELb0EDF16_DF16_PKPKDF16_EviT5_lT_lS4_lS5_liPT4_,"axG",@progbits,_ZL28rocblas_dot_batched_4_kernelIlLi32ELi4ELb0EDF16_DF16_PKPKDF16_EviT5_lT_lS4_lS5_liPT4_,comdat
.Lfunc_end147:
	.size	_ZL28rocblas_dot_batched_4_kernelIlLi32ELi4ELb0EDF16_DF16_PKPKDF16_EviT5_lT_lS4_lS5_liPT4_, .Lfunc_end147-_ZL28rocblas_dot_batched_4_kernelIlLi32ELi4ELb0EDF16_DF16_PKPKDF16_EviT5_lT_lS4_lS5_liPT4_
                                        ; -- End function
	.section	.AMDGPU.csdata,"",@progbits
; Kernel info:
; codeLenInByte = 848
; NumSgprs: 18
; NumVgprs: 14
; ScratchSize: 0
; MemoryBound: 0
; FloatMode: 240
; IeeeMode: 1
; LDSByteSize: 0 bytes/workgroup (compile time only)
; SGPRBlocks: 2
; VGPRBlocks: 1
; NumSGPRsForWavesPerEU: 18
; NumVGPRsForWavesPerEU: 14
; Occupancy: 16
; WaveLimiterHint : 0
; COMPUTE_PGM_RSRC2:SCRATCH_EN: 0
; COMPUTE_PGM_RSRC2:USER_SGPR: 15
; COMPUTE_PGM_RSRC2:TRAP_HANDLER: 0
; COMPUTE_PGM_RSRC2:TGID_X_EN: 1
; COMPUTE_PGM_RSRC2:TGID_Y_EN: 0
; COMPUTE_PGM_RSRC2:TGID_Z_EN: 0
; COMPUTE_PGM_RSRC2:TIDIG_COMP_CNT: 1
	.section	.text._ZL28rocblas_dot_batched_4_kernelIlLi64ELi4ELb0EDF16_DF16_PKPKDF16_EviT5_lT_lS4_lS5_liPT4_,"axG",@progbits,_ZL28rocblas_dot_batched_4_kernelIlLi64ELi4ELb0EDF16_DF16_PKPKDF16_EviT5_lT_lS4_lS5_liPT4_,comdat
	.globl	_ZL28rocblas_dot_batched_4_kernelIlLi64ELi4ELb0EDF16_DF16_PKPKDF16_EviT5_lT_lS4_lS5_liPT4_ ; -- Begin function _ZL28rocblas_dot_batched_4_kernelIlLi64ELi4ELb0EDF16_DF16_PKPKDF16_EviT5_lT_lS4_lS5_liPT4_
	.p2align	8
	.type	_ZL28rocblas_dot_batched_4_kernelIlLi64ELi4ELb0EDF16_DF16_PKPKDF16_EviT5_lT_lS4_lS5_liPT4_,@function
_ZL28rocblas_dot_batched_4_kernelIlLi64ELi4ELb0EDF16_DF16_PKPKDF16_EviT5_lT_lS4_lS5_liPT4_: ; @_ZL28rocblas_dot_batched_4_kernelIlLi64ELi4ELb0EDF16_DF16_PKPKDF16_EviT5_lT_lS4_lS5_liPT4_
; %bb.0:
	s_load_b32 s2, s[0:1], 0x48
	v_bfe_u32 v1, v0, 10, 10
	s_delay_alu instid0(VALU_DEP_1) | instskip(SKIP_1) | instid1(VALU_DEP_1)
	v_lshl_add_u32 v1, s15, 2, v1
	s_waitcnt lgkmcnt(0)
	v_cmp_gt_u32_e32 vcc_lo, s2, v1
	s_and_saveexec_b32 s2, vcc_lo
	s_cbranch_execz .LBB148_7
; %bb.1:
	s_clause 0x1
	s_load_b32 s10, s[0:1], 0x0
	s_load_b64 s[8:9], s[0:1], 0x50
	v_mov_b32_e32 v2, 0
	v_and_b32_e32 v0, 0x3ff, v0
	s_mov_b32 s11, exec_lo
	s_delay_alu instid0(VALU_DEP_2) | instskip(SKIP_1) | instid1(VALU_DEP_2)
	v_mov_b32_e32 v7, v2
	s_waitcnt lgkmcnt(0)
	v_cmpx_gt_i32_e64 s10, v0
	s_cbranch_execz .LBB148_5
; %bb.2:
	s_clause 0x1
	s_load_b64 s[12:13], s[0:1], 0x8
	s_load_b64 s[14:15], s[0:1], 0x28
	v_lshlrev_b64 v[3:4], 3, v[1:2]
	s_clause 0x1
	s_load_b128 s[4:7], s[0:1], 0x10
	s_load_b128 s[0:3], s[0:1], 0x30
	s_waitcnt lgkmcnt(0)
	s_delay_alu instid0(VALU_DEP_1)
	v_add_co_u32 v5, vcc_lo, s12, v3
	v_add_co_ci_u32_e32 v6, vcc_lo, s13, v4, vcc_lo
	v_add_co_u32 v3, vcc_lo, s14, v3
	v_add_co_ci_u32_e32 v4, vcc_lo, s15, v4, vcc_lo
	v_mad_u64_u32 v[10:11], null, s2, v0, 0
	global_load_b64 v[5:6], v[5:6], off
	global_load_b64 v[8:9], v[3:4], off
	v_mad_u64_u32 v[3:4], null, s6, v0, 0
	s_lshl_b64 s[4:5], s[4:5], 1
	s_lshl_b64 s[0:1], s[0:1], 1
	v_mov_b32_e32 v7, v11
	s_waitcnt vmcnt(1)
	s_delay_alu instid0(VALU_DEP_2) | instskip(SKIP_1) | instid1(VALU_DEP_2)
	v_mad_u64_u32 v[11:12], null, s7, v0, v[4:5]
	s_waitcnt vmcnt(0)
	v_mad_u64_u32 v[12:13], null, s3, v0, v[7:8]
	v_mov_b32_e32 v7, 0
	s_lshl_b64 s[2:3], s[2:3], 7
	s_delay_alu instid0(VALU_DEP_2) | instskip(NEXT) | instid1(VALU_DEP_1)
	v_dual_mov_b32 v4, v11 :: v_dual_mov_b32 v11, v12
	v_lshlrev_b64 v[3:4], 1, v[3:4]
	s_delay_alu instid0(VALU_DEP_2) | instskip(NEXT) | instid1(VALU_DEP_2)
	v_lshlrev_b64 v[10:11], 1, v[10:11]
	v_add_co_u32 v3, vcc_lo, v3, s4
	s_delay_alu instid0(VALU_DEP_3) | instskip(NEXT) | instid1(VALU_DEP_3)
	v_add_co_ci_u32_e32 v4, vcc_lo, s5, v4, vcc_lo
	v_add_co_u32 v10, vcc_lo, v10, s0
	s_delay_alu instid0(VALU_DEP_4) | instskip(NEXT) | instid1(VALU_DEP_4)
	v_add_co_ci_u32_e32 v11, vcc_lo, s1, v11, vcc_lo
	v_add_co_u32 v3, vcc_lo, v5, v3
	s_delay_alu instid0(VALU_DEP_4) | instskip(NEXT) | instid1(VALU_DEP_4)
	v_add_co_ci_u32_e32 v4, vcc_lo, v6, v4, vcc_lo
	v_add_co_u32 v5, vcc_lo, v8, v10
	s_delay_alu instid0(VALU_DEP_4)
	v_add_co_ci_u32_e32 v6, vcc_lo, v9, v11, vcc_lo
	v_mov_b32_e32 v8, v0
	s_lshl_b64 s[4:5], s[6:7], 7
	s_mov_b32 s1, 0
	.p2align	6
.LBB148_3:                              ; =>This Inner Loop Header: Depth=1
	global_load_u16 v9, v[3:4], off
	global_load_u16 v10, v[5:6], off
	v_add_nc_u32_e32 v8, 64, v8
	v_add_co_u32 v3, vcc_lo, v3, s4
	v_add_co_ci_u32_e32 v4, vcc_lo, s5, v4, vcc_lo
	v_add_co_u32 v5, vcc_lo, v5, s2
	s_delay_alu instid0(VALU_DEP_4) | instskip(SKIP_1) | instid1(VALU_DEP_2)
	v_cmp_le_i32_e64 s0, s10, v8
	v_add_co_ci_u32_e32 v6, vcc_lo, s3, v6, vcc_lo
	s_or_b32 s1, s0, s1
	s_waitcnt vmcnt(0)
	v_fmac_f16_e32 v7, v9, v10
	s_and_not1_b32 exec_lo, exec_lo, s1
	s_cbranch_execnz .LBB148_3
; %bb.4:
	s_or_b32 exec_lo, exec_lo, s1
.LBB148_5:
	s_delay_alu instid0(SALU_CYCLE_1)
	s_or_b32 exec_lo, exec_lo, s11
	v_mbcnt_lo_u32_b32 v4, -1, 0
	v_and_b32_e32 v3, 0xffff, v7
	s_barrier
	buffer_gl0_inv
	v_lshlrev_b32_e32 v5, 2, v4
	v_cmp_gt_u32_e32 vcc_lo, 16, v4
	ds_bpermute_b32 v3, v5, v3
	v_cndmask_b32_e64 v5, 0, 1, vcc_lo
	v_cmp_gt_u32_e32 vcc_lo, 24, v4
	s_delay_alu instid0(VALU_DEP_2) | instskip(NEXT) | instid1(VALU_DEP_1)
	v_lshlrev_b32_e32 v5, 4, v5
	v_add_lshl_u32 v5, v5, v4, 2
	s_waitcnt lgkmcnt(0)
	v_add_f16_e32 v6, v7, v3
	s_delay_alu instid0(VALU_DEP_1) | instskip(NEXT) | instid1(VALU_DEP_1)
	v_and_b32_e32 v7, 0xffff, v6
	v_and_or_b32 v3, 0xffff0000, v3, v7
	ds_bpermute_b32 v3, v5, v3
	v_cndmask_b32_e64 v5, 0, 1, vcc_lo
	v_cmp_gt_u32_e32 vcc_lo, 28, v4
	s_delay_alu instid0(VALU_DEP_2) | instskip(NEXT) | instid1(VALU_DEP_1)
	v_lshlrev_b32_e32 v5, 3, v5
	v_add_lshl_u32 v5, v5, v4, 2
	s_waitcnt lgkmcnt(0)
	v_add_f16_e32 v6, v6, v3
	s_delay_alu instid0(VALU_DEP_1) | instskip(NEXT) | instid1(VALU_DEP_1)
	v_and_b32_e32 v7, 0xffff, v6
	v_and_or_b32 v3, 0xffff0000, v3, v7
	;; [unrolled: 11-line block ×3, first 2 shown]
	ds_bpermute_b32 v3, v5, v3
	v_cndmask_b32_e64 v5, 0, 1, vcc_lo
	v_cmp_ne_u32_e32 vcc_lo, 31, v4
	s_delay_alu instid0(VALU_DEP_2) | instskip(NEXT) | instid1(VALU_DEP_1)
	v_lshlrev_b32_e32 v5, 1, v5
	v_add_lshl_u32 v5, v5, v4, 2
	v_add_co_ci_u32_e32 v4, vcc_lo, 0, v4, vcc_lo
	v_cmp_eq_u32_e32 vcc_lo, 0, v0
	s_delay_alu instid0(VALU_DEP_2) | instskip(SKIP_2) | instid1(VALU_DEP_1)
	v_lshlrev_b32_e32 v4, 2, v4
	s_waitcnt lgkmcnt(0)
	v_add_f16_e32 v6, v6, v3
	v_and_b32_e32 v7, 0xffff, v6
	s_delay_alu instid0(VALU_DEP_1) | instskip(SKIP_3) | instid1(VALU_DEP_1)
	v_and_or_b32 v3, 0xffff0000, v3, v7
	ds_bpermute_b32 v5, v5, v3
	s_waitcnt lgkmcnt(0)
	v_add_f16_e32 v3, v6, v5
	v_and_b32_e32 v6, 0xffff, v3
	s_delay_alu instid0(VALU_DEP_1)
	v_and_or_b32 v5, 0xffff0000, v5, v6
	ds_bpermute_b32 v4, v4, v5
	s_and_b32 exec_lo, exec_lo, vcc_lo
	s_cbranch_execz .LBB148_7
; %bb.6:
	v_lshlrev_b64 v[0:1], 1, v[1:2]
	s_waitcnt lgkmcnt(0)
	v_add_f16_e32 v2, v3, v4
	s_delay_alu instid0(VALU_DEP_2) | instskip(NEXT) | instid1(VALU_DEP_3)
	v_add_co_u32 v0, vcc_lo, s8, v0
	v_add_co_ci_u32_e32 v1, vcc_lo, s9, v1, vcc_lo
	global_store_b16 v[0:1], v2, off
.LBB148_7:
	s_nop 0
	s_sendmsg sendmsg(MSG_DEALLOC_VGPRS)
	s_endpgm
	.section	.rodata,"a",@progbits
	.p2align	6, 0x0
	.amdhsa_kernel _ZL28rocblas_dot_batched_4_kernelIlLi64ELi4ELb0EDF16_DF16_PKPKDF16_EviT5_lT_lS4_lS5_liPT4_
		.amdhsa_group_segment_fixed_size 0
		.amdhsa_private_segment_fixed_size 0
		.amdhsa_kernarg_size 88
		.amdhsa_user_sgpr_count 15
		.amdhsa_user_sgpr_dispatch_ptr 0
		.amdhsa_user_sgpr_queue_ptr 0
		.amdhsa_user_sgpr_kernarg_segment_ptr 1
		.amdhsa_user_sgpr_dispatch_id 0
		.amdhsa_user_sgpr_private_segment_size 0
		.amdhsa_wavefront_size32 1
		.amdhsa_uses_dynamic_stack 0
		.amdhsa_enable_private_segment 0
		.amdhsa_system_sgpr_workgroup_id_x 1
		.amdhsa_system_sgpr_workgroup_id_y 0
		.amdhsa_system_sgpr_workgroup_id_z 0
		.amdhsa_system_sgpr_workgroup_info 0
		.amdhsa_system_vgpr_workitem_id 1
		.amdhsa_next_free_vgpr 14
		.amdhsa_next_free_sgpr 16
		.amdhsa_reserve_vcc 1
		.amdhsa_float_round_mode_32 0
		.amdhsa_float_round_mode_16_64 0
		.amdhsa_float_denorm_mode_32 3
		.amdhsa_float_denorm_mode_16_64 3
		.amdhsa_dx10_clamp 1
		.amdhsa_ieee_mode 1
		.amdhsa_fp16_overflow 0
		.amdhsa_workgroup_processor_mode 1
		.amdhsa_memory_ordered 1
		.amdhsa_forward_progress 0
		.amdhsa_shared_vgpr_count 0
		.amdhsa_exception_fp_ieee_invalid_op 0
		.amdhsa_exception_fp_denorm_src 0
		.amdhsa_exception_fp_ieee_div_zero 0
		.amdhsa_exception_fp_ieee_overflow 0
		.amdhsa_exception_fp_ieee_underflow 0
		.amdhsa_exception_fp_ieee_inexact 0
		.amdhsa_exception_int_div_zero 0
	.end_amdhsa_kernel
	.section	.text._ZL28rocblas_dot_batched_4_kernelIlLi64ELi4ELb0EDF16_DF16_PKPKDF16_EviT5_lT_lS4_lS5_liPT4_,"axG",@progbits,_ZL28rocblas_dot_batched_4_kernelIlLi64ELi4ELb0EDF16_DF16_PKPKDF16_EviT5_lT_lS4_lS5_liPT4_,comdat
.Lfunc_end148:
	.size	_ZL28rocblas_dot_batched_4_kernelIlLi64ELi4ELb0EDF16_DF16_PKPKDF16_EviT5_lT_lS4_lS5_liPT4_, .Lfunc_end148-_ZL28rocblas_dot_batched_4_kernelIlLi64ELi4ELb0EDF16_DF16_PKPKDF16_EviT5_lT_lS4_lS5_liPT4_
                                        ; -- End function
	.section	.AMDGPU.csdata,"",@progbits
; Kernel info:
; codeLenInByte = 892
; NumSgprs: 18
; NumVgprs: 14
; ScratchSize: 0
; MemoryBound: 0
; FloatMode: 240
; IeeeMode: 1
; LDSByteSize: 0 bytes/workgroup (compile time only)
; SGPRBlocks: 2
; VGPRBlocks: 1
; NumSGPRsForWavesPerEU: 18
; NumVGPRsForWavesPerEU: 14
; Occupancy: 16
; WaveLimiterHint : 0
; COMPUTE_PGM_RSRC2:SCRATCH_EN: 0
; COMPUTE_PGM_RSRC2:USER_SGPR: 15
; COMPUTE_PGM_RSRC2:TRAP_HANDLER: 0
; COMPUTE_PGM_RSRC2:TGID_X_EN: 1
; COMPUTE_PGM_RSRC2:TGID_Y_EN: 0
; COMPUTE_PGM_RSRC2:TGID_Z_EN: 0
; COMPUTE_PGM_RSRC2:TIDIG_COMP_CNT: 1
	.section	.text._ZL18rocblas_dot_kernelIlLb1ELi1024ELi32ELb0EDF16_PKPKDF16_DF16_EviT5_lT_lS4_lS5_liPT6_PT4_,"axG",@progbits,_ZL18rocblas_dot_kernelIlLb1ELi1024ELi32ELb0EDF16_PKPKDF16_DF16_EviT5_lT_lS4_lS5_liPT6_PT4_,comdat
	.globl	_ZL18rocblas_dot_kernelIlLb1ELi1024ELi32ELb0EDF16_PKPKDF16_DF16_EviT5_lT_lS4_lS5_liPT6_PT4_ ; -- Begin function _ZL18rocblas_dot_kernelIlLb1ELi1024ELi32ELb0EDF16_PKPKDF16_DF16_EviT5_lT_lS4_lS5_liPT6_PT4_
	.p2align	8
	.type	_ZL18rocblas_dot_kernelIlLb1ELi1024ELi32ELb0EDF16_PKPKDF16_DF16_EviT5_lT_lS4_lS5_liPT6_PT4_,@function
_ZL18rocblas_dot_kernelIlLb1ELi1024ELi32ELb0EDF16_PKPKDF16_DF16_EviT5_lT_lS4_lS5_liPT6_PT4_: ; @_ZL18rocblas_dot_kernelIlLb1ELi1024ELi32ELb0EDF16_PKPKDF16_DF16_EviT5_lT_lS4_lS5_liPT6_PT4_
; %bb.0:
	s_clause 0x1
	s_load_b32 s14, s[0:1], 0x0
	s_load_b64 s[2:3], s[0:1], 0x58
	v_mov_b32_e32 v5, 0
	s_mov_b32 s12, s15
	s_mov_b32 s13, 0
	s_mov_b32 s15, exec_lo
	s_waitcnt lgkmcnt(0)
	v_cmpx_gt_i32_e64 s14, v0
	s_cbranch_execz .LBB149_4
; %bb.1:
	s_clause 0x4
	s_load_b64 s[16:17], s[0:1], 0x8
	s_load_b128 s[8:11], s[0:1], 0x10
	s_load_b128 s[4:7], s[0:1], 0x30
	s_load_b64 s[18:19], s[0:1], 0x28
	s_load_b32 s20, s[0:1], 0x60
	s_lshl_b64 s[0:1], s[12:13], 3
	s_waitcnt lgkmcnt(0)
	s_add_u32 s16, s16, s0
	v_mad_u64_u32 v[1:2], null, s10, v0, 0
	v_mad_u64_u32 v[3:4], null, s6, v0, 0
	s_addc_u32 s17, s17, s1
	s_add_u32 s18, s18, s0
	s_load_b64 s[16:17], s[16:17], 0x0
	s_addc_u32 s19, s19, s1
	s_lshl_b64 s[8:9], s[8:9], 1
	s_load_b64 s[18:19], s[18:19], 0x0
	s_delay_alu instid0(VALU_DEP_1) | instskip(SKIP_2) | instid1(SALU_CYCLE_1)
	v_mad_u64_u32 v[7:8], null, s11, v0, v[2:3]
	v_mov_b32_e32 v5, 0
	s_lshl_b32 s1, s20, 10
	s_mul_hi_u32 s0, s10, s1
	s_mul_i32 s11, s11, s1
	s_mul_i32 s20, s10, s1
	s_delay_alu instid0(VALU_DEP_2) | instskip(SKIP_3) | instid1(VALU_DEP_2)
	v_mov_b32_e32 v2, v7
	v_mad_u64_u32 v[8:9], null, s7, v0, v[4:5]
	s_mul_hi_u32 s23, s6, s1
	s_mul_i32 s22, s6, s1
	v_lshlrev_b64 v[1:2], 1, v[1:2]
	s_mul_i32 s7, s7, s1
	v_or_b32_e32 v6, s1, v0
	s_waitcnt lgkmcnt(0)
	s_add_u32 s16, s16, s8
	v_mov_b32_e32 v4, v8
	s_addc_u32 s17, s17, s9
	s_ashr_i32 s24, s1, 31
	s_lshl_b64 s[8:9], s[4:5], 1
	s_mul_i32 s4, s10, s24
	v_lshlrev_b64 v[3:4], 1, v[3:4]
	s_add_i32 s0, s0, s4
	v_add_co_u32 v1, vcc_lo, s16, v1
	s_add_i32 s21, s0, s11
	s_mul_i32 s0, s6, s24
	s_lshl_b64 s[4:5], s[20:21], 1
	s_add_u32 s6, s18, s8
	v_add_co_ci_u32_e32 v2, vcc_lo, s17, v2, vcc_lo
	s_addc_u32 s8, s19, s9
	v_add_co_u32 v3, vcc_lo, s6, v3
	s_add_i32 s0, s23, s0
	v_add_co_ci_u32_e32 v4, vcc_lo, s8, v4, vcc_lo
	s_add_i32 s23, s0, s7
	s_mov_b32 s8, s13
	s_lshl_b64 s[6:7], s[22:23], 1
	s_mov_b32 s9, s13
	.p2align	6
.LBB149_2:                              ; =>This Inner Loop Header: Depth=1
	global_load_u16 v7, v[3:4], off
	global_load_u16 v8, v[1:2], off
	v_add_co_u32 v1, s0, v1, s4
	s_delay_alu instid0(VALU_DEP_1)
	v_add_co_ci_u32_e64 v2, s0, s5, v2, s0
	s_add_i32 s10, s9, 1
	v_cmp_le_i32_e32 vcc_lo, s14, v6
	v_add_co_u32 v3, s0, v3, s6
	s_cmp_gt_u32 s9, 30
	v_add_co_ci_u32_e64 v4, s0, s7, v4, s0
	s_cselect_b32 s0, -1, 0
	v_add_nc_u32_e32 v6, s1, v6
	s_or_b32 s0, s0, vcc_lo
	s_mov_b32 s9, s10
	s_and_b32 s0, exec_lo, s0
	s_delay_alu instid0(SALU_CYCLE_1)
	s_or_b32 s8, s0, s8
	s_waitcnt vmcnt(0)
	v_fmac_f16_e32 v5, v7, v8
	s_and_not1_b32 exec_lo, exec_lo, s8
	s_cbranch_execnz .LBB149_2
; %bb.3:
	s_or_b32 exec_lo, exec_lo, s8
.LBB149_4:
	s_delay_alu instid0(SALU_CYCLE_1) | instskip(SKIP_2) | instid1(VALU_DEP_2)
	s_or_b32 exec_lo, exec_lo, s15
	v_and_b32_e32 v6, 31, v0
	v_cmp_gt_u32_e32 vcc_lo, 32, v0
	v_lshlrev_b32_e32 v1, 1, v6
	s_and_saveexec_b32 s0, vcc_lo
	s_cbranch_execz .LBB149_6
; %bb.5:
	v_mov_b32_e32 v2, 0
	ds_store_b16 v1, v2
.LBB149_6:
	s_or_b32 exec_lo, exec_lo, s0
	v_mbcnt_lo_u32_b32 v7, -1, 0
	v_and_b32_e32 v3, 0xffff, v5
	s_mov_b32 s1, exec_lo
	s_waitcnt lgkmcnt(0)
	s_barrier
	v_cmp_gt_u32_e64 s0, 16, v7
	buffer_gl0_inv
	v_cndmask_b32_e64 v2, 0, 1, s0
	v_cmp_gt_u32_e64 s0, 24, v7
	s_delay_alu instid0(VALU_DEP_2) | instskip(NEXT) | instid1(VALU_DEP_1)
	v_lshlrev_b32_e32 v2, 4, v2
	v_add_lshl_u32 v2, v2, v7, 2
	ds_bpermute_b32 v4, v2, v3
	v_cndmask_b32_e64 v3, 0, 1, s0
	v_cmp_gt_u32_e64 s0, 28, v7
	s_delay_alu instid0(VALU_DEP_2) | instskip(NEXT) | instid1(VALU_DEP_1)
	v_lshlrev_b32_e32 v3, 3, v3
	v_add_lshl_u32 v3, v3, v7, 2
	s_waitcnt lgkmcnt(0)
	v_add_f16_e32 v5, v5, v4
	s_delay_alu instid0(VALU_DEP_1) | instskip(NEXT) | instid1(VALU_DEP_1)
	v_and_b32_e32 v8, 0xffff, v5
	v_and_or_b32 v4, 0xffff0000, v4, v8
	ds_bpermute_b32 v8, v3, v4
	v_cndmask_b32_e64 v4, 0, 1, s0
	v_cmp_gt_u32_e64 s0, 30, v7
	s_delay_alu instid0(VALU_DEP_2) | instskip(NEXT) | instid1(VALU_DEP_1)
	v_lshlrev_b32_e32 v4, 2, v4
	v_add_lshl_u32 v4, v4, v7, 2
	s_waitcnt lgkmcnt(0)
	v_add_f16_e32 v5, v5, v8
	s_delay_alu instid0(VALU_DEP_1) | instskip(NEXT) | instid1(VALU_DEP_1)
	v_and_b32_e32 v9, 0xffff, v5
	v_and_or_b32 v8, 0xffff0000, v8, v9
	v_cndmask_b32_e64 v9, 0, 1, s0
	v_cmp_ne_u32_e64 s0, 31, v7
	ds_bpermute_b32 v8, v4, v8
	s_waitcnt lgkmcnt(0)
	v_add_f16_e32 v10, v5, v8
	v_lshlrev_b32_e32 v5, 1, v9
	s_delay_alu instid0(VALU_DEP_2) | instskip(NEXT) | instid1(VALU_DEP_2)
	v_and_b32_e32 v9, 0xffff, v10
	v_add_lshl_u32 v5, v5, v7, 2
	v_add_co_ci_u32_e64 v7, s0, 0, v7, s0
	s_delay_alu instid0(VALU_DEP_3) | instskip(NEXT) | instid1(VALU_DEP_2)
	v_and_or_b32 v8, 0xffff0000, v8, v9
	v_lshlrev_b32_e32 v7, 2, v7
	ds_bpermute_b32 v9, v5, v8
	s_waitcnt lgkmcnt(0)
	v_add_f16_e32 v8, v10, v9
	s_delay_alu instid0(VALU_DEP_1) | instskip(NEXT) | instid1(VALU_DEP_1)
	v_and_b32_e32 v10, 0xffff, v8
	v_and_or_b32 v9, 0xffff0000, v9, v10
	ds_bpermute_b32 v9, v7, v9
	v_cmpx_eq_u32_e32 0, v6
	s_cbranch_execz .LBB149_8
; %bb.7:
	v_lshrrev_b32_e32 v6, 4, v0
	s_waitcnt lgkmcnt(0)
	v_add_f16_e32 v8, v8, v9
	s_delay_alu instid0(VALU_DEP_2)
	v_and_b32_e32 v6, 62, v6
	ds_store_b16 v6, v8
.LBB149_8:
	s_or_b32 exec_lo, exec_lo, s1
	v_mov_b32_e32 v6, 0
	s_waitcnt lgkmcnt(0)
	s_barrier
	buffer_gl0_inv
	s_and_saveexec_b32 s0, vcc_lo
	s_cbranch_execz .LBB149_10
; %bb.9:
	ds_load_u16 v6, v1
.LBB149_10:
	s_or_b32 exec_lo, exec_lo, s0
	s_and_saveexec_b32 s0, vcc_lo
	s_cbranch_execz .LBB149_12
; %bb.11:
	s_waitcnt lgkmcnt(0)
	v_and_b32_e32 v1, 0xffff, v6
	ds_bpermute_b32 v1, v2, v1
	s_waitcnt lgkmcnt(0)
	v_add_f16_e32 v2, v6, v1
	s_delay_alu instid0(VALU_DEP_1) | instskip(NEXT) | instid1(VALU_DEP_1)
	v_and_b32_e32 v6, 0xffff, v2
	v_and_or_b32 v1, 0xffff0000, v1, v6
	ds_bpermute_b32 v1, v3, v1
	s_waitcnt lgkmcnt(0)
	v_add_f16_e32 v2, v2, v1
	s_delay_alu instid0(VALU_DEP_1) | instskip(NEXT) | instid1(VALU_DEP_1)
	v_and_b32_e32 v3, 0xffff, v2
	v_and_or_b32 v1, 0xffff0000, v1, v3
	;; [unrolled: 6-line block ×4, first 2 shown]
	ds_bpermute_b32 v1, v7, v1
	s_waitcnt lgkmcnt(0)
	v_add_f16_e32 v6, v2, v1
.LBB149_12:
	s_or_b32 exec_lo, exec_lo, s0
	s_delay_alu instid0(SALU_CYCLE_1)
	s_mov_b32 s0, exec_lo
	v_cmpx_eq_u32_e32 0, v0
	s_cbranch_execz .LBB149_14
; %bb.13:
	s_lshl_b64 s[0:1], s[12:13], 1
	v_mov_b32_e32 v0, 0
	s_add_u32 s0, s2, s0
	s_addc_u32 s1, s3, s1
	s_waitcnt lgkmcnt(0)
	global_store_b16 v0, v6, s[0:1]
.LBB149_14:
	s_nop 0
	s_sendmsg sendmsg(MSG_DEALLOC_VGPRS)
	s_endpgm
	.section	.rodata,"a",@progbits
	.p2align	6, 0x0
	.amdhsa_kernel _ZL18rocblas_dot_kernelIlLb1ELi1024ELi32ELb0EDF16_PKPKDF16_DF16_EviT5_lT_lS4_lS5_liPT6_PT4_
		.amdhsa_group_segment_fixed_size 64
		.amdhsa_private_segment_fixed_size 0
		.amdhsa_kernarg_size 352
		.amdhsa_user_sgpr_count 14
		.amdhsa_user_sgpr_dispatch_ptr 0
		.amdhsa_user_sgpr_queue_ptr 0
		.amdhsa_user_sgpr_kernarg_segment_ptr 1
		.amdhsa_user_sgpr_dispatch_id 0
		.amdhsa_user_sgpr_private_segment_size 0
		.amdhsa_wavefront_size32 1
		.amdhsa_uses_dynamic_stack 0
		.amdhsa_enable_private_segment 0
		.amdhsa_system_sgpr_workgroup_id_x 1
		.amdhsa_system_sgpr_workgroup_id_y 0
		.amdhsa_system_sgpr_workgroup_id_z 1
		.amdhsa_system_sgpr_workgroup_info 0
		.amdhsa_system_vgpr_workitem_id 0
		.amdhsa_next_free_vgpr 11
		.amdhsa_next_free_sgpr 25
		.amdhsa_reserve_vcc 1
		.amdhsa_float_round_mode_32 0
		.amdhsa_float_round_mode_16_64 0
		.amdhsa_float_denorm_mode_32 3
		.amdhsa_float_denorm_mode_16_64 3
		.amdhsa_dx10_clamp 1
		.amdhsa_ieee_mode 1
		.amdhsa_fp16_overflow 0
		.amdhsa_workgroup_processor_mode 1
		.amdhsa_memory_ordered 1
		.amdhsa_forward_progress 0
		.amdhsa_shared_vgpr_count 0
		.amdhsa_exception_fp_ieee_invalid_op 0
		.amdhsa_exception_fp_denorm_src 0
		.amdhsa_exception_fp_ieee_div_zero 0
		.amdhsa_exception_fp_ieee_overflow 0
		.amdhsa_exception_fp_ieee_underflow 0
		.amdhsa_exception_fp_ieee_inexact 0
		.amdhsa_exception_int_div_zero 0
	.end_amdhsa_kernel
	.section	.text._ZL18rocblas_dot_kernelIlLb1ELi1024ELi32ELb0EDF16_PKPKDF16_DF16_EviT5_lT_lS4_lS5_liPT6_PT4_,"axG",@progbits,_ZL18rocblas_dot_kernelIlLb1ELi1024ELi32ELb0EDF16_PKPKDF16_DF16_EviT5_lT_lS4_lS5_liPT6_PT4_,comdat
.Lfunc_end149:
	.size	_ZL18rocblas_dot_kernelIlLb1ELi1024ELi32ELb0EDF16_PKPKDF16_DF16_EviT5_lT_lS4_lS5_liPT6_PT4_, .Lfunc_end149-_ZL18rocblas_dot_kernelIlLb1ELi1024ELi32ELb0EDF16_PKPKDF16_DF16_EviT5_lT_lS4_lS5_liPT6_PT4_
                                        ; -- End function
	.section	.AMDGPU.csdata,"",@progbits
; Kernel info:
; codeLenInByte = 1176
; NumSgprs: 27
; NumVgprs: 11
; ScratchSize: 0
; MemoryBound: 0
; FloatMode: 240
; IeeeMode: 1
; LDSByteSize: 64 bytes/workgroup (compile time only)
; SGPRBlocks: 3
; VGPRBlocks: 1
; NumSGPRsForWavesPerEU: 27
; NumVGPRsForWavesPerEU: 11
; Occupancy: 16
; WaveLimiterHint : 0
; COMPUTE_PGM_RSRC2:SCRATCH_EN: 0
; COMPUTE_PGM_RSRC2:USER_SGPR: 14
; COMPUTE_PGM_RSRC2:TRAP_HANDLER: 0
; COMPUTE_PGM_RSRC2:TGID_X_EN: 1
; COMPUTE_PGM_RSRC2:TGID_Y_EN: 0
; COMPUTE_PGM_RSRC2:TGID_Z_EN: 1
; COMPUTE_PGM_RSRC2:TIDIG_COMP_CNT: 0
	.section	.text._ZL24rocblas_dot_kernel_magsqIlLb1ELi1024ELi32ELb0EDF16_PKPKDF16_DF16_EviT5_lT_liPT6_PT4_,"axG",@progbits,_ZL24rocblas_dot_kernel_magsqIlLb1ELi1024ELi32ELb0EDF16_PKPKDF16_DF16_EviT5_lT_liPT6_PT4_,comdat
	.globl	_ZL24rocblas_dot_kernel_magsqIlLb1ELi1024ELi32ELb0EDF16_PKPKDF16_DF16_EviT5_lT_liPT6_PT4_ ; -- Begin function _ZL24rocblas_dot_kernel_magsqIlLb1ELi1024ELi32ELb0EDF16_PKPKDF16_DF16_EviT5_lT_liPT6_PT4_
	.p2align	8
	.type	_ZL24rocblas_dot_kernel_magsqIlLb1ELi1024ELi32ELb0EDF16_PKPKDF16_DF16_EviT5_lT_liPT6_PT4_,@function
_ZL24rocblas_dot_kernel_magsqIlLb1ELi1024ELi32ELb0EDF16_PKPKDF16_DF16_EviT5_lT_liPT6_PT4_: ; @_ZL24rocblas_dot_kernel_magsqIlLb1ELi1024ELi32ELb0EDF16_PKPKDF16_DF16_EviT5_lT_liPT6_PT4_
; %bb.0:
	s_clause 0x1
	s_load_b32 s8, s[0:1], 0x0
	s_load_b64 s[2:3], s[0:1], 0x38
	v_mov_b32_e32 v3, 0
	s_mov_b32 s4, s15
	s_mov_b32 s5, 0
	s_mov_b32 s9, exec_lo
	s_waitcnt lgkmcnt(0)
	v_cmpx_gt_i32_e64 s8, v0
	s_cbranch_execz .LBB150_4
; %bb.1:
	s_clause 0x1
	s_load_b64 s[6:7], s[0:1], 0x8
	s_load_b128 s[12:15], s[0:1], 0x10
	s_lshl_b64 s[10:11], s[4:5], 3
	s_load_b32 s16, s[0:1], 0x40
	s_waitcnt lgkmcnt(0)
	s_add_u32 s0, s6, s10
	v_mad_u64_u32 v[1:2], null, s14, v0, 0
	s_addc_u32 s1, s7, s11
	s_lshl_b64 s[10:11], s[12:13], 1
	s_load_b64 s[6:7], s[0:1], 0x0
	s_lshl_b32 s1, s16, 10
	s_delay_alu instid0(SALU_CYCLE_1) | instskip(NEXT) | instid1(VALU_DEP_1)
	s_mul_hi_u32 s0, s14, s1
	v_mad_u64_u32 v[3:4], null, s15, v0, v[2:3]
	v_or_b32_e32 v4, s1, v0
	s_delay_alu instid0(VALU_DEP_2) | instskip(NEXT) | instid1(VALU_DEP_1)
	v_dual_mov_b32 v2, v3 :: v_dual_mov_b32 v3, 0
	v_lshlrev_b64 v[1:2], 1, v[1:2]
	s_waitcnt lgkmcnt(0)
	s_add_u32 s10, s6, s10
	s_addc_u32 s11, s7, s11
	s_ashr_i32 s6, s1, 31
	s_delay_alu instid0(VALU_DEP_1)
	v_add_co_u32 v1, vcc_lo, s10, v1
	s_mul_i32 s6, s14, s6
	s_mul_i32 s7, s15, s1
	s_add_i32 s0, s0, s6
	v_add_co_ci_u32_e32 v2, vcc_lo, s11, v2, vcc_lo
	s_mul_i32 s6, s14, s1
	s_add_i32 s7, s0, s7
	s_mov_b32 s10, s5
	s_lshl_b64 s[6:7], s[6:7], 1
	s_mov_b32 s11, s5
	.p2align	6
.LBB150_2:                              ; =>This Inner Loop Header: Depth=1
	global_load_u16 v5, v[1:2], off
	s_add_i32 s12, s11, 1
	v_cmp_le_i32_e32 vcc_lo, s8, v4
	v_add_co_u32 v1, s0, v1, s6
	s_cmp_gt_u32 s11, 30
	v_add_co_ci_u32_e64 v2, s0, s7, v2, s0
	s_cselect_b32 s0, -1, 0
	v_add_nc_u32_e32 v4, s1, v4
	s_or_b32 s0, s0, vcc_lo
	s_mov_b32 s11, s12
	s_and_b32 s0, exec_lo, s0
	s_delay_alu instid0(SALU_CYCLE_1)
	s_or_b32 s10, s0, s10
	s_waitcnt vmcnt(0)
	v_fmac_f16_e32 v3, v5, v5
	s_and_not1_b32 exec_lo, exec_lo, s10
	s_cbranch_execnz .LBB150_2
; %bb.3:
	s_or_b32 exec_lo, exec_lo, s10
.LBB150_4:
	s_delay_alu instid0(SALU_CYCLE_1) | instskip(SKIP_2) | instid1(VALU_DEP_2)
	s_or_b32 exec_lo, exec_lo, s9
	v_and_b32_e32 v5, 31, v0
	v_cmp_gt_u32_e32 vcc_lo, 32, v0
	v_lshlrev_b32_e32 v1, 1, v5
	s_and_saveexec_b32 s0, vcc_lo
	s_cbranch_execz .LBB150_6
; %bb.5:
	v_mov_b32_e32 v2, 0
	ds_store_b16 v1, v2
.LBB150_6:
	s_or_b32 exec_lo, exec_lo, s0
	v_mbcnt_lo_u32_b32 v7, -1, 0
	v_and_b32_e32 v4, 0xffff, v3
	s_mov_b32 s1, exec_lo
	s_waitcnt lgkmcnt(0)
	s_barrier
	v_cmp_gt_u32_e64 s0, 16, v7
	buffer_gl0_inv
	v_cndmask_b32_e64 v2, 0, 1, s0
	v_cmp_gt_u32_e64 s0, 24, v7
	s_delay_alu instid0(VALU_DEP_2) | instskip(NEXT) | instid1(VALU_DEP_2)
	v_lshlrev_b32_e32 v2, 4, v2
	v_cndmask_b32_e64 v6, 0, 1, s0
	v_cmp_gt_u32_e64 s0, 28, v7
	s_delay_alu instid0(VALU_DEP_3) | instskip(SKIP_4) | instid1(VALU_DEP_2)
	v_add_lshl_u32 v2, v2, v7, 2
	ds_bpermute_b32 v4, v2, v4
	s_waitcnt lgkmcnt(0)
	v_add_f16_e32 v8, v3, v4
	v_lshlrev_b32_e32 v3, 3, v6
	v_and_b32_e32 v6, 0xffff, v8
	s_delay_alu instid0(VALU_DEP_2) | instskip(NEXT) | instid1(VALU_DEP_2)
	v_add_lshl_u32 v3, v3, v7, 2
	v_and_or_b32 v4, 0xffff0000, v4, v6
	ds_bpermute_b32 v6, v3, v4
	v_cndmask_b32_e64 v4, 0, 1, s0
	v_cmp_gt_u32_e64 s0, 30, v7
	s_delay_alu instid0(VALU_DEP_2) | instskip(NEXT) | instid1(VALU_DEP_1)
	v_lshlrev_b32_e32 v4, 2, v4
	v_add_lshl_u32 v4, v4, v7, 2
	s_waitcnt lgkmcnt(0)
	v_add_f16_e32 v8, v8, v6
	s_delay_alu instid0(VALU_DEP_1) | instskip(NEXT) | instid1(VALU_DEP_1)
	v_and_b32_e32 v9, 0xffff, v8
	v_and_or_b32 v6, 0xffff0000, v6, v9
	ds_bpermute_b32 v9, v4, v6
	v_cndmask_b32_e64 v6, 0, 1, s0
	v_cmp_ne_u32_e64 s0, 31, v7
	s_delay_alu instid0(VALU_DEP_2) | instskip(NEXT) | instid1(VALU_DEP_1)
	v_lshlrev_b32_e32 v6, 1, v6
	v_add_lshl_u32 v6, v6, v7, 2
	s_delay_alu instid0(VALU_DEP_3) | instskip(NEXT) | instid1(VALU_DEP_1)
	v_add_co_ci_u32_e64 v7, s0, 0, v7, s0
	v_lshlrev_b32_e32 v7, 2, v7
	s_waitcnt lgkmcnt(0)
	v_add_f16_e32 v8, v8, v9
	s_delay_alu instid0(VALU_DEP_1) | instskip(NEXT) | instid1(VALU_DEP_1)
	v_and_b32_e32 v10, 0xffff, v8
	v_and_or_b32 v9, 0xffff0000, v9, v10
	ds_bpermute_b32 v9, v6, v9
	s_waitcnt lgkmcnt(0)
	v_add_f16_e32 v8, v8, v9
	s_delay_alu instid0(VALU_DEP_1) | instskip(NEXT) | instid1(VALU_DEP_1)
	v_and_b32_e32 v10, 0xffff, v8
	v_and_or_b32 v9, 0xffff0000, v9, v10
	ds_bpermute_b32 v9, v7, v9
	v_cmpx_eq_u32_e32 0, v5
	s_cbranch_execz .LBB150_8
; %bb.7:
	v_lshrrev_b32_e32 v5, 4, v0
	s_waitcnt lgkmcnt(0)
	v_add_f16_e32 v8, v8, v9
	s_delay_alu instid0(VALU_DEP_2)
	v_and_b32_e32 v5, 62, v5
	ds_store_b16 v5, v8
.LBB150_8:
	s_or_b32 exec_lo, exec_lo, s1
	v_mov_b32_e32 v5, 0
	s_waitcnt lgkmcnt(0)
	s_barrier
	buffer_gl0_inv
	s_and_saveexec_b32 s0, vcc_lo
	s_cbranch_execz .LBB150_10
; %bb.9:
	ds_load_u16 v5, v1
.LBB150_10:
	s_or_b32 exec_lo, exec_lo, s0
	s_and_saveexec_b32 s0, vcc_lo
	s_cbranch_execz .LBB150_12
; %bb.11:
	s_waitcnt lgkmcnt(0)
	v_and_b32_e32 v1, 0xffff, v5
	ds_bpermute_b32 v1, v2, v1
	s_waitcnt lgkmcnt(0)
	v_add_f16_e32 v2, v5, v1
	s_delay_alu instid0(VALU_DEP_1) | instskip(NEXT) | instid1(VALU_DEP_1)
	v_and_b32_e32 v5, 0xffff, v2
	v_and_or_b32 v1, 0xffff0000, v1, v5
	ds_bpermute_b32 v1, v3, v1
	s_waitcnt lgkmcnt(0)
	v_add_f16_e32 v2, v2, v1
	s_delay_alu instid0(VALU_DEP_1) | instskip(NEXT) | instid1(VALU_DEP_1)
	v_and_b32_e32 v3, 0xffff, v2
	v_and_or_b32 v1, 0xffff0000, v1, v3
	;; [unrolled: 6-line block ×4, first 2 shown]
	ds_bpermute_b32 v1, v7, v1
	s_waitcnt lgkmcnt(0)
	v_add_f16_e32 v5, v2, v1
.LBB150_12:
	s_or_b32 exec_lo, exec_lo, s0
	s_delay_alu instid0(SALU_CYCLE_1)
	s_mov_b32 s0, exec_lo
	v_cmpx_eq_u32_e32 0, v0
	s_cbranch_execz .LBB150_14
; %bb.13:
	s_lshl_b64 s[0:1], s[4:5], 1
	v_mov_b32_e32 v0, 0
	s_add_u32 s0, s2, s0
	s_addc_u32 s1, s3, s1
	s_waitcnt lgkmcnt(0)
	global_store_b16 v0, v5, s[0:1]
.LBB150_14:
	s_nop 0
	s_sendmsg sendmsg(MSG_DEALLOC_VGPRS)
	s_endpgm
	.section	.rodata,"a",@progbits
	.p2align	6, 0x0
	.amdhsa_kernel _ZL24rocblas_dot_kernel_magsqIlLb1ELi1024ELi32ELb0EDF16_PKPKDF16_DF16_EviT5_lT_liPT6_PT4_
		.amdhsa_group_segment_fixed_size 64
		.amdhsa_private_segment_fixed_size 0
		.amdhsa_kernarg_size 320
		.amdhsa_user_sgpr_count 14
		.amdhsa_user_sgpr_dispatch_ptr 0
		.amdhsa_user_sgpr_queue_ptr 0
		.amdhsa_user_sgpr_kernarg_segment_ptr 1
		.amdhsa_user_sgpr_dispatch_id 0
		.amdhsa_user_sgpr_private_segment_size 0
		.amdhsa_wavefront_size32 1
		.amdhsa_uses_dynamic_stack 0
		.amdhsa_enable_private_segment 0
		.amdhsa_system_sgpr_workgroup_id_x 1
		.amdhsa_system_sgpr_workgroup_id_y 0
		.amdhsa_system_sgpr_workgroup_id_z 1
		.amdhsa_system_sgpr_workgroup_info 0
		.amdhsa_system_vgpr_workitem_id 0
		.amdhsa_next_free_vgpr 11
		.amdhsa_next_free_sgpr 17
		.amdhsa_reserve_vcc 1
		.amdhsa_float_round_mode_32 0
		.amdhsa_float_round_mode_16_64 0
		.amdhsa_float_denorm_mode_32 3
		.amdhsa_float_denorm_mode_16_64 3
		.amdhsa_dx10_clamp 1
		.amdhsa_ieee_mode 1
		.amdhsa_fp16_overflow 0
		.amdhsa_workgroup_processor_mode 1
		.amdhsa_memory_ordered 1
		.amdhsa_forward_progress 0
		.amdhsa_shared_vgpr_count 0
		.amdhsa_exception_fp_ieee_invalid_op 0
		.amdhsa_exception_fp_denorm_src 0
		.amdhsa_exception_fp_ieee_div_zero 0
		.amdhsa_exception_fp_ieee_overflow 0
		.amdhsa_exception_fp_ieee_underflow 0
		.amdhsa_exception_fp_ieee_inexact 0
		.amdhsa_exception_int_div_zero 0
	.end_amdhsa_kernel
	.section	.text._ZL24rocblas_dot_kernel_magsqIlLb1ELi1024ELi32ELb0EDF16_PKPKDF16_DF16_EviT5_lT_liPT6_PT4_,"axG",@progbits,_ZL24rocblas_dot_kernel_magsqIlLb1ELi1024ELi32ELb0EDF16_PKPKDF16_DF16_EviT5_lT_liPT6_PT4_,comdat
.Lfunc_end150:
	.size	_ZL24rocblas_dot_kernel_magsqIlLb1ELi1024ELi32ELb0EDF16_PKPKDF16_DF16_EviT5_lT_liPT6_PT4_, .Lfunc_end150-_ZL24rocblas_dot_kernel_magsqIlLb1ELi1024ELi32ELb0EDF16_PKPKDF16_DF16_EviT5_lT_liPT6_PT4_
                                        ; -- End function
	.section	.AMDGPU.csdata,"",@progbits
; Kernel info:
; codeLenInByte = 1044
; NumSgprs: 19
; NumVgprs: 11
; ScratchSize: 0
; MemoryBound: 0
; FloatMode: 240
; IeeeMode: 1
; LDSByteSize: 64 bytes/workgroup (compile time only)
; SGPRBlocks: 2
; VGPRBlocks: 1
; NumSGPRsForWavesPerEU: 19
; NumVGPRsForWavesPerEU: 11
; Occupancy: 16
; WaveLimiterHint : 0
; COMPUTE_PGM_RSRC2:SCRATCH_EN: 0
; COMPUTE_PGM_RSRC2:USER_SGPR: 14
; COMPUTE_PGM_RSRC2:TRAP_HANDLER: 0
; COMPUTE_PGM_RSRC2:TGID_X_EN: 1
; COMPUTE_PGM_RSRC2:TGID_Y_EN: 0
; COMPUTE_PGM_RSRC2:TGID_Z_EN: 1
; COMPUTE_PGM_RSRC2:TIDIG_COMP_CNT: 0
	.section	.text._ZL38rocblas_dot_kernel_gfx942_float_doubleIlLi1024EDF16_PKPKDF16_DF16_EviT2_lT_lS4_lS5_lPT3_PT1_,"axG",@progbits,_ZL38rocblas_dot_kernel_gfx942_float_doubleIlLi1024EDF16_PKPKDF16_DF16_EviT2_lT_lS4_lS5_lPT3_PT1_,comdat
	.globl	_ZL38rocblas_dot_kernel_gfx942_float_doubleIlLi1024EDF16_PKPKDF16_DF16_EviT2_lT_lS4_lS5_lPT3_PT1_ ; -- Begin function _ZL38rocblas_dot_kernel_gfx942_float_doubleIlLi1024EDF16_PKPKDF16_DF16_EviT2_lT_lS4_lS5_lPT3_PT1_
	.p2align	8
	.type	_ZL38rocblas_dot_kernel_gfx942_float_doubleIlLi1024EDF16_PKPKDF16_DF16_EviT2_lT_lS4_lS5_lPT3_PT1_,@function
_ZL38rocblas_dot_kernel_gfx942_float_doubleIlLi1024EDF16_PKPKDF16_DF16_EviT2_lT_lS4_lS5_lPT3_PT1_: ; @_ZL38rocblas_dot_kernel_gfx942_float_doubleIlLi1024EDF16_PKPKDF16_DF16_EviT2_lT_lS4_lS5_lPT3_PT1_
; %bb.0:
	s_endpgm
	.section	.rodata,"a",@progbits
	.p2align	6, 0x0
	.amdhsa_kernel _ZL38rocblas_dot_kernel_gfx942_float_doubleIlLi1024EDF16_PKPKDF16_DF16_EviT2_lT_lS4_lS5_lPT3_PT1_
		.amdhsa_group_segment_fixed_size 0
		.amdhsa_private_segment_fixed_size 0
		.amdhsa_kernarg_size 88
		.amdhsa_user_sgpr_count 15
		.amdhsa_user_sgpr_dispatch_ptr 0
		.amdhsa_user_sgpr_queue_ptr 0
		.amdhsa_user_sgpr_kernarg_segment_ptr 1
		.amdhsa_user_sgpr_dispatch_id 0
		.amdhsa_user_sgpr_private_segment_size 0
		.amdhsa_wavefront_size32 1
		.amdhsa_uses_dynamic_stack 0
		.amdhsa_enable_private_segment 0
		.amdhsa_system_sgpr_workgroup_id_x 1
		.amdhsa_system_sgpr_workgroup_id_y 0
		.amdhsa_system_sgpr_workgroup_id_z 0
		.amdhsa_system_sgpr_workgroup_info 0
		.amdhsa_system_vgpr_workitem_id 0
		.amdhsa_next_free_vgpr 1
		.amdhsa_next_free_sgpr 1
		.amdhsa_reserve_vcc 0
		.amdhsa_float_round_mode_32 0
		.amdhsa_float_round_mode_16_64 0
		.amdhsa_float_denorm_mode_32 3
		.amdhsa_float_denorm_mode_16_64 3
		.amdhsa_dx10_clamp 1
		.amdhsa_ieee_mode 1
		.amdhsa_fp16_overflow 0
		.amdhsa_workgroup_processor_mode 1
		.amdhsa_memory_ordered 1
		.amdhsa_forward_progress 0
		.amdhsa_shared_vgpr_count 0
		.amdhsa_exception_fp_ieee_invalid_op 0
		.amdhsa_exception_fp_denorm_src 0
		.amdhsa_exception_fp_ieee_div_zero 0
		.amdhsa_exception_fp_ieee_overflow 0
		.amdhsa_exception_fp_ieee_underflow 0
		.amdhsa_exception_fp_ieee_inexact 0
		.amdhsa_exception_int_div_zero 0
	.end_amdhsa_kernel
	.section	.text._ZL38rocblas_dot_kernel_gfx942_float_doubleIlLi1024EDF16_PKPKDF16_DF16_EviT2_lT_lS4_lS5_lPT3_PT1_,"axG",@progbits,_ZL38rocblas_dot_kernel_gfx942_float_doubleIlLi1024EDF16_PKPKDF16_DF16_EviT2_lT_lS4_lS5_lPT3_PT1_,comdat
.Lfunc_end151:
	.size	_ZL38rocblas_dot_kernel_gfx942_float_doubleIlLi1024EDF16_PKPKDF16_DF16_EviT2_lT_lS4_lS5_lPT3_PT1_, .Lfunc_end151-_ZL38rocblas_dot_kernel_gfx942_float_doubleIlLi1024EDF16_PKPKDF16_DF16_EviT2_lT_lS4_lS5_lPT3_PT1_
                                        ; -- End function
	.section	.AMDGPU.csdata,"",@progbits
; Kernel info:
; codeLenInByte = 4
; NumSgprs: 0
; NumVgprs: 0
; ScratchSize: 0
; MemoryBound: 0
; FloatMode: 240
; IeeeMode: 1
; LDSByteSize: 0 bytes/workgroup (compile time only)
; SGPRBlocks: 0
; VGPRBlocks: 0
; NumSGPRsForWavesPerEU: 1
; NumVGPRsForWavesPerEU: 1
; Occupancy: 16
; WaveLimiterHint : 0
; COMPUTE_PGM_RSRC2:SCRATCH_EN: 0
; COMPUTE_PGM_RSRC2:USER_SGPR: 15
; COMPUTE_PGM_RSRC2:TRAP_HANDLER: 0
; COMPUTE_PGM_RSRC2:TGID_X_EN: 1
; COMPUTE_PGM_RSRC2:TGID_Y_EN: 0
; COMPUTE_PGM_RSRC2:TGID_Z_EN: 0
; COMPUTE_PGM_RSRC2:TIDIG_COMP_CNT: 0
	.section	.text._ZL18rocblas_dot_kernelIlLb0ELi512ELi8ELb0EDF16_PKPKDF16_DF16_EviT5_lT_lS4_lS5_liPT6_PT4_,"axG",@progbits,_ZL18rocblas_dot_kernelIlLb0ELi512ELi8ELb0EDF16_PKPKDF16_DF16_EviT5_lT_lS4_lS5_liPT6_PT4_,comdat
	.globl	_ZL18rocblas_dot_kernelIlLb0ELi512ELi8ELb0EDF16_PKPKDF16_DF16_EviT5_lT_lS4_lS5_liPT6_PT4_ ; -- Begin function _ZL18rocblas_dot_kernelIlLb0ELi512ELi8ELb0EDF16_PKPKDF16_DF16_EviT5_lT_lS4_lS5_liPT6_PT4_
	.p2align	8
	.type	_ZL18rocblas_dot_kernelIlLb0ELi512ELi8ELb0EDF16_PKPKDF16_DF16_EviT5_lT_lS4_lS5_liPT6_PT4_,@function
_ZL18rocblas_dot_kernelIlLb0ELi512ELi8ELb0EDF16_PKPKDF16_DF16_EviT5_lT_lS4_lS5_liPT6_PT4_: ; @_ZL18rocblas_dot_kernelIlLb0ELi512ELi8ELb0EDF16_PKPKDF16_DF16_EviT5_lT_lS4_lS5_liPT6_PT4_
; %bb.0:
	s_clause 0x2
	s_load_b32 s12, s[0:1], 0x60
	s_load_b32 s13, s[0:1], 0x0
	s_load_b128 s[4:7], s[0:1], 0x50
	v_lshl_or_b32 v1, s14, 9, v0
	v_mov_b32_e32 v5, 0
	s_mov_b32 s2, s15
	s_mov_b32 s3, 0
	s_mov_b32 s15, exec_lo
	s_waitcnt lgkmcnt(0)
	v_cmpx_gt_i32_e64 s13, v1
	s_cbranch_execz .LBB152_4
; %bb.1:
	s_clause 0x3
	s_load_b64 s[20:21], s[0:1], 0x8
	s_load_b128 s[16:19], s[0:1], 0x10
	s_load_b128 s[8:11], s[0:1], 0x30
	s_load_b64 s[0:1], s[0:1], 0x28
	s_lshl_b64 s[22:23], s[2:3], 3
	v_ashrrev_i32_e32 v4, 31, v1
	s_waitcnt lgkmcnt(0)
	s_add_u32 s20, s20, s22
	s_addc_u32 s21, s21, s23
	v_mul_lo_u32 v9, s19, v1
	s_load_b64 s[20:21], s[20:21], 0x0
	s_add_u32 s22, s0, s22
	s_addc_u32 s23, s1, s23
	v_mul_lo_u32 v10, s18, v4
	v_mad_u64_u32 v[2:3], null, s18, v1, 0
	s_load_b64 s[22:23], s[22:23], 0x0
	v_mul_lo_u32 v11, s11, v1
	v_mul_lo_u32 v4, s10, v4
	v_mad_u64_u32 v[7:8], null, s10, v1, 0
	s_lshl_b64 s[16:17], s[16:17], 1
	s_delay_alu instid0(VALU_DEP_4) | instskip(SKIP_1) | instid1(SALU_CYCLE_1)
	v_add3_u32 v3, v3, v10, v9
	s_lshl_b32 s1, s12, 9
	v_dual_mov_b32 v5, 0 :: v_dual_add_nc_u32 v6, s1, v1
	s_mul_hi_u32 s0, s18, s1
	s_delay_alu instid0(VALU_DEP_3)
	v_add3_u32 v8, v8, v4, v11
	v_lshlrev_b64 v[1:2], 1, v[2:3]
	s_mul_i32 s19, s19, s1
	s_waitcnt lgkmcnt(0)
	s_add_u32 s20, s20, s16
	s_addc_u32 s21, s21, s17
	s_ashr_i32 s28, s1, 31
	v_lshlrev_b64 v[3:4], 1, v[7:8]
	s_mul_i32 s16, s18, s28
	s_mul_i32 s24, s18, s1
	s_add_i32 s0, s0, s16
	s_lshl_b64 s[16:17], s[8:9], 1
	s_add_i32 s25, s0, s19
	v_add_co_u32 v1, vcc_lo, s20, v1
	s_lshl_b64 s[8:9], s[24:25], 1
	s_mul_hi_u32 s27, s10, s1
	s_mul_i32 s26, s10, s1
	s_mul_i32 s0, s10, s28
	s_add_u32 s10, s22, s16
	v_add_co_ci_u32_e32 v2, vcc_lo, s21, v2, vcc_lo
	s_addc_u32 s16, s23, s17
	v_add_co_u32 v3, vcc_lo, s10, v3
	s_mul_i32 s11, s11, s1
	s_add_i32 s0, s27, s0
	v_add_co_ci_u32_e32 v4, vcc_lo, s16, v4, vcc_lo
	s_add_i32 s27, s0, s11
	s_mov_b32 s16, s3
	s_lshl_b64 s[10:11], s[26:27], 1
	s_mov_b32 s17, s3
	.p2align	6
.LBB152_2:                              ; =>This Inner Loop Header: Depth=1
	global_load_u16 v7, v[3:4], off
	global_load_u16 v8, v[1:2], off
	v_add_co_u32 v1, s0, v1, s8
	s_delay_alu instid0(VALU_DEP_1)
	v_add_co_ci_u32_e64 v2, s0, s9, v2, s0
	s_add_i32 s18, s17, 1
	v_cmp_le_i32_e32 vcc_lo, s13, v6
	v_add_co_u32 v3, s0, v3, s10
	s_cmp_gt_u32 s17, 6
	v_add_co_ci_u32_e64 v4, s0, s11, v4, s0
	s_cselect_b32 s0, -1, 0
	v_add_nc_u32_e32 v6, s1, v6
	s_or_b32 s0, s0, vcc_lo
	s_mov_b32 s17, s18
	s_and_b32 s0, exec_lo, s0
	s_delay_alu instid0(SALU_CYCLE_1)
	s_or_b32 s16, s0, s16
	s_waitcnt vmcnt(0)
	v_fmac_f16_e32 v5, v7, v8
	s_and_not1_b32 exec_lo, exec_lo, s16
	s_cbranch_execnz .LBB152_2
; %bb.3:
	s_or_b32 exec_lo, exec_lo, s16
.LBB152_4:
	s_delay_alu instid0(SALU_CYCLE_1) | instskip(SKIP_2) | instid1(VALU_DEP_2)
	s_or_b32 exec_lo, exec_lo, s15
	v_and_b32_e32 v2, 31, v0
	v_cmp_gt_u32_e32 vcc_lo, 32, v0
	v_lshlrev_b32_e32 v1, 1, v2
	s_and_saveexec_b32 s0, vcc_lo
	s_cbranch_execz .LBB152_6
; %bb.5:
	v_mov_b32_e32 v3, 0
	ds_store_b16 v1, v3
.LBB152_6:
	s_or_b32 exec_lo, exec_lo, s0
	v_mbcnt_lo_u32_b32 v6, -1, 0
	v_and_b32_e32 v4, 0xffff, v5
	s_mov_b32 s1, exec_lo
	s_waitcnt lgkmcnt(0)
	s_barrier
	v_cmp_gt_u32_e64 s0, 16, v6
	buffer_gl0_inv
	v_cndmask_b32_e64 v3, 0, 1, s0
	v_cmp_gt_u32_e64 s0, 24, v6
	s_delay_alu instid0(VALU_DEP_2) | instskip(NEXT) | instid1(VALU_DEP_1)
	v_lshlrev_b32_e32 v3, 4, v3
	v_add_lshl_u32 v3, v3, v6, 2
	ds_bpermute_b32 v4, v3, v4
	v_cndmask_b32_e64 v3, 0, 1, s0
	v_cmp_gt_u32_e64 s0, 28, v6
	s_delay_alu instid0(VALU_DEP_2) | instskip(NEXT) | instid1(VALU_DEP_1)
	v_lshlrev_b32_e32 v3, 3, v3
	v_add_lshl_u32 v3, v3, v6, 2
	s_waitcnt lgkmcnt(0)
	v_add_f16_e32 v5, v5, v4
	s_delay_alu instid0(VALU_DEP_1) | instskip(NEXT) | instid1(VALU_DEP_1)
	v_and_b32_e32 v7, 0xffff, v5
	v_and_or_b32 v4, 0xffff0000, v4, v7
	ds_bpermute_b32 v7, v3, v4
	v_cndmask_b32_e64 v4, 0, 1, s0
	v_cmp_gt_u32_e64 s0, 30, v6
	s_delay_alu instid0(VALU_DEP_2) | instskip(NEXT) | instid1(VALU_DEP_1)
	v_lshlrev_b32_e32 v4, 2, v4
	v_add_lshl_u32 v4, v4, v6, 2
	s_waitcnt lgkmcnt(0)
	v_add_f16_e32 v5, v5, v7
	s_delay_alu instid0(VALU_DEP_1) | instskip(NEXT) | instid1(VALU_DEP_1)
	v_and_b32_e32 v8, 0xffff, v5
	v_and_or_b32 v7, 0xffff0000, v7, v8
	v_cndmask_b32_e64 v8, 0, 1, s0
	v_cmp_ne_u32_e64 s0, 31, v6
	ds_bpermute_b32 v7, v4, v7
	s_waitcnt lgkmcnt(0)
	v_add_f16_e32 v9, v5, v7
	v_lshlrev_b32_e32 v5, 1, v8
	s_delay_alu instid0(VALU_DEP_2) | instskip(NEXT) | instid1(VALU_DEP_2)
	v_and_b32_e32 v8, 0xffff, v9
	v_add_lshl_u32 v5, v5, v6, 2
	v_add_co_ci_u32_e64 v6, s0, 0, v6, s0
	s_delay_alu instid0(VALU_DEP_3) | instskip(NEXT) | instid1(VALU_DEP_2)
	v_and_or_b32 v7, 0xffff0000, v7, v8
	v_lshlrev_b32_e32 v6, 2, v6
	ds_bpermute_b32 v8, v5, v7
	s_waitcnt lgkmcnt(0)
	v_add_f16_e32 v7, v9, v8
	s_delay_alu instid0(VALU_DEP_1) | instskip(NEXT) | instid1(VALU_DEP_1)
	v_and_b32_e32 v9, 0xffff, v7
	v_and_or_b32 v8, 0xffff0000, v8, v9
	ds_bpermute_b32 v8, v6, v8
	v_cmpx_eq_u32_e32 0, v2
	s_cbranch_execz .LBB152_8
; %bb.7:
	v_lshrrev_b32_e32 v2, 4, v0
	s_waitcnt lgkmcnt(0)
	v_add_f16_e32 v7, v7, v8
	s_delay_alu instid0(VALU_DEP_2)
	v_and_b32_e32 v2, 30, v2
	ds_store_b16 v2, v7
.LBB152_8:
	s_or_b32 exec_lo, exec_lo, s1
	v_mov_b32_e32 v2, 0
	s_mov_b32 s1, exec_lo
	s_waitcnt lgkmcnt(0)
	s_barrier
	buffer_gl0_inv
	v_cmpx_gt_u32_e32 16, v0
	s_cbranch_execz .LBB152_10
; %bb.9:
	ds_load_u16 v2, v1
.LBB152_10:
	s_or_b32 exec_lo, exec_lo, s1
	s_and_saveexec_b32 s0, vcc_lo
	s_cbranch_execz .LBB152_12
; %bb.11:
	s_waitcnt lgkmcnt(0)
	v_and_b32_e32 v1, 0xffff, v2
	ds_bpermute_b32 v1, v3, v1
	s_waitcnt lgkmcnt(0)
	v_add_f16_e32 v2, v2, v1
	s_delay_alu instid0(VALU_DEP_1) | instskip(NEXT) | instid1(VALU_DEP_1)
	v_and_b32_e32 v3, 0xffff, v2
	v_and_or_b32 v1, 0xffff0000, v1, v3
	ds_bpermute_b32 v1, v4, v1
	s_waitcnt lgkmcnt(0)
	v_add_f16_e32 v2, v2, v1
	s_delay_alu instid0(VALU_DEP_1) | instskip(NEXT) | instid1(VALU_DEP_1)
	v_and_b32_e32 v3, 0xffff, v2
	v_and_or_b32 v1, 0xffff0000, v1, v3
	;; [unrolled: 6-line block ×3, first 2 shown]
	ds_bpermute_b32 v1, v6, v1
	s_waitcnt lgkmcnt(0)
	v_add_f16_e32 v2, v2, v1
.LBB152_12:
	s_or_b32 exec_lo, exec_lo, s0
	s_delay_alu instid0(SALU_CYCLE_1)
	s_mov_b32 s0, exec_lo
	v_cmpx_eq_u32_e32 0, v0
	s_cbranch_execz .LBB152_18
; %bb.13:
	s_cmp_lg_u32 s12, 1
	s_cbranch_scc0 .LBB152_15
; %bb.14:
	s_mul_hi_u32 s1, s12, s2
	s_mul_i32 s0, s12, s2
	s_mov_b32 s15, 0
	s_lshl_b64 s[0:1], s[0:1], 1
	s_delay_alu instid0(SALU_CYCLE_1) | instskip(SKIP_2) | instid1(SALU_CYCLE_1)
	s_add_u32 s4, s4, s0
	s_addc_u32 s5, s5, s1
	s_lshl_b64 s[0:1], s[14:15], 1
	s_add_u32 s0, s4, s0
	s_addc_u32 s1, s5, s1
	s_cbranch_execz .LBB152_16
	s_branch .LBB152_17
.LBB152_15:
                                        ; implicit-def: $sgpr0_sgpr1
.LBB152_16:
	s_lshl_b64 s[0:1], s[2:3], 1
	s_delay_alu instid0(SALU_CYCLE_1)
	s_add_u32 s0, s6, s0
	s_addc_u32 s1, s7, s1
.LBB152_17:
	v_mov_b32_e32 v0, 0
	s_waitcnt lgkmcnt(0)
	global_store_b16 v0, v2, s[0:1]
.LBB152_18:
	s_nop 0
	s_sendmsg sendmsg(MSG_DEALLOC_VGPRS)
	s_endpgm
	.section	.rodata,"a",@progbits
	.p2align	6, 0x0
	.amdhsa_kernel _ZL18rocblas_dot_kernelIlLb0ELi512ELi8ELb0EDF16_PKPKDF16_DF16_EviT5_lT_lS4_lS5_liPT6_PT4_
		.amdhsa_group_segment_fixed_size 64
		.amdhsa_private_segment_fixed_size 0
		.amdhsa_kernarg_size 352
		.amdhsa_user_sgpr_count 14
		.amdhsa_user_sgpr_dispatch_ptr 0
		.amdhsa_user_sgpr_queue_ptr 0
		.amdhsa_user_sgpr_kernarg_segment_ptr 1
		.amdhsa_user_sgpr_dispatch_id 0
		.amdhsa_user_sgpr_private_segment_size 0
		.amdhsa_wavefront_size32 1
		.amdhsa_uses_dynamic_stack 0
		.amdhsa_enable_private_segment 0
		.amdhsa_system_sgpr_workgroup_id_x 1
		.amdhsa_system_sgpr_workgroup_id_y 0
		.amdhsa_system_sgpr_workgroup_id_z 1
		.amdhsa_system_sgpr_workgroup_info 0
		.amdhsa_system_vgpr_workitem_id 0
		.amdhsa_next_free_vgpr 12
		.amdhsa_next_free_sgpr 29
		.amdhsa_reserve_vcc 1
		.amdhsa_float_round_mode_32 0
		.amdhsa_float_round_mode_16_64 0
		.amdhsa_float_denorm_mode_32 3
		.amdhsa_float_denorm_mode_16_64 3
		.amdhsa_dx10_clamp 1
		.amdhsa_ieee_mode 1
		.amdhsa_fp16_overflow 0
		.amdhsa_workgroup_processor_mode 1
		.amdhsa_memory_ordered 1
		.amdhsa_forward_progress 0
		.amdhsa_shared_vgpr_count 0
		.amdhsa_exception_fp_ieee_invalid_op 0
		.amdhsa_exception_fp_denorm_src 0
		.amdhsa_exception_fp_ieee_div_zero 0
		.amdhsa_exception_fp_ieee_overflow 0
		.amdhsa_exception_fp_ieee_underflow 0
		.amdhsa_exception_fp_ieee_inexact 0
		.amdhsa_exception_int_div_zero 0
	.end_amdhsa_kernel
	.section	.text._ZL18rocblas_dot_kernelIlLb0ELi512ELi8ELb0EDF16_PKPKDF16_DF16_EviT5_lT_lS4_lS5_liPT6_PT4_,"axG",@progbits,_ZL18rocblas_dot_kernelIlLb0ELi512ELi8ELb0EDF16_PKPKDF16_DF16_EviT5_lT_lS4_lS5_liPT6_PT4_,comdat
.Lfunc_end152:
	.size	_ZL18rocblas_dot_kernelIlLb0ELi512ELi8ELb0EDF16_PKPKDF16_DF16_EviT5_lT_lS4_lS5_liPT6_PT4_, .Lfunc_end152-_ZL18rocblas_dot_kernelIlLb0ELi512ELi8ELb0EDF16_PKPKDF16_DF16_EviT5_lT_lS4_lS5_liPT6_PT4_
                                        ; -- End function
	.section	.AMDGPU.csdata,"",@progbits
; Kernel info:
; codeLenInByte = 1236
; NumSgprs: 31
; NumVgprs: 12
; ScratchSize: 0
; MemoryBound: 0
; FloatMode: 240
; IeeeMode: 1
; LDSByteSize: 64 bytes/workgroup (compile time only)
; SGPRBlocks: 3
; VGPRBlocks: 1
; NumSGPRsForWavesPerEU: 31
; NumVGPRsForWavesPerEU: 12
; Occupancy: 16
; WaveLimiterHint : 0
; COMPUTE_PGM_RSRC2:SCRATCH_EN: 0
; COMPUTE_PGM_RSRC2:USER_SGPR: 14
; COMPUTE_PGM_RSRC2:TRAP_HANDLER: 0
; COMPUTE_PGM_RSRC2:TGID_X_EN: 1
; COMPUTE_PGM_RSRC2:TGID_Y_EN: 0
; COMPUTE_PGM_RSRC2:TGID_Z_EN: 1
; COMPUTE_PGM_RSRC2:TIDIG_COMP_CNT: 0
	.section	.text._ZL24rocblas_dot_kernel_magsqIlLb0ELi512ELi8ELb0EDF16_PKPKDF16_DF16_EviT5_lT_liPT6_PT4_,"axG",@progbits,_ZL24rocblas_dot_kernel_magsqIlLb0ELi512ELi8ELb0EDF16_PKPKDF16_DF16_EviT5_lT_liPT6_PT4_,comdat
	.globl	_ZL24rocblas_dot_kernel_magsqIlLb0ELi512ELi8ELb0EDF16_PKPKDF16_DF16_EviT5_lT_liPT6_PT4_ ; -- Begin function _ZL24rocblas_dot_kernel_magsqIlLb0ELi512ELi8ELb0EDF16_PKPKDF16_DF16_EviT5_lT_liPT6_PT4_
	.p2align	8
	.type	_ZL24rocblas_dot_kernel_magsqIlLb0ELi512ELi8ELb0EDF16_PKPKDF16_DF16_EviT5_lT_liPT6_PT4_,@function
_ZL24rocblas_dot_kernel_magsqIlLb0ELi512ELi8ELb0EDF16_PKPKDF16_DF16_EviT5_lT_liPT6_PT4_: ; @_ZL24rocblas_dot_kernel_magsqIlLb0ELi512ELi8ELb0EDF16_PKPKDF16_DF16_EviT5_lT_liPT6_PT4_
; %bb.0:
	s_clause 0x2
	s_load_b32 s11, s[0:1], 0x0
	s_load_b128 s[4:7], s[0:1], 0x30
	s_load_b32 s10, s[0:1], 0x40
	v_lshl_or_b32 v1, s14, 9, v0
	v_mov_b32_e32 v3, 0
	s_mov_b32 s8, s15
	s_mov_b32 s9, 0
	s_mov_b32 s12, exec_lo
	s_waitcnt lgkmcnt(0)
	v_cmpx_gt_i32_e64 s11, v1
	s_cbranch_execz .LBB153_4
; %bb.1:
	s_clause 0x1
	s_load_b64 s[16:17], s[0:1], 0x8
	s_load_b128 s[0:3], s[0:1], 0x10
	s_lshl_b64 s[18:19], s[8:9], 3
	v_ashrrev_i32_e32 v2, 31, v1
	s_waitcnt lgkmcnt(0)
	s_add_u32 s16, s16, s18
	s_addc_u32 s17, s17, s19
	v_mul_lo_u32 v4, s3, v1
	s_load_b64 s[16:17], s[16:17], 0x0
	v_mul_lo_u32 v2, s2, v2
	v_mad_u64_u32 v[5:6], null, s2, v1, 0
	s_lshl_b32 s13, s10, 9
	v_mov_b32_e32 v3, 0
	s_lshl_b64 s[0:1], s[0:1], 1
	s_mul_hi_u32 s15, s2, s13
	s_mul_i32 s3, s3, s13
	s_delay_alu instid0(VALU_DEP_2) | instskip(SKIP_1) | instid1(VALU_DEP_2)
	v_add3_u32 v6, v6, v2, v4
	v_add_nc_u32_e32 v4, s13, v1
	v_lshlrev_b64 v[1:2], 1, v[5:6]
	s_waitcnt lgkmcnt(0)
	s_add_u32 s0, s16, s0
	s_addc_u32 s1, s17, s1
	s_ashr_i32 s16, s13, 31
	s_delay_alu instid0(VALU_DEP_1)
	v_add_co_u32 v1, vcc_lo, s0, v1
	s_mul_i32 s16, s2, s16
	v_add_co_ci_u32_e32 v2, vcc_lo, s1, v2, vcc_lo
	s_add_i32 s15, s15, s16
	s_mul_i32 s2, s2, s13
	s_add_i32 s3, s15, s3
	s_mov_b32 s1, s9
	s_lshl_b64 s[2:3], s[2:3], 1
	s_mov_b32 s15, s9
	.p2align	6
.LBB153_2:                              ; =>This Inner Loop Header: Depth=1
	global_load_u16 v5, v[1:2], off
	s_add_i32 s16, s15, 1
	v_cmp_le_i32_e32 vcc_lo, s11, v4
	v_add_co_u32 v1, s0, v1, s2
	s_cmp_gt_u32 s15, 6
	v_add_co_ci_u32_e64 v2, s0, s3, v2, s0
	s_cselect_b32 s0, -1, 0
	v_add_nc_u32_e32 v4, s13, v4
	s_or_b32 s0, s0, vcc_lo
	s_mov_b32 s15, s16
	s_and_b32 s0, exec_lo, s0
	s_delay_alu instid0(SALU_CYCLE_1)
	s_or_b32 s1, s0, s1
	s_waitcnt vmcnt(0)
	v_fmac_f16_e32 v3, v5, v5
	s_and_not1_b32 exec_lo, exec_lo, s1
	s_cbranch_execnz .LBB153_2
; %bb.3:
	s_or_b32 exec_lo, exec_lo, s1
.LBB153_4:
	s_delay_alu instid0(SALU_CYCLE_1) | instskip(SKIP_2) | instid1(VALU_DEP_2)
	s_or_b32 exec_lo, exec_lo, s12
	v_and_b32_e32 v2, 31, v0
	v_cmp_gt_u32_e32 vcc_lo, 32, v0
	v_lshlrev_b32_e32 v1, 1, v2
	s_and_saveexec_b32 s0, vcc_lo
	s_cbranch_execz .LBB153_6
; %bb.5:
	v_mov_b32_e32 v4, 0
	ds_store_b16 v1, v4
.LBB153_6:
	s_or_b32 exec_lo, exec_lo, s0
	v_mbcnt_lo_u32_b32 v6, -1, 0
	v_and_b32_e32 v5, 0xffff, v3
	s_mov_b32 s1, exec_lo
	s_waitcnt lgkmcnt(0)
	s_barrier
	v_cmp_gt_u32_e64 s0, 16, v6
	buffer_gl0_inv
	v_cndmask_b32_e64 v4, 0, 1, s0
	v_cmp_gt_u32_e64 s0, 24, v6
	s_delay_alu instid0(VALU_DEP_2) | instskip(NEXT) | instid1(VALU_DEP_1)
	v_lshlrev_b32_e32 v4, 4, v4
	v_add_lshl_u32 v4, v4, v6, 2
	ds_bpermute_b32 v4, v4, v5
	v_cndmask_b32_e64 v5, 0, 1, s0
	v_cmp_gt_u32_e64 s0, 28, v6
	s_waitcnt lgkmcnt(0)
	v_add_f16_e32 v7, v3, v4
	s_delay_alu instid0(VALU_DEP_3) | instskip(NEXT) | instid1(VALU_DEP_2)
	v_lshlrev_b32_e32 v3, 3, v5
	v_and_b32_e32 v5, 0xffff, v7
	s_delay_alu instid0(VALU_DEP_2) | instskip(NEXT) | instid1(VALU_DEP_2)
	v_add_lshl_u32 v3, v3, v6, 2
	v_and_or_b32 v4, 0xffff0000, v4, v5
	ds_bpermute_b32 v5, v3, v4
	v_cndmask_b32_e64 v4, 0, 1, s0
	v_cmp_gt_u32_e64 s0, 30, v6
	s_delay_alu instid0(VALU_DEP_2) | instskip(NEXT) | instid1(VALU_DEP_1)
	v_lshlrev_b32_e32 v4, 2, v4
	v_add_lshl_u32 v4, v4, v6, 2
	s_waitcnt lgkmcnt(0)
	v_add_f16_e32 v7, v7, v5
	s_delay_alu instid0(VALU_DEP_1) | instskip(NEXT) | instid1(VALU_DEP_1)
	v_and_b32_e32 v8, 0xffff, v7
	v_and_or_b32 v5, 0xffff0000, v5, v8
	ds_bpermute_b32 v8, v4, v5
	v_cndmask_b32_e64 v5, 0, 1, s0
	v_cmp_ne_u32_e64 s0, 31, v6
	s_delay_alu instid0(VALU_DEP_2) | instskip(NEXT) | instid1(VALU_DEP_1)
	v_lshlrev_b32_e32 v5, 1, v5
	v_add_lshl_u32 v5, v5, v6, 2
	s_delay_alu instid0(VALU_DEP_3) | instskip(NEXT) | instid1(VALU_DEP_1)
	v_add_co_ci_u32_e64 v6, s0, 0, v6, s0
	v_lshlrev_b32_e32 v6, 2, v6
	s_waitcnt lgkmcnt(0)
	v_add_f16_e32 v7, v7, v8
	s_delay_alu instid0(VALU_DEP_1) | instskip(NEXT) | instid1(VALU_DEP_1)
	v_and_b32_e32 v9, 0xffff, v7
	v_and_or_b32 v8, 0xffff0000, v8, v9
	ds_bpermute_b32 v8, v5, v8
	s_waitcnt lgkmcnt(0)
	v_add_f16_e32 v7, v7, v8
	s_delay_alu instid0(VALU_DEP_1) | instskip(NEXT) | instid1(VALU_DEP_1)
	v_and_b32_e32 v9, 0xffff, v7
	v_and_or_b32 v8, 0xffff0000, v8, v9
	ds_bpermute_b32 v8, v6, v8
	v_cmpx_eq_u32_e32 0, v2
	s_cbranch_execz .LBB153_8
; %bb.7:
	v_lshrrev_b32_e32 v2, 4, v0
	s_waitcnt lgkmcnt(0)
	v_add_f16_e32 v7, v7, v8
	s_delay_alu instid0(VALU_DEP_2)
	v_and_b32_e32 v2, 30, v2
	ds_store_b16 v2, v7
.LBB153_8:
	s_or_b32 exec_lo, exec_lo, s1
	v_mov_b32_e32 v2, 0
	s_mov_b32 s1, exec_lo
	s_waitcnt lgkmcnt(0)
	s_barrier
	buffer_gl0_inv
	v_cmpx_gt_u32_e32 16, v0
	s_cbranch_execz .LBB153_10
; %bb.9:
	ds_load_u16 v2, v1
.LBB153_10:
	s_or_b32 exec_lo, exec_lo, s1
	s_and_saveexec_b32 s0, vcc_lo
	s_cbranch_execz .LBB153_12
; %bb.11:
	s_waitcnt lgkmcnt(0)
	v_and_b32_e32 v1, 0xffff, v2
	ds_bpermute_b32 v1, v3, v1
	s_waitcnt lgkmcnt(0)
	v_add_f16_e32 v2, v2, v1
	s_delay_alu instid0(VALU_DEP_1) | instskip(NEXT) | instid1(VALU_DEP_1)
	v_and_b32_e32 v3, 0xffff, v2
	v_and_or_b32 v1, 0xffff0000, v1, v3
	ds_bpermute_b32 v1, v4, v1
	s_waitcnt lgkmcnt(0)
	v_add_f16_e32 v2, v2, v1
	s_delay_alu instid0(VALU_DEP_1) | instskip(NEXT) | instid1(VALU_DEP_1)
	v_and_b32_e32 v3, 0xffff, v2
	v_and_or_b32 v1, 0xffff0000, v1, v3
	;; [unrolled: 6-line block ×3, first 2 shown]
	ds_bpermute_b32 v1, v6, v1
	s_waitcnt lgkmcnt(0)
	v_add_f16_e32 v2, v2, v1
.LBB153_12:
	s_or_b32 exec_lo, exec_lo, s0
	s_delay_alu instid0(SALU_CYCLE_1)
	s_mov_b32 s0, exec_lo
	v_cmpx_eq_u32_e32 0, v0
	s_cbranch_execz .LBB153_18
; %bb.13:
	s_cmp_lg_u32 s10, 1
	s_cbranch_scc0 .LBB153_15
; %bb.14:
	s_mul_hi_u32 s1, s10, s8
	s_mul_i32 s0, s10, s8
	s_mov_b32 s15, 0
	s_lshl_b64 s[0:1], s[0:1], 1
	s_delay_alu instid0(SALU_CYCLE_1) | instskip(SKIP_2) | instid1(SALU_CYCLE_1)
	s_add_u32 s2, s4, s0
	s_addc_u32 s3, s5, s1
	s_lshl_b64 s[0:1], s[14:15], 1
	s_add_u32 s0, s2, s0
	s_addc_u32 s1, s3, s1
	s_cbranch_execz .LBB153_16
	s_branch .LBB153_17
.LBB153_15:
                                        ; implicit-def: $sgpr0_sgpr1
.LBB153_16:
	s_lshl_b64 s[0:1], s[8:9], 1
	s_delay_alu instid0(SALU_CYCLE_1)
	s_add_u32 s0, s6, s0
	s_addc_u32 s1, s7, s1
.LBB153_17:
	v_mov_b32_e32 v0, 0
	s_waitcnt lgkmcnt(0)
	global_store_b16 v0, v2, s[0:1]
.LBB153_18:
	s_nop 0
	s_sendmsg sendmsg(MSG_DEALLOC_VGPRS)
	s_endpgm
	.section	.rodata,"a",@progbits
	.p2align	6, 0x0
	.amdhsa_kernel _ZL24rocblas_dot_kernel_magsqIlLb0ELi512ELi8ELb0EDF16_PKPKDF16_DF16_EviT5_lT_liPT6_PT4_
		.amdhsa_group_segment_fixed_size 64
		.amdhsa_private_segment_fixed_size 0
		.amdhsa_kernarg_size 320
		.amdhsa_user_sgpr_count 14
		.amdhsa_user_sgpr_dispatch_ptr 0
		.amdhsa_user_sgpr_queue_ptr 0
		.amdhsa_user_sgpr_kernarg_segment_ptr 1
		.amdhsa_user_sgpr_dispatch_id 0
		.amdhsa_user_sgpr_private_segment_size 0
		.amdhsa_wavefront_size32 1
		.amdhsa_uses_dynamic_stack 0
		.amdhsa_enable_private_segment 0
		.amdhsa_system_sgpr_workgroup_id_x 1
		.amdhsa_system_sgpr_workgroup_id_y 0
		.amdhsa_system_sgpr_workgroup_id_z 1
		.amdhsa_system_sgpr_workgroup_info 0
		.amdhsa_system_vgpr_workitem_id 0
		.amdhsa_next_free_vgpr 10
		.amdhsa_next_free_sgpr 20
		.amdhsa_reserve_vcc 1
		.amdhsa_float_round_mode_32 0
		.amdhsa_float_round_mode_16_64 0
		.amdhsa_float_denorm_mode_32 3
		.amdhsa_float_denorm_mode_16_64 3
		.amdhsa_dx10_clamp 1
		.amdhsa_ieee_mode 1
		.amdhsa_fp16_overflow 0
		.amdhsa_workgroup_processor_mode 1
		.amdhsa_memory_ordered 1
		.amdhsa_forward_progress 0
		.amdhsa_shared_vgpr_count 0
		.amdhsa_exception_fp_ieee_invalid_op 0
		.amdhsa_exception_fp_denorm_src 0
		.amdhsa_exception_fp_ieee_div_zero 0
		.amdhsa_exception_fp_ieee_overflow 0
		.amdhsa_exception_fp_ieee_underflow 0
		.amdhsa_exception_fp_ieee_inexact 0
		.amdhsa_exception_int_div_zero 0
	.end_amdhsa_kernel
	.section	.text._ZL24rocblas_dot_kernel_magsqIlLb0ELi512ELi8ELb0EDF16_PKPKDF16_DF16_EviT5_lT_liPT6_PT4_,"axG",@progbits,_ZL24rocblas_dot_kernel_magsqIlLb0ELi512ELi8ELb0EDF16_PKPKDF16_DF16_EviT5_lT_liPT6_PT4_,comdat
.Lfunc_end153:
	.size	_ZL24rocblas_dot_kernel_magsqIlLb0ELi512ELi8ELb0EDF16_PKPKDF16_DF16_EviT5_lT_liPT6_PT4_, .Lfunc_end153-_ZL24rocblas_dot_kernel_magsqIlLb0ELi512ELi8ELb0EDF16_PKPKDF16_DF16_EviT5_lT_liPT6_PT4_
                                        ; -- End function
	.section	.AMDGPU.csdata,"",@progbits
; Kernel info:
; codeLenInByte = 1088
; NumSgprs: 22
; NumVgprs: 10
; ScratchSize: 0
; MemoryBound: 0
; FloatMode: 240
; IeeeMode: 1
; LDSByteSize: 64 bytes/workgroup (compile time only)
; SGPRBlocks: 2
; VGPRBlocks: 1
; NumSGPRsForWavesPerEU: 22
; NumVGPRsForWavesPerEU: 10
; Occupancy: 16
; WaveLimiterHint : 0
; COMPUTE_PGM_RSRC2:SCRATCH_EN: 0
; COMPUTE_PGM_RSRC2:USER_SGPR: 14
; COMPUTE_PGM_RSRC2:TRAP_HANDLER: 0
; COMPUTE_PGM_RSRC2:TGID_X_EN: 1
; COMPUTE_PGM_RSRC2:TGID_Y_EN: 0
; COMPUTE_PGM_RSRC2:TGID_Z_EN: 1
; COMPUTE_PGM_RSRC2:TIDIG_COMP_CNT: 0
	.section	.text._ZL28rocblas_dot_batched_4_kernelIiLi32ELi4ELb0Ef16rocblas_bfloat16PKPKS0_EviT5_lT_lS5_lS6_liPT4_,"axG",@progbits,_ZL28rocblas_dot_batched_4_kernelIiLi32ELi4ELb0Ef16rocblas_bfloat16PKPKS0_EviT5_lT_lS5_lS6_liPT4_,comdat
	.globl	_ZL28rocblas_dot_batched_4_kernelIiLi32ELi4ELb0Ef16rocblas_bfloat16PKPKS0_EviT5_lT_lS5_lS6_liPT4_ ; -- Begin function _ZL28rocblas_dot_batched_4_kernelIiLi32ELi4ELb0Ef16rocblas_bfloat16PKPKS0_EviT5_lT_lS5_lS6_liPT4_
	.p2align	8
	.type	_ZL28rocblas_dot_batched_4_kernelIiLi32ELi4ELb0Ef16rocblas_bfloat16PKPKS0_EviT5_lT_lS5_lS6_liPT4_,@function
_ZL28rocblas_dot_batched_4_kernelIiLi32ELi4ELb0Ef16rocblas_bfloat16PKPKS0_EviT5_lT_lS5_lS6_liPT4_: ; @_ZL28rocblas_dot_batched_4_kernelIiLi32ELi4ELb0Ef16rocblas_bfloat16PKPKS0_EviT5_lT_lS5_lS6_liPT4_
; %bb.0:
	s_load_b32 s2, s[0:1], 0x48
	v_bfe_u32 v1, v0, 10, 10
	s_delay_alu instid0(VALU_DEP_1) | instskip(SKIP_1) | instid1(VALU_DEP_1)
	v_lshl_add_u32 v1, s15, 2, v1
	s_waitcnt lgkmcnt(0)
	v_cmp_gt_u32_e32 vcc_lo, s2, v1
	s_and_saveexec_b32 s2, vcc_lo
	s_cbranch_execz .LBB154_11
; %bb.1:
	s_clause 0x1
	s_load_b32 s12, s[0:1], 0x0
	s_load_b64 s[2:3], s[0:1], 0x50
	v_mov_b32_e32 v2, 0
	v_and_b32_e32 v0, 0x3ff, v0
	s_mov_b32 s13, exec_lo
	s_delay_alu instid0(VALU_DEP_2) | instskip(SKIP_1) | instid1(VALU_DEP_2)
	v_mov_b32_e32 v7, v2
	s_waitcnt lgkmcnt(0)
	v_cmpx_gt_i32_e64 s12, v0
	s_cbranch_execz .LBB154_5
; %bb.2:
	s_clause 0x1
	s_load_b128 s[4:7], s[0:1], 0x8
	s_load_b128 s[8:11], s[0:1], 0x28
	v_lshlrev_b64 v[3:4], 3, v[1:2]
	s_clause 0x1
	s_load_b32 s14, s[0:1], 0x18
	s_load_b32 s0, s[0:1], 0x38
	v_mov_b32_e32 v7, 0
	s_waitcnt lgkmcnt(0)
	v_add_co_u32 v5, vcc_lo, s4, v3
	v_add_co_ci_u32_e32 v6, vcc_lo, s5, v4, vcc_lo
	v_add_co_u32 v3, vcc_lo, s8, v3
	v_add_co_ci_u32_e32 v4, vcc_lo, s9, v4, vcc_lo
	v_mad_i64_i32 v[10:11], null, s0, v0, 0
	global_load_b64 v[5:6], v[5:6], off
	global_load_b64 v[8:9], v[3:4], off
	v_mad_i64_i32 v[3:4], null, s14, v0, 0
	s_lshl_b64 s[4:5], s[6:7], 1
	s_lshl_b64 s[6:7], s[10:11], 1
	s_ashr_i32 s15, s14, 31
	v_lshlrev_b64 v[10:11], 1, v[10:11]
	s_ashr_i32 s1, s0, 31
	s_delay_alu instid0(VALU_DEP_2) | instskip(NEXT) | instid1(VALU_DEP_1)
	v_lshlrev_b64 v[3:4], 1, v[3:4]
	v_add_co_u32 v3, vcc_lo, v3, s4
	s_delay_alu instid0(VALU_DEP_2) | instskip(NEXT) | instid1(VALU_DEP_4)
	v_add_co_ci_u32_e32 v4, vcc_lo, s5, v4, vcc_lo
	v_add_co_u32 v10, vcc_lo, v10, s6
	v_add_co_ci_u32_e32 v11, vcc_lo, s7, v11, vcc_lo
	s_lshl_b64 s[4:5], s[14:15], 6
	s_lshl_b64 s[6:7], s[0:1], 6
	s_mov_b32 s1, 0
	s_waitcnt vmcnt(1)
	v_add_co_u32 v3, vcc_lo, v5, v3
	v_add_co_ci_u32_e32 v4, vcc_lo, v6, v4, vcc_lo
	s_waitcnt vmcnt(0)
	v_add_co_u32 v5, vcc_lo, v8, v10
	v_mov_b32_e32 v8, v0
	v_add_co_ci_u32_e32 v6, vcc_lo, v9, v11, vcc_lo
	.p2align	6
.LBB154_3:                              ; =>This Inner Loop Header: Depth=1
	global_load_u16 v9, v[5:6], off
	global_load_u16 v10, v[3:4], off
	v_add_co_u32 v3, vcc_lo, v3, s4
	v_add_co_ci_u32_e32 v4, vcc_lo, s5, v4, vcc_lo
	v_add_co_u32 v5, vcc_lo, v5, s6
	v_add_co_ci_u32_e32 v6, vcc_lo, s7, v6, vcc_lo
	s_waitcnt vmcnt(1)
	v_lshlrev_b32_e32 v9, 16, v9
	s_waitcnt vmcnt(0)
	v_lshlrev_b32_e32 v10, 16, v10
	s_delay_alu instid0(VALU_DEP_1) | instskip(NEXT) | instid1(VALU_DEP_1)
	v_dual_fmac_f32 v7, v10, v9 :: v_dual_add_nc_u32 v8, 32, v8
	v_cmp_le_i32_e64 s0, s12, v8
	s_delay_alu instid0(VALU_DEP_1) | instskip(NEXT) | instid1(SALU_CYCLE_1)
	s_or_b32 s1, s0, s1
	s_and_not1_b32 exec_lo, exec_lo, s1
	s_cbranch_execnz .LBB154_3
; %bb.4:
	s_or_b32 exec_lo, exec_lo, s1
.LBB154_5:
	s_delay_alu instid0(SALU_CYCLE_1)
	s_or_b32 exec_lo, exec_lo, s13
	v_mbcnt_lo_u32_b32 v3, -1, 0
	s_barrier
	buffer_gl0_inv
	v_cmp_gt_u32_e32 vcc_lo, 16, v3
	v_cndmask_b32_e64 v4, 0, 1, vcc_lo
	v_cmp_gt_u32_e32 vcc_lo, 24, v3
	s_delay_alu instid0(VALU_DEP_2) | instskip(SKIP_2) | instid1(VALU_DEP_3)
	v_lshlrev_b32_e32 v4, 4, v4
	v_cndmask_b32_e64 v5, 0, 1, vcc_lo
	v_cmp_gt_u32_e32 vcc_lo, 28, v3
	v_add_lshl_u32 v4, v4, v3, 2
	v_cndmask_b32_e64 v6, 0, 1, vcc_lo
	v_cmp_gt_u32_e32 vcc_lo, 30, v3
	ds_bpermute_b32 v4, v4, v7
	v_lshlrev_b32_e32 v5, 3, v5
	v_lshlrev_b32_e32 v6, 2, v6
	s_delay_alu instid0(VALU_DEP_1)
	v_add_lshl_u32 v6, v6, v3, 2
	s_waitcnt lgkmcnt(0)
	v_add_f32_e32 v4, v7, v4
	v_add_lshl_u32 v5, v5, v3, 2
	ds_bpermute_b32 v5, v5, v4
	s_waitcnt lgkmcnt(0)
	v_add_f32_e32 v4, v4, v5
	ds_bpermute_b32 v5, v6, v4
	v_cndmask_b32_e64 v6, 0, 1, vcc_lo
	v_cmp_ne_u32_e32 vcc_lo, 31, v3
	s_delay_alu instid0(VALU_DEP_2) | instskip(NEXT) | instid1(VALU_DEP_1)
	v_lshlrev_b32_e32 v6, 1, v6
	v_add_lshl_u32 v6, v6, v3, 2
	s_waitcnt lgkmcnt(0)
	v_add_f32_e32 v4, v4, v5
	ds_bpermute_b32 v5, v6, v4
	v_add_co_ci_u32_e32 v6, vcc_lo, 0, v3, vcc_lo
	v_cmp_eq_u32_e32 vcc_lo, 0, v0
	s_waitcnt lgkmcnt(0)
	s_delay_alu instid0(VALU_DEP_2)
	v_dual_add_f32 v3, v4, v5 :: v_dual_lshlrev_b32 v4, 2, v6
	ds_bpermute_b32 v4, v4, v3
	s_and_b32 exec_lo, exec_lo, vcc_lo
	s_cbranch_execz .LBB154_11
; %bb.6:
	s_waitcnt lgkmcnt(0)
	v_add_f32_e32 v3, v3, v4
	s_delay_alu instid0(VALU_DEP_1) | instskip(NEXT) | instid1(VALU_DEP_1)
	v_and_b32_e32 v0, 0x7f800000, v3
	v_cmp_ne_u32_e32 vcc_lo, 0x7f800000, v0
                                        ; implicit-def: $vgpr0
	s_and_saveexec_b32 s0, vcc_lo
	s_delay_alu instid0(SALU_CYCLE_1)
	s_xor_b32 s0, exec_lo, s0
; %bb.7:
	v_bfe_u32 v0, v3, 16, 1
	s_delay_alu instid0(VALU_DEP_1)
	v_add3_u32 v0, v3, v0, 0x7fff
                                        ; implicit-def: $vgpr3
; %bb.8:
	s_and_not1_saveexec_b32 s0, s0
; %bb.9:
	v_and_b32_e32 v0, 0xffff, v3
	v_or_b32_e32 v4, 0x10000, v3
	s_delay_alu instid0(VALU_DEP_2) | instskip(NEXT) | instid1(VALU_DEP_2)
	v_cmp_eq_u32_e32 vcc_lo, 0, v0
	v_cndmask_b32_e32 v0, v4, v3, vcc_lo
; %bb.10:
	s_or_b32 exec_lo, exec_lo, s0
	v_lshlrev_b64 v[1:2], 1, v[1:2]
	s_delay_alu instid0(VALU_DEP_1) | instskip(NEXT) | instid1(VALU_DEP_2)
	v_add_co_u32 v1, vcc_lo, s2, v1
	v_add_co_ci_u32_e32 v2, vcc_lo, s3, v2, vcc_lo
	global_store_d16_hi_b16 v[1:2], v0, off
.LBB154_11:
	s_nop 0
	s_sendmsg sendmsg(MSG_DEALLOC_VGPRS)
	s_endpgm
	.section	.rodata,"a",@progbits
	.p2align	6, 0x0
	.amdhsa_kernel _ZL28rocblas_dot_batched_4_kernelIiLi32ELi4ELb0Ef16rocblas_bfloat16PKPKS0_EviT5_lT_lS5_lS6_liPT4_
		.amdhsa_group_segment_fixed_size 0
		.amdhsa_private_segment_fixed_size 0
		.amdhsa_kernarg_size 88
		.amdhsa_user_sgpr_count 15
		.amdhsa_user_sgpr_dispatch_ptr 0
		.amdhsa_user_sgpr_queue_ptr 0
		.amdhsa_user_sgpr_kernarg_segment_ptr 1
		.amdhsa_user_sgpr_dispatch_id 0
		.amdhsa_user_sgpr_private_segment_size 0
		.amdhsa_wavefront_size32 1
		.amdhsa_uses_dynamic_stack 0
		.amdhsa_enable_private_segment 0
		.amdhsa_system_sgpr_workgroup_id_x 1
		.amdhsa_system_sgpr_workgroup_id_y 0
		.amdhsa_system_sgpr_workgroup_id_z 0
		.amdhsa_system_sgpr_workgroup_info 0
		.amdhsa_system_vgpr_workitem_id 1
		.amdhsa_next_free_vgpr 12
		.amdhsa_next_free_sgpr 16
		.amdhsa_reserve_vcc 1
		.amdhsa_float_round_mode_32 0
		.amdhsa_float_round_mode_16_64 0
		.amdhsa_float_denorm_mode_32 3
		.amdhsa_float_denorm_mode_16_64 3
		.amdhsa_dx10_clamp 1
		.amdhsa_ieee_mode 1
		.amdhsa_fp16_overflow 0
		.amdhsa_workgroup_processor_mode 1
		.amdhsa_memory_ordered 1
		.amdhsa_forward_progress 0
		.amdhsa_shared_vgpr_count 0
		.amdhsa_exception_fp_ieee_invalid_op 0
		.amdhsa_exception_fp_denorm_src 0
		.amdhsa_exception_fp_ieee_div_zero 0
		.amdhsa_exception_fp_ieee_overflow 0
		.amdhsa_exception_fp_ieee_underflow 0
		.amdhsa_exception_fp_ieee_inexact 0
		.amdhsa_exception_int_div_zero 0
	.end_amdhsa_kernel
	.section	.text._ZL28rocblas_dot_batched_4_kernelIiLi32ELi4ELb0Ef16rocblas_bfloat16PKPKS0_EviT5_lT_lS5_lS6_liPT4_,"axG",@progbits,_ZL28rocblas_dot_batched_4_kernelIiLi32ELi4ELb0Ef16rocblas_bfloat16PKPKS0_EviT5_lT_lS5_lS6_liPT4_,comdat
.Lfunc_end154:
	.size	_ZL28rocblas_dot_batched_4_kernelIiLi32ELi4ELb0Ef16rocblas_bfloat16PKPKS0_EviT5_lT_lS5_lS6_liPT4_, .Lfunc_end154-_ZL28rocblas_dot_batched_4_kernelIiLi32ELi4ELb0Ef16rocblas_bfloat16PKPKS0_EviT5_lT_lS5_lS6_liPT4_
                                        ; -- End function
	.section	.AMDGPU.csdata,"",@progbits
; Kernel info:
; codeLenInByte = 804
; NumSgprs: 18
; NumVgprs: 12
; ScratchSize: 0
; MemoryBound: 0
; FloatMode: 240
; IeeeMode: 1
; LDSByteSize: 0 bytes/workgroup (compile time only)
; SGPRBlocks: 2
; VGPRBlocks: 1
; NumSGPRsForWavesPerEU: 18
; NumVGPRsForWavesPerEU: 12
; Occupancy: 16
; WaveLimiterHint : 0
; COMPUTE_PGM_RSRC2:SCRATCH_EN: 0
; COMPUTE_PGM_RSRC2:USER_SGPR: 15
; COMPUTE_PGM_RSRC2:TRAP_HANDLER: 0
; COMPUTE_PGM_RSRC2:TGID_X_EN: 1
; COMPUTE_PGM_RSRC2:TGID_Y_EN: 0
; COMPUTE_PGM_RSRC2:TGID_Z_EN: 0
; COMPUTE_PGM_RSRC2:TIDIG_COMP_CNT: 1
	.section	.text._ZL28rocblas_dot_batched_4_kernelIiLi64ELi4ELb0Ef16rocblas_bfloat16PKPKS0_EviT5_lT_lS5_lS6_liPT4_,"axG",@progbits,_ZL28rocblas_dot_batched_4_kernelIiLi64ELi4ELb0Ef16rocblas_bfloat16PKPKS0_EviT5_lT_lS5_lS6_liPT4_,comdat
	.globl	_ZL28rocblas_dot_batched_4_kernelIiLi64ELi4ELb0Ef16rocblas_bfloat16PKPKS0_EviT5_lT_lS5_lS6_liPT4_ ; -- Begin function _ZL28rocblas_dot_batched_4_kernelIiLi64ELi4ELb0Ef16rocblas_bfloat16PKPKS0_EviT5_lT_lS5_lS6_liPT4_
	.p2align	8
	.type	_ZL28rocblas_dot_batched_4_kernelIiLi64ELi4ELb0Ef16rocblas_bfloat16PKPKS0_EviT5_lT_lS5_lS6_liPT4_,@function
_ZL28rocblas_dot_batched_4_kernelIiLi64ELi4ELb0Ef16rocblas_bfloat16PKPKS0_EviT5_lT_lS5_lS6_liPT4_: ; @_ZL28rocblas_dot_batched_4_kernelIiLi64ELi4ELb0Ef16rocblas_bfloat16PKPKS0_EviT5_lT_lS5_lS6_liPT4_
; %bb.0:
	s_load_b32 s2, s[0:1], 0x48
	v_bfe_u32 v1, v0, 10, 10
	s_delay_alu instid0(VALU_DEP_1) | instskip(SKIP_1) | instid1(VALU_DEP_1)
	v_lshl_add_u32 v1, s15, 2, v1
	s_waitcnt lgkmcnt(0)
	v_cmp_gt_u32_e32 vcc_lo, s2, v1
	s_and_saveexec_b32 s2, vcc_lo
	s_cbranch_execz .LBB155_11
; %bb.1:
	s_clause 0x1
	s_load_b32 s12, s[0:1], 0x0
	s_load_b64 s[2:3], s[0:1], 0x50
	v_mov_b32_e32 v2, 0
	v_and_b32_e32 v0, 0x3ff, v0
	s_mov_b32 s13, exec_lo
	s_delay_alu instid0(VALU_DEP_2) | instskip(SKIP_1) | instid1(VALU_DEP_2)
	v_mov_b32_e32 v7, v2
	s_waitcnt lgkmcnt(0)
	v_cmpx_gt_i32_e64 s12, v0
	s_cbranch_execz .LBB155_5
; %bb.2:
	s_clause 0x1
	s_load_b128 s[4:7], s[0:1], 0x8
	s_load_b128 s[8:11], s[0:1], 0x28
	v_lshlrev_b64 v[3:4], 3, v[1:2]
	s_clause 0x1
	s_load_b32 s14, s[0:1], 0x18
	s_load_b32 s0, s[0:1], 0x38
	v_mov_b32_e32 v7, 0
	s_waitcnt lgkmcnt(0)
	v_add_co_u32 v5, vcc_lo, s4, v3
	v_add_co_ci_u32_e32 v6, vcc_lo, s5, v4, vcc_lo
	v_add_co_u32 v3, vcc_lo, s8, v3
	v_add_co_ci_u32_e32 v4, vcc_lo, s9, v4, vcc_lo
	v_mad_i64_i32 v[10:11], null, s0, v0, 0
	global_load_b64 v[5:6], v[5:6], off
	global_load_b64 v[8:9], v[3:4], off
	v_mad_i64_i32 v[3:4], null, s14, v0, 0
	s_lshl_b64 s[4:5], s[6:7], 1
	s_lshl_b64 s[6:7], s[10:11], 1
	s_ashr_i32 s15, s14, 31
	v_lshlrev_b64 v[10:11], 1, v[10:11]
	s_ashr_i32 s1, s0, 31
	s_delay_alu instid0(VALU_DEP_2) | instskip(NEXT) | instid1(VALU_DEP_1)
	v_lshlrev_b64 v[3:4], 1, v[3:4]
	v_add_co_u32 v3, vcc_lo, v3, s4
	s_delay_alu instid0(VALU_DEP_2) | instskip(NEXT) | instid1(VALU_DEP_4)
	v_add_co_ci_u32_e32 v4, vcc_lo, s5, v4, vcc_lo
	v_add_co_u32 v10, vcc_lo, v10, s6
	v_add_co_ci_u32_e32 v11, vcc_lo, s7, v11, vcc_lo
	s_lshl_b64 s[4:5], s[14:15], 7
	s_lshl_b64 s[6:7], s[0:1], 7
	s_mov_b32 s1, 0
	s_waitcnt vmcnt(1)
	v_add_co_u32 v3, vcc_lo, v5, v3
	v_add_co_ci_u32_e32 v4, vcc_lo, v6, v4, vcc_lo
	s_waitcnt vmcnt(0)
	v_add_co_u32 v5, vcc_lo, v8, v10
	v_mov_b32_e32 v8, v0
	v_add_co_ci_u32_e32 v6, vcc_lo, v9, v11, vcc_lo
	.p2align	6
.LBB155_3:                              ; =>This Inner Loop Header: Depth=1
	global_load_u16 v9, v[5:6], off
	global_load_u16 v10, v[3:4], off
	v_add_co_u32 v3, vcc_lo, v3, s4
	v_add_co_ci_u32_e32 v4, vcc_lo, s5, v4, vcc_lo
	v_add_co_u32 v5, vcc_lo, v5, s6
	v_add_co_ci_u32_e32 v6, vcc_lo, s7, v6, vcc_lo
	s_waitcnt vmcnt(1)
	v_lshlrev_b32_e32 v9, 16, v9
	s_waitcnt vmcnt(0)
	v_lshlrev_b32_e32 v10, 16, v10
	s_delay_alu instid0(VALU_DEP_1) | instskip(NEXT) | instid1(VALU_DEP_1)
	v_dual_fmac_f32 v7, v10, v9 :: v_dual_add_nc_u32 v8, 64, v8
	v_cmp_le_i32_e64 s0, s12, v8
	s_delay_alu instid0(VALU_DEP_1) | instskip(NEXT) | instid1(SALU_CYCLE_1)
	s_or_b32 s1, s0, s1
	s_and_not1_b32 exec_lo, exec_lo, s1
	s_cbranch_execnz .LBB155_3
; %bb.4:
	s_or_b32 exec_lo, exec_lo, s1
.LBB155_5:
	s_delay_alu instid0(SALU_CYCLE_1)
	s_or_b32 exec_lo, exec_lo, s13
	v_mbcnt_lo_u32_b32 v3, -1, 0
	s_barrier
	buffer_gl0_inv
	v_lshlrev_b32_e32 v4, 2, v3
	v_cmp_gt_u32_e32 vcc_lo, 16, v3
	ds_bpermute_b32 v4, v4, v7
	v_cndmask_b32_e64 v5, 0, 1, vcc_lo
	v_cmp_gt_u32_e32 vcc_lo, 24, v3
	s_delay_alu instid0(VALU_DEP_2) | instskip(SKIP_2) | instid1(VALU_DEP_2)
	v_lshlrev_b32_e32 v5, 4, v5
	v_cndmask_b32_e64 v6, 0, 1, vcc_lo
	v_cmp_gt_u32_e32 vcc_lo, 28, v3
	v_lshlrev_b32_e32 v6, 3, v6
	s_delay_alu instid0(VALU_DEP_1)
	v_add_lshl_u32 v6, v6, v3, 2
	s_waitcnt lgkmcnt(0)
	v_add_f32_e32 v4, v7, v4
	v_add_lshl_u32 v5, v5, v3, 2
	ds_bpermute_b32 v5, v5, v4
	s_waitcnt lgkmcnt(0)
	v_add_f32_e32 v4, v4, v5
	ds_bpermute_b32 v5, v6, v4
	v_cndmask_b32_e64 v6, 0, 1, vcc_lo
	v_cmp_gt_u32_e32 vcc_lo, 30, v3
	s_delay_alu instid0(VALU_DEP_2) | instskip(NEXT) | instid1(VALU_DEP_1)
	v_lshlrev_b32_e32 v6, 2, v6
	v_add_lshl_u32 v6, v6, v3, 2
	s_waitcnt lgkmcnt(0)
	v_add_f32_e32 v4, v4, v5
	ds_bpermute_b32 v5, v6, v4
	v_cndmask_b32_e64 v6, 0, 1, vcc_lo
	v_cmp_ne_u32_e32 vcc_lo, 31, v3
	s_delay_alu instid0(VALU_DEP_2) | instskip(NEXT) | instid1(VALU_DEP_1)
	v_lshlrev_b32_e32 v6, 1, v6
	v_add_lshl_u32 v6, v6, v3, 2
	s_waitcnt lgkmcnt(0)
	v_add_f32_e32 v4, v4, v5
	ds_bpermute_b32 v5, v6, v4
	v_add_co_ci_u32_e32 v6, vcc_lo, 0, v3, vcc_lo
	v_cmp_eq_u32_e32 vcc_lo, 0, v0
	s_waitcnt lgkmcnt(0)
	s_delay_alu instid0(VALU_DEP_2)
	v_dual_add_f32 v3, v4, v5 :: v_dual_lshlrev_b32 v4, 2, v6
	ds_bpermute_b32 v4, v4, v3
	s_and_b32 exec_lo, exec_lo, vcc_lo
	s_cbranch_execz .LBB155_11
; %bb.6:
	s_waitcnt lgkmcnt(0)
	v_add_f32_e32 v3, v3, v4
	s_delay_alu instid0(VALU_DEP_1) | instskip(NEXT) | instid1(VALU_DEP_1)
	v_and_b32_e32 v0, 0x7f800000, v3
	v_cmp_ne_u32_e32 vcc_lo, 0x7f800000, v0
                                        ; implicit-def: $vgpr0
	s_and_saveexec_b32 s0, vcc_lo
	s_delay_alu instid0(SALU_CYCLE_1)
	s_xor_b32 s0, exec_lo, s0
; %bb.7:
	v_bfe_u32 v0, v3, 16, 1
	s_delay_alu instid0(VALU_DEP_1)
	v_add3_u32 v0, v3, v0, 0x7fff
                                        ; implicit-def: $vgpr3
; %bb.8:
	s_and_not1_saveexec_b32 s0, s0
; %bb.9:
	v_and_b32_e32 v0, 0xffff, v3
	v_or_b32_e32 v4, 0x10000, v3
	s_delay_alu instid0(VALU_DEP_2) | instskip(NEXT) | instid1(VALU_DEP_2)
	v_cmp_eq_u32_e32 vcc_lo, 0, v0
	v_cndmask_b32_e32 v0, v4, v3, vcc_lo
; %bb.10:
	s_or_b32 exec_lo, exec_lo, s0
	v_lshlrev_b64 v[1:2], 1, v[1:2]
	s_delay_alu instid0(VALU_DEP_1) | instskip(NEXT) | instid1(VALU_DEP_2)
	v_add_co_u32 v1, vcc_lo, s2, v1
	v_add_co_ci_u32_e32 v2, vcc_lo, s3, v2, vcc_lo
	global_store_d16_hi_b16 v[1:2], v0, off
.LBB155_11:
	s_nop 0
	s_sendmsg sendmsg(MSG_DEALLOC_VGPRS)
	s_endpgm
	.section	.rodata,"a",@progbits
	.p2align	6, 0x0
	.amdhsa_kernel _ZL28rocblas_dot_batched_4_kernelIiLi64ELi4ELb0Ef16rocblas_bfloat16PKPKS0_EviT5_lT_lS5_lS6_liPT4_
		.amdhsa_group_segment_fixed_size 0
		.amdhsa_private_segment_fixed_size 0
		.amdhsa_kernarg_size 88
		.amdhsa_user_sgpr_count 15
		.amdhsa_user_sgpr_dispatch_ptr 0
		.amdhsa_user_sgpr_queue_ptr 0
		.amdhsa_user_sgpr_kernarg_segment_ptr 1
		.amdhsa_user_sgpr_dispatch_id 0
		.amdhsa_user_sgpr_private_segment_size 0
		.amdhsa_wavefront_size32 1
		.amdhsa_uses_dynamic_stack 0
		.amdhsa_enable_private_segment 0
		.amdhsa_system_sgpr_workgroup_id_x 1
		.amdhsa_system_sgpr_workgroup_id_y 0
		.amdhsa_system_sgpr_workgroup_id_z 0
		.amdhsa_system_sgpr_workgroup_info 0
		.amdhsa_system_vgpr_workitem_id 1
		.amdhsa_next_free_vgpr 12
		.amdhsa_next_free_sgpr 16
		.amdhsa_reserve_vcc 1
		.amdhsa_float_round_mode_32 0
		.amdhsa_float_round_mode_16_64 0
		.amdhsa_float_denorm_mode_32 3
		.amdhsa_float_denorm_mode_16_64 3
		.amdhsa_dx10_clamp 1
		.amdhsa_ieee_mode 1
		.amdhsa_fp16_overflow 0
		.amdhsa_workgroup_processor_mode 1
		.amdhsa_memory_ordered 1
		.amdhsa_forward_progress 0
		.amdhsa_shared_vgpr_count 0
		.amdhsa_exception_fp_ieee_invalid_op 0
		.amdhsa_exception_fp_denorm_src 0
		.amdhsa_exception_fp_ieee_div_zero 0
		.amdhsa_exception_fp_ieee_overflow 0
		.amdhsa_exception_fp_ieee_underflow 0
		.amdhsa_exception_fp_ieee_inexact 0
		.amdhsa_exception_int_div_zero 0
	.end_amdhsa_kernel
	.section	.text._ZL28rocblas_dot_batched_4_kernelIiLi64ELi4ELb0Ef16rocblas_bfloat16PKPKS0_EviT5_lT_lS5_lS6_liPT4_,"axG",@progbits,_ZL28rocblas_dot_batched_4_kernelIiLi64ELi4ELb0Ef16rocblas_bfloat16PKPKS0_EviT5_lT_lS5_lS6_liPT4_,comdat
.Lfunc_end155:
	.size	_ZL28rocblas_dot_batched_4_kernelIiLi64ELi4ELb0Ef16rocblas_bfloat16PKPKS0_EviT5_lT_lS5_lS6_liPT4_, .Lfunc_end155-_ZL28rocblas_dot_batched_4_kernelIiLi64ELi4ELb0Ef16rocblas_bfloat16PKPKS0_EviT5_lT_lS5_lS6_liPT4_
                                        ; -- End function
	.section	.AMDGPU.csdata,"",@progbits
; Kernel info:
; codeLenInByte = 828
; NumSgprs: 18
; NumVgprs: 12
; ScratchSize: 0
; MemoryBound: 0
; FloatMode: 240
; IeeeMode: 1
; LDSByteSize: 0 bytes/workgroup (compile time only)
; SGPRBlocks: 2
; VGPRBlocks: 1
; NumSGPRsForWavesPerEU: 18
; NumVGPRsForWavesPerEU: 12
; Occupancy: 16
; WaveLimiterHint : 0
; COMPUTE_PGM_RSRC2:SCRATCH_EN: 0
; COMPUTE_PGM_RSRC2:USER_SGPR: 15
; COMPUTE_PGM_RSRC2:TRAP_HANDLER: 0
; COMPUTE_PGM_RSRC2:TGID_X_EN: 1
; COMPUTE_PGM_RSRC2:TGID_Y_EN: 0
; COMPUTE_PGM_RSRC2:TGID_Z_EN: 0
; COMPUTE_PGM_RSRC2:TIDIG_COMP_CNT: 1
	.section	.text._ZL26rocblas_dot_kernel_inc1by2ILb1ELi1024ELi32ELb0E16rocblas_bfloat16PKPKS0_fEviT4_llS5_lliPT5_PT3_,"axG",@progbits,_ZL26rocblas_dot_kernel_inc1by2ILb1ELi1024ELi32ELb0E16rocblas_bfloat16PKPKS0_fEviT4_llS5_lliPT5_PT3_,comdat
	.globl	_ZL26rocblas_dot_kernel_inc1by2ILb1ELi1024ELi32ELb0E16rocblas_bfloat16PKPKS0_fEviT4_llS5_lliPT5_PT3_ ; -- Begin function _ZL26rocblas_dot_kernel_inc1by2ILb1ELi1024ELi32ELb0E16rocblas_bfloat16PKPKS0_fEviT4_llS5_lliPT5_PT3_
	.p2align	8
	.type	_ZL26rocblas_dot_kernel_inc1by2ILb1ELi1024ELi32ELb0E16rocblas_bfloat16PKPKS0_fEviT4_llS5_lliPT5_PT3_,@function
_ZL26rocblas_dot_kernel_inc1by2ILb1ELi1024ELi32ELb0E16rocblas_bfloat16PKPKS0_fEviT4_llS5_lliPT5_PT3_: ; @_ZL26rocblas_dot_kernel_inc1by2ILb1ELi1024ELi32ELb0E16rocblas_bfloat16PKPKS0_fEviT4_llS5_lliPT5_PT3_
; %bb.0:
	s_clause 0x1
	s_load_b128 s[8:11], s[0:1], 0x8
	s_load_b128 s[4:7], s[0:1], 0x20
	s_mov_b32 s2, s15
	s_mov_b32 s3, 0
	s_clause 0x1
	s_load_b32 s14, s[0:1], 0x0
	s_load_b64 s[12:13], s[0:1], 0x48
	s_lshl_b64 s[16:17], s[2:3], 3
	v_dual_mov_b32 v5, 0 :: v_dual_lshlrev_b32 v6, 1, v0
	s_waitcnt lgkmcnt(0)
	s_add_u32 s0, s8, s16
	s_addc_u32 s1, s9, s17
	s_add_u32 s4, s4, s16
	s_addc_u32 s5, s5, s17
	s_load_b64 s[8:9], s[0:1], 0x0
	s_load_b64 s[4:5], s[4:5], 0x0
	s_add_i32 s0, s14, -1
	s_mov_b32 s1, exec_lo
	v_cmpx_gt_i32_e64 s0, v6
	s_cbranch_execz .LBB156_4
; %bb.1:
	v_lshlrev_b32_e32 v3, 2, v0
	s_lshl_b64 s[16:17], s[6:7], 1
	v_mov_b32_e32 v5, 0
	s_waitcnt lgkmcnt(0)
	s_add_u32 s15, s4, s16
	s_addc_u32 s18, s5, s17
	s_lshl_b64 s[16:17], s[10:11], 1
	v_add_co_u32 v1, s15, s15, v3
	s_delay_alu instid0(VALU_DEP_1) | instskip(SKIP_3) | instid1(VALU_DEP_1)
	v_add_co_ci_u32_e64 v2, null, s18, 0, s15
	s_add_u32 s15, s8, s16
	s_addc_u32 s16, s9, s17
	v_add_co_u32 v3, s15, s15, v3
	v_add_co_ci_u32_e64 v4, null, s16, 0, s15
	s_mov_b32 s15, s3
	s_mov_b32 s16, s3
	.p2align	6
.LBB156_2:                              ; =>This Inner Loop Header: Depth=1
	global_load_b32 v7, v[1:2], off
	global_load_b32 v8, v[3:4], off
	v_add_co_u32 v1, vcc_lo, 0x1000, v1
	v_add_co_ci_u32_e32 v2, vcc_lo, 0, v2, vcc_lo
	v_add_co_u32 v3, vcc_lo, 0x1000, v3
	v_add_co_ci_u32_e32 v4, vcc_lo, 0, v4, vcc_lo
	s_add_i32 s17, s16, 1
	s_cmp_gt_u32 s16, 30
	s_cselect_b32 s16, -1, 0
	s_waitcnt vmcnt(1)
	v_lshlrev_b32_e32 v9, 16, v7
	s_waitcnt vmcnt(0)
	v_lshlrev_b32_e32 v10, 16, v8
	v_and_b32_e32 v7, 0xffff0000, v7
	s_delay_alu instid0(VALU_DEP_2) | instskip(NEXT) | instid1(VALU_DEP_1)
	v_dual_fmac_f32 v5, v9, v10 :: v_dual_and_b32 v8, 0xffff0000, v8
	v_dual_fmac_f32 v5, v7, v8 :: v_dual_add_nc_u32 v6, 0x800, v6
	s_delay_alu instid0(VALU_DEP_1) | instskip(SKIP_1) | instid1(SALU_CYCLE_1)
	v_cmp_le_i32_e32 vcc_lo, s0, v6
	s_or_b32 s16, s16, vcc_lo
	s_and_b32 s16, exec_lo, s16
	s_delay_alu instid0(SALU_CYCLE_1)
	s_or_b32 s15, s16, s15
	s_mov_b32 s16, s17
	s_and_not1_b32 exec_lo, exec_lo, s15
	s_cbranch_execnz .LBB156_2
; %bb.3:
	s_or_b32 exec_lo, exec_lo, s15
.LBB156_4:
	s_delay_alu instid0(SALU_CYCLE_1) | instskip(SKIP_3) | instid1(SALU_CYCLE_1)
	s_or_b32 exec_lo, exec_lo, s1
	v_cmp_eq_u32_e32 vcc_lo, s0, v6
	s_bitcmp1_b32 s14, 0
	s_cselect_b32 s1, -1, 0
	s_and_b32 s1, s1, vcc_lo
	s_delay_alu instid0(SALU_CYCLE_1)
	s_and_saveexec_b32 s14, s1
	s_cbranch_execz .LBB156_6
; %bb.5:
	s_lshl_b64 s[10:11], s[10:11], 1
	s_mov_b32 s1, 0
	s_waitcnt lgkmcnt(0)
	s_add_u32 s8, s8, s10
	s_addc_u32 s9, s9, s11
	s_lshl_b64 s[6:7], s[6:7], 1
	v_mov_b32_e32 v1, 0
	s_add_u32 s4, s4, s6
	s_addc_u32 s5, s5, s7
	s_lshl_b64 s[0:1], s[0:1], 1
	s_delay_alu instid0(SALU_CYCLE_1)
	s_add_u32 s4, s4, s0
	s_addc_u32 s5, s5, s1
	s_add_u32 s0, s8, s0
	s_addc_u32 s1, s9, s1
	s_clause 0x1
	global_load_u16 v2, v1, s[0:1]
	global_load_u16 v1, v1, s[4:5]
	s_waitcnt vmcnt(1)
	v_lshlrev_b32_e32 v2, 16, v2
	s_waitcnt vmcnt(0)
	v_lshlrev_b32_e32 v1, 16, v1
	s_delay_alu instid0(VALU_DEP_1)
	v_fmac_f32_e32 v5, v1, v2
.LBB156_6:
	s_or_b32 exec_lo, exec_lo, s14
	v_and_b32_e32 v8, 31, v0
	v_cmp_gt_u32_e32 vcc_lo, 32, v0
	s_delay_alu instid0(VALU_DEP_2)
	v_lshlrev_b32_e32 v1, 2, v8
	s_and_saveexec_b32 s0, vcc_lo
	s_cbranch_execz .LBB156_8
; %bb.7:
	v_mov_b32_e32 v2, 0
	ds_store_b32 v1, v2
.LBB156_8:
	s_or_b32 exec_lo, exec_lo, s0
	v_mbcnt_lo_u32_b32 v7, -1, 0
	s_mov_b32 s1, exec_lo
	s_waitcnt lgkmcnt(0)
	s_barrier
	buffer_gl0_inv
	v_cmp_gt_u32_e64 s0, 16, v7
	s_delay_alu instid0(VALU_DEP_1) | instskip(SKIP_1) | instid1(VALU_DEP_2)
	v_cndmask_b32_e64 v2, 0, 1, s0
	v_cmp_gt_u32_e64 s0, 24, v7
	v_lshlrev_b32_e32 v2, 4, v2
	s_delay_alu instid0(VALU_DEP_2) | instskip(SKIP_1) | instid1(VALU_DEP_3)
	v_cndmask_b32_e64 v3, 0, 1, s0
	v_cmp_gt_u32_e64 s0, 28, v7
	v_add_lshl_u32 v2, v2, v7, 2
	s_delay_alu instid0(VALU_DEP_3)
	v_lshlrev_b32_e32 v3, 3, v3
	ds_bpermute_b32 v4, v2, v5
	v_add_lshl_u32 v3, v3, v7, 2
	s_waitcnt lgkmcnt(0)
	v_add_f32_e32 v5, v5, v4
	v_cndmask_b32_e64 v4, 0, 1, s0
	v_cmp_gt_u32_e64 s0, 30, v7
	ds_bpermute_b32 v6, v3, v5
	s_waitcnt lgkmcnt(0)
	v_dual_add_f32 v5, v5, v6 :: v_dual_lshlrev_b32 v4, 2, v4
	s_delay_alu instid0(VALU_DEP_1)
	v_add_lshl_u32 v4, v4, v7, 2
	v_cndmask_b32_e64 v6, 0, 1, s0
	v_cmp_ne_u32_e64 s0, 31, v7
	ds_bpermute_b32 v9, v4, v5
	s_waitcnt lgkmcnt(0)
	v_dual_add_f32 v5, v5, v9 :: v_dual_lshlrev_b32 v6, 1, v6
	s_delay_alu instid0(VALU_DEP_1)
	v_add_lshl_u32 v6, v6, v7, 2
	v_add_co_ci_u32_e64 v7, s0, 0, v7, s0
	ds_bpermute_b32 v9, v6, v5
	v_lshlrev_b32_e32 v7, 2, v7
	s_waitcnt lgkmcnt(0)
	v_add_f32_e32 v5, v5, v9
	ds_bpermute_b32 v9, v7, v5
	v_cmpx_eq_u32_e32 0, v8
	s_cbranch_execz .LBB156_10
; %bb.9:
	v_lshrrev_b32_e32 v8, 3, v0
	s_waitcnt lgkmcnt(0)
	s_delay_alu instid0(VALU_DEP_1)
	v_dual_add_f32 v5, v5, v9 :: v_dual_and_b32 v8, 0x7c, v8
	ds_store_b32 v8, v5
.LBB156_10:
	s_or_b32 exec_lo, exec_lo, s1
	v_mov_b32_e32 v5, 0
	s_waitcnt lgkmcnt(0)
	s_barrier
	buffer_gl0_inv
	s_and_saveexec_b32 s0, vcc_lo
	s_cbranch_execz .LBB156_12
; %bb.11:
	ds_load_b32 v5, v1
.LBB156_12:
	s_or_b32 exec_lo, exec_lo, s0
	s_and_saveexec_b32 s0, vcc_lo
	s_cbranch_execz .LBB156_14
; %bb.13:
	s_waitcnt lgkmcnt(0)
	ds_bpermute_b32 v1, v2, v5
	s_waitcnt lgkmcnt(0)
	v_add_f32_e32 v1, v5, v1
	ds_bpermute_b32 v2, v3, v1
	s_waitcnt lgkmcnt(0)
	v_add_f32_e32 v1, v1, v2
	;; [unrolled: 3-line block ×5, first 2 shown]
.LBB156_14:
	s_or_b32 exec_lo, exec_lo, s0
	s_delay_alu instid0(SALU_CYCLE_1)
	s_mov_b32 s0, exec_lo
	v_cmpx_eq_u32_e32 0, v0
	s_cbranch_execz .LBB156_20
; %bb.15:
	s_waitcnt lgkmcnt(0)
	v_and_b32_e32 v0, 0x7f800000, v5
	s_delay_alu instid0(VALU_DEP_1) | instskip(SKIP_1) | instid1(SALU_CYCLE_1)
	v_cmp_ne_u32_e32 vcc_lo, 0x7f800000, v0
                                        ; implicit-def: $vgpr0
	s_and_saveexec_b32 s0, vcc_lo
	s_xor_b32 s0, exec_lo, s0
; %bb.16:
	v_bfe_u32 v0, v5, 16, 1
	s_delay_alu instid0(VALU_DEP_1)
	v_add3_u32 v0, v5, v0, 0x7fff
                                        ; implicit-def: $vgpr5
; %bb.17:
	s_and_not1_saveexec_b32 s0, s0
; %bb.18:
	v_and_b32_e32 v0, 0xffff, v5
	v_or_b32_e32 v1, 0x10000, v5
	s_delay_alu instid0(VALU_DEP_2) | instskip(NEXT) | instid1(VALU_DEP_2)
	v_cmp_eq_u32_e32 vcc_lo, 0, v0
	v_cndmask_b32_e32 v0, v1, v5, vcc_lo
; %bb.19:
	s_or_b32 exec_lo, exec_lo, s0
	s_lshl_b64 s[0:1], s[2:3], 1
	v_mov_b32_e32 v1, 0
	s_add_u32 s0, s12, s0
	s_addc_u32 s1, s13, s1
	global_store_d16_hi_b16 v1, v0, s[0:1]
.LBB156_20:
	s_nop 0
	s_sendmsg sendmsg(MSG_DEALLOC_VGPRS)
	s_endpgm
	.section	.rodata,"a",@progbits
	.p2align	6, 0x0
	.amdhsa_kernel _ZL26rocblas_dot_kernel_inc1by2ILb1ELi1024ELi32ELb0E16rocblas_bfloat16PKPKS0_fEviT4_llS5_lliPT5_PT3_
		.amdhsa_group_segment_fixed_size 128
		.amdhsa_private_segment_fixed_size 0
		.amdhsa_kernarg_size 80
		.amdhsa_user_sgpr_count 14
		.amdhsa_user_sgpr_dispatch_ptr 0
		.amdhsa_user_sgpr_queue_ptr 0
		.amdhsa_user_sgpr_kernarg_segment_ptr 1
		.amdhsa_user_sgpr_dispatch_id 0
		.amdhsa_user_sgpr_private_segment_size 0
		.amdhsa_wavefront_size32 1
		.amdhsa_uses_dynamic_stack 0
		.amdhsa_enable_private_segment 0
		.amdhsa_system_sgpr_workgroup_id_x 1
		.amdhsa_system_sgpr_workgroup_id_y 0
		.amdhsa_system_sgpr_workgroup_id_z 1
		.amdhsa_system_sgpr_workgroup_info 0
		.amdhsa_system_vgpr_workitem_id 0
		.amdhsa_next_free_vgpr 11
		.amdhsa_next_free_sgpr 19
		.amdhsa_reserve_vcc 1
		.amdhsa_float_round_mode_32 0
		.amdhsa_float_round_mode_16_64 0
		.amdhsa_float_denorm_mode_32 3
		.amdhsa_float_denorm_mode_16_64 3
		.amdhsa_dx10_clamp 1
		.amdhsa_ieee_mode 1
		.amdhsa_fp16_overflow 0
		.amdhsa_workgroup_processor_mode 1
		.amdhsa_memory_ordered 1
		.amdhsa_forward_progress 0
		.amdhsa_shared_vgpr_count 0
		.amdhsa_exception_fp_ieee_invalid_op 0
		.amdhsa_exception_fp_denorm_src 0
		.amdhsa_exception_fp_ieee_div_zero 0
		.amdhsa_exception_fp_ieee_overflow 0
		.amdhsa_exception_fp_ieee_underflow 0
		.amdhsa_exception_fp_ieee_inexact 0
		.amdhsa_exception_int_div_zero 0
	.end_amdhsa_kernel
	.section	.text._ZL26rocblas_dot_kernel_inc1by2ILb1ELi1024ELi32ELb0E16rocblas_bfloat16PKPKS0_fEviT4_llS5_lliPT5_PT3_,"axG",@progbits,_ZL26rocblas_dot_kernel_inc1by2ILb1ELi1024ELi32ELb0E16rocblas_bfloat16PKPKS0_fEviT4_llS5_lliPT5_PT3_,comdat
.Lfunc_end156:
	.size	_ZL26rocblas_dot_kernel_inc1by2ILb1ELi1024ELi32ELb0E16rocblas_bfloat16PKPKS0_fEviT4_llS5_lliPT5_PT3_, .Lfunc_end156-_ZL26rocblas_dot_kernel_inc1by2ILb1ELi1024ELi32ELb0E16rocblas_bfloat16PKPKS0_fEviT4_llS5_lliPT5_PT3_
                                        ; -- End function
	.section	.AMDGPU.csdata,"",@progbits
; Kernel info:
; codeLenInByte = 1108
; NumSgprs: 21
; NumVgprs: 11
; ScratchSize: 0
; MemoryBound: 0
; FloatMode: 240
; IeeeMode: 1
; LDSByteSize: 128 bytes/workgroup (compile time only)
; SGPRBlocks: 2
; VGPRBlocks: 1
; NumSGPRsForWavesPerEU: 21
; NumVGPRsForWavesPerEU: 11
; Occupancy: 16
; WaveLimiterHint : 1
; COMPUTE_PGM_RSRC2:SCRATCH_EN: 0
; COMPUTE_PGM_RSRC2:USER_SGPR: 14
; COMPUTE_PGM_RSRC2:TRAP_HANDLER: 0
; COMPUTE_PGM_RSRC2:TGID_X_EN: 1
; COMPUTE_PGM_RSRC2:TGID_Y_EN: 0
; COMPUTE_PGM_RSRC2:TGID_Z_EN: 1
; COMPUTE_PGM_RSRC2:TIDIG_COMP_CNT: 0
	.section	.text._ZL18rocblas_dot_kernelIiLb1ELi1024ELi32ELb0E16rocblas_bfloat16PKPKS0_fEviT5_lT_lS5_lS6_liPT6_PT4_,"axG",@progbits,_ZL18rocblas_dot_kernelIiLb1ELi1024ELi32ELb0E16rocblas_bfloat16PKPKS0_fEviT5_lT_lS5_lS6_liPT6_PT4_,comdat
	.globl	_ZL18rocblas_dot_kernelIiLb1ELi1024ELi32ELb0E16rocblas_bfloat16PKPKS0_fEviT5_lT_lS5_lS6_liPT6_PT4_ ; -- Begin function _ZL18rocblas_dot_kernelIiLb1ELi1024ELi32ELb0E16rocblas_bfloat16PKPKS0_fEviT5_lT_lS5_lS6_liPT6_PT4_
	.p2align	8
	.type	_ZL18rocblas_dot_kernelIiLb1ELi1024ELi32ELb0E16rocblas_bfloat16PKPKS0_fEviT5_lT_lS5_lS6_liPT6_PT4_,@function
_ZL18rocblas_dot_kernelIiLb1ELi1024ELi32ELb0E16rocblas_bfloat16PKPKS0_fEviT5_lT_lS5_lS6_liPT6_PT4_: ; @_ZL18rocblas_dot_kernelIiLb1ELi1024ELi32ELb0E16rocblas_bfloat16PKPKS0_fEviT5_lT_lS5_lS6_liPT6_PT4_
; %bb.0:
	s_clause 0x1
	s_load_b32 s10, s[0:1], 0x0
	s_load_b64 s[2:3], s[0:1], 0x58
	v_mov_b32_e32 v5, 0
	s_mov_b32 s8, s15
	s_mov_b32 s9, 0
	s_mov_b32 s11, exec_lo
	s_waitcnt lgkmcnt(0)
	v_cmpx_gt_i32_e64 s10, v0
	s_cbranch_execz .LBB157_4
; %bb.1:
	s_clause 0x4
	s_load_b128 s[12:15], s[0:1], 0x8
	s_load_b128 s[4:7], s[0:1], 0x28
	s_load_b32 s18, s[0:1], 0x18
	s_load_b32 s20, s[0:1], 0x38
	;; [unrolled: 1-line block ×3, first 2 shown]
	s_lshl_b64 s[0:1], s[8:9], 3
	v_mov_b32_e32 v5, 0
	s_waitcnt lgkmcnt(0)
	s_add_u32 s12, s12, s0
	s_addc_u32 s13, s13, s1
	s_add_u32 s0, s4, s0
	s_load_b64 s[12:13], s[12:13], 0x0
	s_addc_u32 s1, s5, s1
	v_mad_i64_i32 v[1:2], null, s18, v0, 0
	s_load_b64 s[16:17], s[0:1], 0x0
	v_mad_i64_i32 v[3:4], null, s20, v0, 0
	s_lshl_b32 s1, s19, 10
	s_lshl_b64 s[4:5], s[14:15], 1
	s_mul_hi_i32 s15, s18, s1
	s_delay_alu instid0(VALU_DEP_2) | instskip(SKIP_2) | instid1(VALU_DEP_3)
	v_lshlrev_b64 v[1:2], 1, v[1:2]
	s_mul_i32 s14, s18, s1
	v_or_b32_e32 v6, s1, v0
	v_lshlrev_b64 v[3:4], 1, v[3:4]
	s_mul_hi_i32 s19, s20, s1
	s_mul_i32 s18, s20, s1
	s_waitcnt lgkmcnt(0)
	s_add_u32 s0, s12, s4
	s_addc_u32 s12, s13, s5
	s_lshl_b64 s[6:7], s[6:7], 1
	s_lshl_b64 s[4:5], s[14:15], 1
	v_add_co_u32 v1, vcc_lo, s0, v1
	s_add_u32 s0, s16, s6
	v_add_co_ci_u32_e32 v2, vcc_lo, s12, v2, vcc_lo
	s_addc_u32 s6, s17, s7
	v_add_co_u32 v3, vcc_lo, s0, v3
	v_add_co_ci_u32_e32 v4, vcc_lo, s6, v4, vcc_lo
	s_lshl_b64 s[6:7], s[18:19], 1
	s_mov_b32 s12, s9
	s_mov_b32 s13, s9
	.p2align	6
.LBB157_2:                              ; =>This Inner Loop Header: Depth=1
	global_load_u16 v7, v[1:2], off
	global_load_u16 v8, v[3:4], off
	v_add_co_u32 v1, s0, v1, s4
	s_delay_alu instid0(VALU_DEP_1)
	v_add_co_ci_u32_e64 v2, s0, s5, v2, s0
	s_add_i32 s14, s13, 1
	v_cmp_le_i32_e32 vcc_lo, s10, v6
	v_add_co_u32 v3, s0, v3, s6
	s_cmp_gt_u32 s13, 30
	v_add_co_ci_u32_e64 v4, s0, s7, v4, s0
	s_cselect_b32 s0, -1, 0
	s_mov_b32 s13, s14
	s_or_b32 s0, s0, vcc_lo
	s_delay_alu instid0(SALU_CYCLE_1) | instskip(NEXT) | instid1(SALU_CYCLE_1)
	s_and_b32 s0, exec_lo, s0
	s_or_b32 s12, s0, s12
	s_waitcnt vmcnt(1)
	v_lshlrev_b32_e32 v7, 16, v7
	s_waitcnt vmcnt(0)
	v_lshlrev_b32_e32 v8, 16, v8
	s_delay_alu instid0(VALU_DEP_1)
	v_dual_fmac_f32 v5, v8, v7 :: v_dual_add_nc_u32 v6, s1, v6
	s_and_not1_b32 exec_lo, exec_lo, s12
	s_cbranch_execnz .LBB157_2
; %bb.3:
	s_or_b32 exec_lo, exec_lo, s12
.LBB157_4:
	s_delay_alu instid0(SALU_CYCLE_1) | instskip(SKIP_2) | instid1(VALU_DEP_2)
	s_or_b32 exec_lo, exec_lo, s11
	v_and_b32_e32 v8, 31, v0
	v_cmp_gt_u32_e32 vcc_lo, 32, v0
	v_lshlrev_b32_e32 v1, 2, v8
	s_and_saveexec_b32 s0, vcc_lo
	s_cbranch_execz .LBB157_6
; %bb.5:
	v_mov_b32_e32 v2, 0
	ds_store_b32 v1, v2
.LBB157_6:
	s_or_b32 exec_lo, exec_lo, s0
	v_mbcnt_lo_u32_b32 v7, -1, 0
	s_mov_b32 s1, exec_lo
	s_waitcnt lgkmcnt(0)
	s_barrier
	buffer_gl0_inv
	v_cmp_gt_u32_e64 s0, 16, v7
	s_delay_alu instid0(VALU_DEP_1) | instskip(SKIP_1) | instid1(VALU_DEP_2)
	v_cndmask_b32_e64 v2, 0, 1, s0
	v_cmp_gt_u32_e64 s0, 24, v7
	v_lshlrev_b32_e32 v2, 4, v2
	s_delay_alu instid0(VALU_DEP_2) | instskip(SKIP_1) | instid1(VALU_DEP_3)
	v_cndmask_b32_e64 v3, 0, 1, s0
	v_cmp_gt_u32_e64 s0, 28, v7
	v_add_lshl_u32 v2, v2, v7, 2
	s_delay_alu instid0(VALU_DEP_3)
	v_lshlrev_b32_e32 v3, 3, v3
	ds_bpermute_b32 v4, v2, v5
	v_add_lshl_u32 v3, v3, v7, 2
	s_waitcnt lgkmcnt(0)
	v_add_f32_e32 v5, v5, v4
	v_cndmask_b32_e64 v4, 0, 1, s0
	v_cmp_gt_u32_e64 s0, 30, v7
	ds_bpermute_b32 v6, v3, v5
	s_waitcnt lgkmcnt(0)
	v_dual_add_f32 v5, v5, v6 :: v_dual_lshlrev_b32 v4, 2, v4
	s_delay_alu instid0(VALU_DEP_1)
	v_add_lshl_u32 v4, v4, v7, 2
	v_cndmask_b32_e64 v6, 0, 1, s0
	v_cmp_ne_u32_e64 s0, 31, v7
	ds_bpermute_b32 v9, v4, v5
	s_waitcnt lgkmcnt(0)
	v_dual_add_f32 v5, v5, v9 :: v_dual_lshlrev_b32 v6, 1, v6
	s_delay_alu instid0(VALU_DEP_1)
	v_add_lshl_u32 v6, v6, v7, 2
	v_add_co_ci_u32_e64 v7, s0, 0, v7, s0
	ds_bpermute_b32 v9, v6, v5
	v_lshlrev_b32_e32 v7, 2, v7
	s_waitcnt lgkmcnt(0)
	v_add_f32_e32 v5, v5, v9
	ds_bpermute_b32 v9, v7, v5
	v_cmpx_eq_u32_e32 0, v8
	s_cbranch_execz .LBB157_8
; %bb.7:
	v_lshrrev_b32_e32 v8, 3, v0
	s_waitcnt lgkmcnt(0)
	s_delay_alu instid0(VALU_DEP_1)
	v_dual_add_f32 v5, v5, v9 :: v_dual_and_b32 v8, 0x7c, v8
	ds_store_b32 v8, v5
.LBB157_8:
	s_or_b32 exec_lo, exec_lo, s1
	v_mov_b32_e32 v5, 0
	s_waitcnt lgkmcnt(0)
	s_barrier
	buffer_gl0_inv
	s_and_saveexec_b32 s0, vcc_lo
	s_cbranch_execz .LBB157_10
; %bb.9:
	ds_load_b32 v5, v1
.LBB157_10:
	s_or_b32 exec_lo, exec_lo, s0
	s_and_saveexec_b32 s0, vcc_lo
	s_cbranch_execz .LBB157_12
; %bb.11:
	s_waitcnt lgkmcnt(0)
	ds_bpermute_b32 v1, v2, v5
	s_waitcnt lgkmcnt(0)
	v_add_f32_e32 v1, v5, v1
	ds_bpermute_b32 v2, v3, v1
	s_waitcnt lgkmcnt(0)
	v_add_f32_e32 v1, v1, v2
	;; [unrolled: 3-line block ×5, first 2 shown]
.LBB157_12:
	s_or_b32 exec_lo, exec_lo, s0
	s_delay_alu instid0(SALU_CYCLE_1)
	s_mov_b32 s0, exec_lo
	v_cmpx_eq_u32_e32 0, v0
	s_cbranch_execz .LBB157_18
; %bb.13:
	s_waitcnt lgkmcnt(0)
	v_and_b32_e32 v0, 0x7f800000, v5
	s_delay_alu instid0(VALU_DEP_1) | instskip(SKIP_1) | instid1(SALU_CYCLE_1)
	v_cmp_ne_u32_e32 vcc_lo, 0x7f800000, v0
                                        ; implicit-def: $vgpr0
	s_and_saveexec_b32 s0, vcc_lo
	s_xor_b32 s0, exec_lo, s0
; %bb.14:
	v_bfe_u32 v0, v5, 16, 1
	s_delay_alu instid0(VALU_DEP_1)
	v_add3_u32 v0, v5, v0, 0x7fff
                                        ; implicit-def: $vgpr5
; %bb.15:
	s_and_not1_saveexec_b32 s0, s0
; %bb.16:
	v_and_b32_e32 v0, 0xffff, v5
	v_or_b32_e32 v1, 0x10000, v5
	s_delay_alu instid0(VALU_DEP_2) | instskip(NEXT) | instid1(VALU_DEP_2)
	v_cmp_eq_u32_e32 vcc_lo, 0, v0
	v_cndmask_b32_e32 v0, v1, v5, vcc_lo
; %bb.17:
	s_or_b32 exec_lo, exec_lo, s0
	s_lshl_b64 s[0:1], s[8:9], 1
	v_mov_b32_e32 v1, 0
	s_add_u32 s0, s2, s0
	s_addc_u32 s1, s3, s1
	global_store_d16_hi_b16 v1, v0, s[0:1]
.LBB157_18:
	s_nop 0
	s_sendmsg sendmsg(MSG_DEALLOC_VGPRS)
	s_endpgm
	.section	.rodata,"a",@progbits
	.p2align	6, 0x0
	.amdhsa_kernel _ZL18rocblas_dot_kernelIiLb1ELi1024ELi32ELb0E16rocblas_bfloat16PKPKS0_fEviT5_lT_lS5_lS6_liPT6_PT4_
		.amdhsa_group_segment_fixed_size 128
		.amdhsa_private_segment_fixed_size 0
		.amdhsa_kernarg_size 352
		.amdhsa_user_sgpr_count 14
		.amdhsa_user_sgpr_dispatch_ptr 0
		.amdhsa_user_sgpr_queue_ptr 0
		.amdhsa_user_sgpr_kernarg_segment_ptr 1
		.amdhsa_user_sgpr_dispatch_id 0
		.amdhsa_user_sgpr_private_segment_size 0
		.amdhsa_wavefront_size32 1
		.amdhsa_uses_dynamic_stack 0
		.amdhsa_enable_private_segment 0
		.amdhsa_system_sgpr_workgroup_id_x 1
		.amdhsa_system_sgpr_workgroup_id_y 0
		.amdhsa_system_sgpr_workgroup_id_z 1
		.amdhsa_system_sgpr_workgroup_info 0
		.amdhsa_system_vgpr_workitem_id 0
		.amdhsa_next_free_vgpr 10
		.amdhsa_next_free_sgpr 21
		.amdhsa_reserve_vcc 1
		.amdhsa_float_round_mode_32 0
		.amdhsa_float_round_mode_16_64 0
		.amdhsa_float_denorm_mode_32 3
		.amdhsa_float_denorm_mode_16_64 3
		.amdhsa_dx10_clamp 1
		.amdhsa_ieee_mode 1
		.amdhsa_fp16_overflow 0
		.amdhsa_workgroup_processor_mode 1
		.amdhsa_memory_ordered 1
		.amdhsa_forward_progress 0
		.amdhsa_shared_vgpr_count 0
		.amdhsa_exception_fp_ieee_invalid_op 0
		.amdhsa_exception_fp_denorm_src 0
		.amdhsa_exception_fp_ieee_div_zero 0
		.amdhsa_exception_fp_ieee_overflow 0
		.amdhsa_exception_fp_ieee_underflow 0
		.amdhsa_exception_fp_ieee_inexact 0
		.amdhsa_exception_int_div_zero 0
	.end_amdhsa_kernel
	.section	.text._ZL18rocblas_dot_kernelIiLb1ELi1024ELi32ELb0E16rocblas_bfloat16PKPKS0_fEviT5_lT_lS5_lS6_liPT6_PT4_,"axG",@progbits,_ZL18rocblas_dot_kernelIiLb1ELi1024ELi32ELb0E16rocblas_bfloat16PKPKS0_fEviT5_lT_lS5_lS6_liPT6_PT4_,comdat
.Lfunc_end157:
	.size	_ZL18rocblas_dot_kernelIiLb1ELi1024ELi32ELb0E16rocblas_bfloat16PKPKS0_fEviT5_lT_lS5_lS6_liPT6_PT4_, .Lfunc_end157-_ZL18rocblas_dot_kernelIiLb1ELi1024ELi32ELb0E16rocblas_bfloat16PKPKS0_fEviT5_lT_lS5_lS6_liPT6_PT4_
                                        ; -- End function
	.section	.AMDGPU.csdata,"",@progbits
; Kernel info:
; codeLenInByte = 1016
; NumSgprs: 23
; NumVgprs: 10
; ScratchSize: 0
; MemoryBound: 0
; FloatMode: 240
; IeeeMode: 1
; LDSByteSize: 128 bytes/workgroup (compile time only)
; SGPRBlocks: 2
; VGPRBlocks: 1
; NumSGPRsForWavesPerEU: 23
; NumVGPRsForWavesPerEU: 10
; Occupancy: 16
; WaveLimiterHint : 0
; COMPUTE_PGM_RSRC2:SCRATCH_EN: 0
; COMPUTE_PGM_RSRC2:USER_SGPR: 14
; COMPUTE_PGM_RSRC2:TRAP_HANDLER: 0
; COMPUTE_PGM_RSRC2:TGID_X_EN: 1
; COMPUTE_PGM_RSRC2:TGID_Y_EN: 0
; COMPUTE_PGM_RSRC2:TGID_Z_EN: 1
; COMPUTE_PGM_RSRC2:TIDIG_COMP_CNT: 0
	.section	.text._ZL24rocblas_dot_kernel_magsqIiLb1ELi1024ELi32ELb0E16rocblas_bfloat16PKPKS0_fEviT5_lT_liPT6_PT4_,"axG",@progbits,_ZL24rocblas_dot_kernel_magsqIiLb1ELi1024ELi32ELb0E16rocblas_bfloat16PKPKS0_fEviT5_lT_liPT6_PT4_,comdat
	.globl	_ZL24rocblas_dot_kernel_magsqIiLb1ELi1024ELi32ELb0E16rocblas_bfloat16PKPKS0_fEviT5_lT_liPT6_PT4_ ; -- Begin function _ZL24rocblas_dot_kernel_magsqIiLb1ELi1024ELi32ELb0E16rocblas_bfloat16PKPKS0_fEviT5_lT_liPT6_PT4_
	.p2align	8
	.type	_ZL24rocblas_dot_kernel_magsqIiLb1ELi1024ELi32ELb0E16rocblas_bfloat16PKPKS0_fEviT5_lT_liPT6_PT4_,@function
_ZL24rocblas_dot_kernel_magsqIiLb1ELi1024ELi32ELb0E16rocblas_bfloat16PKPKS0_fEviT5_lT_liPT6_PT4_: ; @_ZL24rocblas_dot_kernel_magsqIiLb1ELi1024ELi32ELb0E16rocblas_bfloat16PKPKS0_fEviT5_lT_liPT6_PT4_
; %bb.0:
	s_clause 0x1
	s_load_b32 s8, s[0:1], 0x0
	s_load_b64 s[2:3], s[0:1], 0x38
	v_mov_b32_e32 v3, 0
	s_mov_b32 s4, s15
	s_mov_b32 s5, 0
	s_mov_b32 s9, exec_lo
	s_waitcnt lgkmcnt(0)
	v_cmpx_gt_i32_e64 s8, v0
	s_cbranch_execz .LBB158_4
; %bb.1:
	s_clause 0x2
	s_load_b128 s[12:15], s[0:1], 0x8
	s_load_b32 s16, s[0:1], 0x18
	s_load_b32 s10, s[0:1], 0x40
	s_lshl_b64 s[0:1], s[4:5], 3
	v_mov_b32_e32 v3, 0
	s_waitcnt lgkmcnt(0)
	s_add_u32 s0, s12, s0
	s_addc_u32 s1, s13, s1
	v_mad_i64_i32 v[1:2], null, s16, v0, 0
	s_load_b64 s[6:7], s[0:1], 0x0
	s_lshl_b32 s1, s10, 10
	s_lshl_b64 s[10:11], s[14:15], 1
	v_or_b32_e32 v4, s1, v0
	s_mul_hi_i32 s13, s16, s1
	s_mul_i32 s12, s16, s1
	s_delay_alu instid0(VALU_DEP_2) | instskip(SKIP_3) | instid1(VALU_DEP_1)
	v_lshlrev_b64 v[1:2], 1, v[1:2]
	s_waitcnt lgkmcnt(0)
	s_add_u32 s0, s6, s10
	s_addc_u32 s6, s7, s11
	v_add_co_u32 v1, vcc_lo, s0, v1
	s_delay_alu instid0(VALU_DEP_2)
	v_add_co_ci_u32_e32 v2, vcc_lo, s6, v2, vcc_lo
	s_lshl_b64 s[6:7], s[12:13], 1
	s_mov_b32 s10, s5
	s_mov_b32 s11, s5
	.p2align	6
.LBB158_2:                              ; =>This Inner Loop Header: Depth=1
	global_load_u16 v5, v[1:2], off
	s_add_i32 s12, s11, 1
	v_cmp_le_i32_e32 vcc_lo, s8, v4
	v_add_co_u32 v1, s0, v1, s6
	s_cmp_gt_u32 s11, 30
	v_add_co_ci_u32_e64 v2, s0, s7, v2, s0
	s_cselect_b32 s0, -1, 0
	s_mov_b32 s11, s12
	s_or_b32 s0, s0, vcc_lo
	s_delay_alu instid0(SALU_CYCLE_1) | instskip(NEXT) | instid1(SALU_CYCLE_1)
	s_and_b32 s0, exec_lo, s0
	s_or_b32 s10, s0, s10
	s_waitcnt vmcnt(0)
	v_lshlrev_b32_e32 v5, 16, v5
	s_delay_alu instid0(VALU_DEP_1)
	v_dual_fmac_f32 v3, v5, v5 :: v_dual_add_nc_u32 v4, s1, v4
	s_and_not1_b32 exec_lo, exec_lo, s10
	s_cbranch_execnz .LBB158_2
; %bb.3:
	s_or_b32 exec_lo, exec_lo, s10
.LBB158_4:
	s_delay_alu instid0(SALU_CYCLE_1) | instskip(SKIP_2) | instid1(VALU_DEP_2)
	s_or_b32 exec_lo, exec_lo, s9
	v_and_b32_e32 v5, 31, v0
	v_cmp_gt_u32_e32 vcc_lo, 32, v0
	v_lshlrev_b32_e32 v1, 2, v5
	s_and_saveexec_b32 s0, vcc_lo
	s_cbranch_execz .LBB158_6
; %bb.5:
	v_mov_b32_e32 v2, 0
	ds_store_b32 v1, v2
.LBB158_6:
	s_or_b32 exec_lo, exec_lo, s0
	v_mbcnt_lo_u32_b32 v7, -1, 0
	s_mov_b32 s1, exec_lo
	s_waitcnt lgkmcnt(0)
	s_barrier
	buffer_gl0_inv
	v_cmp_gt_u32_e64 s0, 16, v7
	s_delay_alu instid0(VALU_DEP_1) | instskip(SKIP_1) | instid1(VALU_DEP_2)
	v_cndmask_b32_e64 v2, 0, 1, s0
	v_cmp_gt_u32_e64 s0, 24, v7
	v_lshlrev_b32_e32 v2, 4, v2
	s_delay_alu instid0(VALU_DEP_2) | instskip(SKIP_1) | instid1(VALU_DEP_3)
	v_cndmask_b32_e64 v4, 0, 1, s0
	v_cmp_gt_u32_e64 s0, 28, v7
	v_add_lshl_u32 v2, v2, v7, 2
	s_delay_alu instid0(VALU_DEP_3)
	v_lshlrev_b32_e32 v4, 3, v4
	ds_bpermute_b32 v6, v2, v3
	v_add_lshl_u32 v4, v4, v7, 2
	s_waitcnt lgkmcnt(0)
	v_add_f32_e32 v6, v3, v6
	v_cndmask_b32_e64 v3, 0, 1, s0
	v_cmp_gt_u32_e64 s0, 30, v7
	s_delay_alu instid0(VALU_DEP_2)
	v_lshlrev_b32_e32 v3, 2, v3
	ds_bpermute_b32 v8, v4, v6
	v_add_lshl_u32 v3, v3, v7, 2
	s_waitcnt lgkmcnt(0)
	v_add_f32_e32 v8, v6, v8
	v_cndmask_b32_e64 v6, 0, 1, s0
	v_cmp_ne_u32_e64 s0, 31, v7
	s_delay_alu instid0(VALU_DEP_2) | instskip(NEXT) | instid1(VALU_DEP_1)
	v_lshlrev_b32_e32 v6, 1, v6
	v_add_lshl_u32 v6, v6, v7, 2
	s_delay_alu instid0(VALU_DEP_3) | instskip(NEXT) | instid1(VALU_DEP_1)
	v_add_co_ci_u32_e64 v7, s0, 0, v7, s0
	v_lshlrev_b32_e32 v7, 2, v7
	ds_bpermute_b32 v9, v3, v8
	s_waitcnt lgkmcnt(0)
	v_add_f32_e32 v8, v8, v9
	ds_bpermute_b32 v9, v6, v8
	s_waitcnt lgkmcnt(0)
	v_add_f32_e32 v8, v8, v9
	ds_bpermute_b32 v9, v7, v8
	v_cmpx_eq_u32_e32 0, v5
	s_cbranch_execz .LBB158_8
; %bb.7:
	v_lshrrev_b32_e32 v5, 3, v0
	s_waitcnt lgkmcnt(0)
	v_add_f32_e32 v8, v8, v9
	s_delay_alu instid0(VALU_DEP_2)
	v_and_b32_e32 v5, 0x7c, v5
	ds_store_b32 v5, v8
.LBB158_8:
	s_or_b32 exec_lo, exec_lo, s1
	v_mov_b32_e32 v5, 0
	s_waitcnt lgkmcnt(0)
	s_barrier
	buffer_gl0_inv
	s_and_saveexec_b32 s0, vcc_lo
	s_cbranch_execz .LBB158_10
; %bb.9:
	ds_load_b32 v5, v1
.LBB158_10:
	s_or_b32 exec_lo, exec_lo, s0
	s_and_saveexec_b32 s0, vcc_lo
	s_cbranch_execz .LBB158_12
; %bb.11:
	s_waitcnt lgkmcnt(0)
	ds_bpermute_b32 v1, v2, v5
	s_waitcnt lgkmcnt(0)
	v_add_f32_e32 v1, v5, v1
	ds_bpermute_b32 v2, v4, v1
	s_waitcnt lgkmcnt(0)
	v_add_f32_e32 v1, v1, v2
	;; [unrolled: 3-line block ×5, first 2 shown]
.LBB158_12:
	s_or_b32 exec_lo, exec_lo, s0
	s_delay_alu instid0(SALU_CYCLE_1)
	s_mov_b32 s0, exec_lo
	v_cmpx_eq_u32_e32 0, v0
	s_cbranch_execz .LBB158_18
; %bb.13:
	s_waitcnt lgkmcnt(0)
	v_and_b32_e32 v0, 0x7f800000, v5
	s_delay_alu instid0(VALU_DEP_1) | instskip(SKIP_1) | instid1(SALU_CYCLE_1)
	v_cmp_ne_u32_e32 vcc_lo, 0x7f800000, v0
                                        ; implicit-def: $vgpr0
	s_and_saveexec_b32 s0, vcc_lo
	s_xor_b32 s0, exec_lo, s0
; %bb.14:
	v_bfe_u32 v0, v5, 16, 1
	s_delay_alu instid0(VALU_DEP_1)
	v_add3_u32 v0, v5, v0, 0x7fff
                                        ; implicit-def: $vgpr5
; %bb.15:
	s_and_not1_saveexec_b32 s0, s0
; %bb.16:
	v_and_b32_e32 v0, 0xffff, v5
	v_or_b32_e32 v1, 0x10000, v5
	s_delay_alu instid0(VALU_DEP_2) | instskip(NEXT) | instid1(VALU_DEP_2)
	v_cmp_eq_u32_e32 vcc_lo, 0, v0
	v_cndmask_b32_e32 v0, v1, v5, vcc_lo
; %bb.17:
	s_or_b32 exec_lo, exec_lo, s0
	s_lshl_b64 s[0:1], s[4:5], 1
	v_mov_b32_e32 v1, 0
	s_add_u32 s0, s2, s0
	s_addc_u32 s1, s3, s1
	global_store_d16_hi_b16 v1, v0, s[0:1]
.LBB158_18:
	s_nop 0
	s_sendmsg sendmsg(MSG_DEALLOC_VGPRS)
	s_endpgm
	.section	.rodata,"a",@progbits
	.p2align	6, 0x0
	.amdhsa_kernel _ZL24rocblas_dot_kernel_magsqIiLb1ELi1024ELi32ELb0E16rocblas_bfloat16PKPKS0_fEviT5_lT_liPT6_PT4_
		.amdhsa_group_segment_fixed_size 128
		.amdhsa_private_segment_fixed_size 0
		.amdhsa_kernarg_size 320
		.amdhsa_user_sgpr_count 14
		.amdhsa_user_sgpr_dispatch_ptr 0
		.amdhsa_user_sgpr_queue_ptr 0
		.amdhsa_user_sgpr_kernarg_segment_ptr 1
		.amdhsa_user_sgpr_dispatch_id 0
		.amdhsa_user_sgpr_private_segment_size 0
		.amdhsa_wavefront_size32 1
		.amdhsa_uses_dynamic_stack 0
		.amdhsa_enable_private_segment 0
		.amdhsa_system_sgpr_workgroup_id_x 1
		.amdhsa_system_sgpr_workgroup_id_y 0
		.amdhsa_system_sgpr_workgroup_id_z 1
		.amdhsa_system_sgpr_workgroup_info 0
		.amdhsa_system_vgpr_workitem_id 0
		.amdhsa_next_free_vgpr 10
		.amdhsa_next_free_sgpr 17
		.amdhsa_reserve_vcc 1
		.amdhsa_float_round_mode_32 0
		.amdhsa_float_round_mode_16_64 0
		.amdhsa_float_denorm_mode_32 3
		.amdhsa_float_denorm_mode_16_64 3
		.amdhsa_dx10_clamp 1
		.amdhsa_ieee_mode 1
		.amdhsa_fp16_overflow 0
		.amdhsa_workgroup_processor_mode 1
		.amdhsa_memory_ordered 1
		.amdhsa_forward_progress 0
		.amdhsa_shared_vgpr_count 0
		.amdhsa_exception_fp_ieee_invalid_op 0
		.amdhsa_exception_fp_denorm_src 0
		.amdhsa_exception_fp_ieee_div_zero 0
		.amdhsa_exception_fp_ieee_overflow 0
		.amdhsa_exception_fp_ieee_underflow 0
		.amdhsa_exception_fp_ieee_inexact 0
		.amdhsa_exception_int_div_zero 0
	.end_amdhsa_kernel
	.section	.text._ZL24rocblas_dot_kernel_magsqIiLb1ELi1024ELi32ELb0E16rocblas_bfloat16PKPKS0_fEviT5_lT_liPT6_PT4_,"axG",@progbits,_ZL24rocblas_dot_kernel_magsqIiLb1ELi1024ELi32ELb0E16rocblas_bfloat16PKPKS0_fEviT5_lT_liPT6_PT4_,comdat
.Lfunc_end158:
	.size	_ZL24rocblas_dot_kernel_magsqIiLb1ELi1024ELi32ELb0E16rocblas_bfloat16PKPKS0_fEviT5_lT_liPT6_PT4_, .Lfunc_end158-_ZL24rocblas_dot_kernel_magsqIiLb1ELi1024ELi32ELb0E16rocblas_bfloat16PKPKS0_fEviT5_lT_liPT6_PT4_
                                        ; -- End function
	.section	.AMDGPU.csdata,"",@progbits
; Kernel info:
; codeLenInByte = 904
; NumSgprs: 19
; NumVgprs: 10
; ScratchSize: 0
; MemoryBound: 0
; FloatMode: 240
; IeeeMode: 1
; LDSByteSize: 128 bytes/workgroup (compile time only)
; SGPRBlocks: 2
; VGPRBlocks: 1
; NumSGPRsForWavesPerEU: 19
; NumVGPRsForWavesPerEU: 10
; Occupancy: 16
; WaveLimiterHint : 0
; COMPUTE_PGM_RSRC2:SCRATCH_EN: 0
; COMPUTE_PGM_RSRC2:USER_SGPR: 14
; COMPUTE_PGM_RSRC2:TRAP_HANDLER: 0
; COMPUTE_PGM_RSRC2:TGID_X_EN: 1
; COMPUTE_PGM_RSRC2:TGID_Y_EN: 0
; COMPUTE_PGM_RSRC2:TGID_Z_EN: 1
; COMPUTE_PGM_RSRC2:TIDIG_COMP_CNT: 0
	.section	.text._ZL38rocblas_dot_kernel_gfx942_float_doubleIiLi1024E16rocblas_bfloat16PKPKS0_fEviT2_lT_lS5_lS6_lPT3_PT1_,"axG",@progbits,_ZL38rocblas_dot_kernel_gfx942_float_doubleIiLi1024E16rocblas_bfloat16PKPKS0_fEviT2_lT_lS5_lS6_lPT3_PT1_,comdat
	.globl	_ZL38rocblas_dot_kernel_gfx942_float_doubleIiLi1024E16rocblas_bfloat16PKPKS0_fEviT2_lT_lS5_lS6_lPT3_PT1_ ; -- Begin function _ZL38rocblas_dot_kernel_gfx942_float_doubleIiLi1024E16rocblas_bfloat16PKPKS0_fEviT2_lT_lS5_lS6_lPT3_PT1_
	.p2align	8
	.type	_ZL38rocblas_dot_kernel_gfx942_float_doubleIiLi1024E16rocblas_bfloat16PKPKS0_fEviT2_lT_lS5_lS6_lPT3_PT1_,@function
_ZL38rocblas_dot_kernel_gfx942_float_doubleIiLi1024E16rocblas_bfloat16PKPKS0_fEviT2_lT_lS5_lS6_lPT3_PT1_: ; @_ZL38rocblas_dot_kernel_gfx942_float_doubleIiLi1024E16rocblas_bfloat16PKPKS0_fEviT2_lT_lS5_lS6_lPT3_PT1_
; %bb.0:
	s_endpgm
	.section	.rodata,"a",@progbits
	.p2align	6, 0x0
	.amdhsa_kernel _ZL38rocblas_dot_kernel_gfx942_float_doubleIiLi1024E16rocblas_bfloat16PKPKS0_fEviT2_lT_lS5_lS6_lPT3_PT1_
		.amdhsa_group_segment_fixed_size 0
		.amdhsa_private_segment_fixed_size 0
		.amdhsa_kernarg_size 88
		.amdhsa_user_sgpr_count 15
		.amdhsa_user_sgpr_dispatch_ptr 0
		.amdhsa_user_sgpr_queue_ptr 0
		.amdhsa_user_sgpr_kernarg_segment_ptr 1
		.amdhsa_user_sgpr_dispatch_id 0
		.amdhsa_user_sgpr_private_segment_size 0
		.amdhsa_wavefront_size32 1
		.amdhsa_uses_dynamic_stack 0
		.amdhsa_enable_private_segment 0
		.amdhsa_system_sgpr_workgroup_id_x 1
		.amdhsa_system_sgpr_workgroup_id_y 0
		.amdhsa_system_sgpr_workgroup_id_z 0
		.amdhsa_system_sgpr_workgroup_info 0
		.amdhsa_system_vgpr_workitem_id 0
		.amdhsa_next_free_vgpr 1
		.amdhsa_next_free_sgpr 1
		.amdhsa_reserve_vcc 0
		.amdhsa_float_round_mode_32 0
		.amdhsa_float_round_mode_16_64 0
		.amdhsa_float_denorm_mode_32 3
		.amdhsa_float_denorm_mode_16_64 3
		.amdhsa_dx10_clamp 1
		.amdhsa_ieee_mode 1
		.amdhsa_fp16_overflow 0
		.amdhsa_workgroup_processor_mode 1
		.amdhsa_memory_ordered 1
		.amdhsa_forward_progress 0
		.amdhsa_shared_vgpr_count 0
		.amdhsa_exception_fp_ieee_invalid_op 0
		.amdhsa_exception_fp_denorm_src 0
		.amdhsa_exception_fp_ieee_div_zero 0
		.amdhsa_exception_fp_ieee_overflow 0
		.amdhsa_exception_fp_ieee_underflow 0
		.amdhsa_exception_fp_ieee_inexact 0
		.amdhsa_exception_int_div_zero 0
	.end_amdhsa_kernel
	.section	.text._ZL38rocblas_dot_kernel_gfx942_float_doubleIiLi1024E16rocblas_bfloat16PKPKS0_fEviT2_lT_lS5_lS6_lPT3_PT1_,"axG",@progbits,_ZL38rocblas_dot_kernel_gfx942_float_doubleIiLi1024E16rocblas_bfloat16PKPKS0_fEviT2_lT_lS5_lS6_lPT3_PT1_,comdat
.Lfunc_end159:
	.size	_ZL38rocblas_dot_kernel_gfx942_float_doubleIiLi1024E16rocblas_bfloat16PKPKS0_fEviT2_lT_lS5_lS6_lPT3_PT1_, .Lfunc_end159-_ZL38rocblas_dot_kernel_gfx942_float_doubleIiLi1024E16rocblas_bfloat16PKPKS0_fEviT2_lT_lS5_lS6_lPT3_PT1_
                                        ; -- End function
	.section	.AMDGPU.csdata,"",@progbits
; Kernel info:
; codeLenInByte = 4
; NumSgprs: 0
; NumVgprs: 0
; ScratchSize: 0
; MemoryBound: 0
; FloatMode: 240
; IeeeMode: 1
; LDSByteSize: 0 bytes/workgroup (compile time only)
; SGPRBlocks: 0
; VGPRBlocks: 0
; NumSGPRsForWavesPerEU: 1
; NumVGPRsForWavesPerEU: 1
; Occupancy: 16
; WaveLimiterHint : 0
; COMPUTE_PGM_RSRC2:SCRATCH_EN: 0
; COMPUTE_PGM_RSRC2:USER_SGPR: 15
; COMPUTE_PGM_RSRC2:TRAP_HANDLER: 0
; COMPUTE_PGM_RSRC2:TGID_X_EN: 1
; COMPUTE_PGM_RSRC2:TGID_Y_EN: 0
; COMPUTE_PGM_RSRC2:TGID_Z_EN: 0
; COMPUTE_PGM_RSRC2:TIDIG_COMP_CNT: 0
	.section	.text._ZL23rocblas_dot_kernel_inc1ILb0ELi512ELi8ELb0E16rocblas_bfloat16PKPKS0_fEviT4_llS5_lliPT5_PT3_,"axG",@progbits,_ZL23rocblas_dot_kernel_inc1ILb0ELi512ELi8ELb0E16rocblas_bfloat16PKPKS0_fEviT4_llS5_lliPT5_PT3_,comdat
	.globl	_ZL23rocblas_dot_kernel_inc1ILb0ELi512ELi8ELb0E16rocblas_bfloat16PKPKS0_fEviT4_llS5_lliPT5_PT3_ ; -- Begin function _ZL23rocblas_dot_kernel_inc1ILb0ELi512ELi8ELb0E16rocblas_bfloat16PKPKS0_fEviT4_llS5_lliPT5_PT3_
	.p2align	8
	.type	_ZL23rocblas_dot_kernel_inc1ILb0ELi512ELi8ELb0E16rocblas_bfloat16PKPKS0_fEviT4_llS5_lliPT5_PT3_,@function
_ZL23rocblas_dot_kernel_inc1ILb0ELi512ELi8ELb0E16rocblas_bfloat16PKPKS0_fEviT4_llS5_lliPT5_PT3_: ; @_ZL23rocblas_dot_kernel_inc1ILb0ELi512ELi8ELb0E16rocblas_bfloat16PKPKS0_fEviT4_llS5_lliPT5_PT3_
; %bb.0:
	s_clause 0x2
	s_load_b32 s12, s[0:1], 0x50
	s_load_b32 s13, s[0:1], 0x0
	s_load_b128 s[4:7], s[0:1], 0x40
	v_lshl_or_b32 v3, s14, 9, v0
	v_mov_b32_e32 v5, 0
	s_mov_b32 s2, s15
	s_mov_b32 s3, 0
	s_mov_b32 s15, exec_lo
	s_waitcnt lgkmcnt(0)
	v_cmpx_gt_i32_e64 s13, v3
	s_cbranch_execz .LBB160_4
; %bb.1:
	s_clause 0x1
	s_load_b128 s[8:11], s[0:1], 0x8
	s_load_b128 s[20:23], s[0:1], 0x20
	s_lshl_b64 s[18:19], s[2:3], 3
	v_ashrrev_i32_e32 v4, 31, v3
	v_mov_b32_e32 v5, 0
	s_delay_alu instid0(VALU_DEP_2)
	v_lshlrev_b64 v[1:2], 1, v[3:4]
	s_waitcnt lgkmcnt(0)
	s_add_u32 s0, s8, s18
	s_addc_u32 s1, s9, s19
	s_lshl_b64 s[10:11], s[10:11], 1
	s_load_b64 s[8:9], s[0:1], 0x0
	s_waitcnt lgkmcnt(0)
	s_add_u32 s1, s8, s10
	s_addc_u32 s16, s9, s11
	s_add_u32 s8, s20, s18
	s_addc_u32 s9, s21, s19
	s_lshl_b64 s[10:11], s[22:23], 1
	s_load_b64 s[8:9], s[8:9], 0x0
	s_mov_b32 s19, s3
	s_waitcnt lgkmcnt(0)
	s_add_u32 s17, s8, s10
	s_addc_u32 s18, s9, s11
	s_lshl_b32 s8, s12, 9
	s_delay_alu instid0(SALU_CYCLE_1) | instskip(SKIP_1) | instid1(SALU_CYCLE_1)
	v_add_nc_u32_e32 v3, s8, v3
	s_ashr_i32 s9, s8, 31
	s_lshl_b64 s[10:11], s[8:9], 1
	s_mov_b32 s9, s3
	.p2align	6
.LBB160_2:                              ; =>This Inner Loop Header: Depth=1
	v_add_co_u32 v6, vcc_lo, s1, v1
	v_add_co_ci_u32_e32 v7, vcc_lo, s16, v2, vcc_lo
	v_add_co_u32 v8, vcc_lo, s17, v1
	v_add_co_ci_u32_e32 v9, vcc_lo, s18, v2, vcc_lo
	s_add_i32 s20, s19, 1
	global_load_u16 v4, v[6:7], off
	global_load_u16 v6, v[8:9], off
	v_cmp_le_i32_e32 vcc_lo, s13, v3
	v_add_co_u32 v1, s0, v1, s10
	s_cmp_gt_u32 s19, 6
	v_add_co_ci_u32_e64 v2, s0, s11, v2, s0
	s_cselect_b32 s0, -1, 0
	v_add_nc_u32_e32 v3, s8, v3
	s_or_b32 s0, s0, vcc_lo
	s_mov_b32 s19, s20
	s_and_b32 s0, exec_lo, s0
	s_delay_alu instid0(SALU_CYCLE_1) | instskip(SKIP_4) | instid1(VALU_DEP_1)
	s_or_b32 s9, s0, s9
	s_waitcnt vmcnt(1)
	v_lshlrev_b32_e32 v4, 16, v4
	s_waitcnt vmcnt(0)
	v_lshlrev_b32_e32 v6, 16, v6
	v_fmac_f32_e32 v5, v6, v4
	s_and_not1_b32 exec_lo, exec_lo, s9
	s_cbranch_execnz .LBB160_2
; %bb.3:
	s_or_b32 exec_lo, exec_lo, s9
.LBB160_4:
	s_delay_alu instid0(SALU_CYCLE_1) | instskip(SKIP_2) | instid1(VALU_DEP_2)
	s_or_b32 exec_lo, exec_lo, s15
	v_and_b32_e32 v1, 31, v0
	v_cmp_gt_u32_e32 vcc_lo, 32, v0
	v_lshlrev_b32_e32 v2, 2, v1
	s_and_saveexec_b32 s0, vcc_lo
	s_cbranch_execz .LBB160_6
; %bb.5:
	v_mov_b32_e32 v3, 0
	ds_store_b32 v2, v3
.LBB160_6:
	s_or_b32 exec_lo, exec_lo, s0
	v_mbcnt_lo_u32_b32 v6, -1, 0
	s_mov_b32 s1, exec_lo
	s_waitcnt lgkmcnt(0)
	s_barrier
	buffer_gl0_inv
	v_cmp_gt_u32_e64 s0, 16, v6
	s_delay_alu instid0(VALU_DEP_1) | instskip(SKIP_1) | instid1(VALU_DEP_2)
	v_cndmask_b32_e64 v3, 0, 1, s0
	v_cmp_gt_u32_e64 s0, 24, v6
	v_lshlrev_b32_e32 v3, 4, v3
	s_delay_alu instid0(VALU_DEP_1) | instskip(SKIP_3) | instid1(VALU_DEP_2)
	v_add_lshl_u32 v3, v3, v6, 2
	ds_bpermute_b32 v4, v3, v5
	v_cndmask_b32_e64 v3, 0, 1, s0
	v_cmp_gt_u32_e64 s0, 28, v6
	v_lshlrev_b32_e32 v3, 3, v3
	s_delay_alu instid0(VALU_DEP_1)
	v_add_lshl_u32 v3, v3, v6, 2
	s_waitcnt lgkmcnt(0)
	v_add_f32_e32 v5, v5, v4
	v_cndmask_b32_e64 v4, 0, 1, s0
	v_cmp_gt_u32_e64 s0, 30, v6
	ds_bpermute_b32 v7, v3, v5
	s_waitcnt lgkmcnt(0)
	v_dual_add_f32 v7, v5, v7 :: v_dual_lshlrev_b32 v4, 2, v4
	s_delay_alu instid0(VALU_DEP_1) | instskip(SKIP_4) | instid1(VALU_DEP_1)
	v_add_lshl_u32 v4, v4, v6, 2
	v_cndmask_b32_e64 v5, 0, 1, s0
	v_cmp_ne_u32_e64 s0, 31, v6
	ds_bpermute_b32 v8, v4, v7
	v_lshlrev_b32_e32 v5, 1, v5
	v_add_lshl_u32 v5, v5, v6, 2
	v_add_co_ci_u32_e64 v6, s0, 0, v6, s0
	s_waitcnt lgkmcnt(0)
	s_delay_alu instid0(VALU_DEP_1)
	v_dual_add_f32 v7, v7, v8 :: v_dual_lshlrev_b32 v6, 2, v6
	ds_bpermute_b32 v8, v5, v7
	s_waitcnt lgkmcnt(0)
	v_add_f32_e32 v7, v7, v8
	ds_bpermute_b32 v8, v6, v7
	v_cmpx_eq_u32_e32 0, v1
	s_cbranch_execz .LBB160_8
; %bb.7:
	v_lshrrev_b32_e32 v1, 3, v0
	s_waitcnt lgkmcnt(0)
	v_add_f32_e32 v7, v7, v8
	s_delay_alu instid0(VALU_DEP_2)
	v_and_b32_e32 v1, 60, v1
	ds_store_b32 v1, v7
.LBB160_8:
	s_or_b32 exec_lo, exec_lo, s1
	v_mov_b32_e32 v1, 0
	s_mov_b32 s1, exec_lo
	s_waitcnt lgkmcnt(0)
	s_barrier
	buffer_gl0_inv
	v_cmpx_gt_u32_e32 16, v0
	s_cbranch_execz .LBB160_10
; %bb.9:
	ds_load_b32 v1, v2
.LBB160_10:
	s_or_b32 exec_lo, exec_lo, s1
	s_and_saveexec_b32 s0, vcc_lo
	s_cbranch_execz .LBB160_12
; %bb.11:
	s_waitcnt lgkmcnt(0)
	ds_bpermute_b32 v2, v3, v1
	s_waitcnt lgkmcnt(0)
	v_add_f32_e32 v1, v1, v2
	ds_bpermute_b32 v2, v4, v1
	s_waitcnt lgkmcnt(0)
	v_add_f32_e32 v1, v1, v2
	;; [unrolled: 3-line block ×4, first 2 shown]
.LBB160_12:
	s_or_b32 exec_lo, exec_lo, s0
	s_delay_alu instid0(SALU_CYCLE_1)
	s_mov_b32 s0, exec_lo
	v_cmpx_eq_u32_e32 0, v0
	s_cbranch_execz .LBB160_21
; %bb.13:
	s_cmp_lg_u32 s12, 1
	s_mov_b32 s15, -1
	s_cbranch_scc0 .LBB160_15
; %bb.14:
	s_mul_hi_u32 s1, s12, s2
	s_mul_i32 s0, s12, s2
	s_mov_b32 s15, 0
	s_lshl_b64 s[0:1], s[0:1], 2
	v_mov_b32_e32 v0, 0
	s_add_u32 s4, s4, s0
	s_addc_u32 s5, s5, s1
	s_lshl_b64 s[0:1], s[14:15], 2
	s_delay_alu instid0(SALU_CYCLE_1)
	s_add_u32 s0, s4, s0
	s_addc_u32 s1, s5, s1
	s_waitcnt lgkmcnt(0)
	global_store_b32 v0, v1, s[0:1]
.LBB160_15:
	s_and_not1_b32 vcc_lo, exec_lo, s15
	s_cbranch_vccnz .LBB160_21
; %bb.16:
	s_waitcnt lgkmcnt(0)
	v_and_b32_e32 v0, 0x7f800000, v1
	s_delay_alu instid0(VALU_DEP_1) | instskip(SKIP_1) | instid1(SALU_CYCLE_1)
	v_cmp_ne_u32_e32 vcc_lo, 0x7f800000, v0
                                        ; implicit-def: $vgpr0
	s_and_saveexec_b32 s0, vcc_lo
	s_xor_b32 s0, exec_lo, s0
; %bb.17:
	v_bfe_u32 v0, v1, 16, 1
	s_delay_alu instid0(VALU_DEP_1)
	v_add3_u32 v0, v1, v0, 0x7fff
                                        ; implicit-def: $vgpr1
; %bb.18:
	s_and_not1_saveexec_b32 s0, s0
; %bb.19:
	v_and_b32_e32 v0, 0xffff, v1
	v_or_b32_e32 v2, 0x10000, v1
	s_delay_alu instid0(VALU_DEP_2) | instskip(NEXT) | instid1(VALU_DEP_2)
	v_cmp_eq_u32_e32 vcc_lo, 0, v0
	v_cndmask_b32_e32 v0, v2, v1, vcc_lo
; %bb.20:
	s_or_b32 exec_lo, exec_lo, s0
	s_lshl_b64 s[0:1], s[2:3], 1
	v_mov_b32_e32 v1, 0
	s_add_u32 s0, s6, s0
	s_addc_u32 s1, s7, s1
	global_store_d16_hi_b16 v1, v0, s[0:1]
.LBB160_21:
	s_nop 0
	s_sendmsg sendmsg(MSG_DEALLOC_VGPRS)
	s_endpgm
	.section	.rodata,"a",@progbits
	.p2align	6, 0x0
	.amdhsa_kernel _ZL23rocblas_dot_kernel_inc1ILb0ELi512ELi8ELb0E16rocblas_bfloat16PKPKS0_fEviT4_llS5_lliPT5_PT3_
		.amdhsa_group_segment_fixed_size 128
		.amdhsa_private_segment_fixed_size 0
		.amdhsa_kernarg_size 336
		.amdhsa_user_sgpr_count 14
		.amdhsa_user_sgpr_dispatch_ptr 0
		.amdhsa_user_sgpr_queue_ptr 0
		.amdhsa_user_sgpr_kernarg_segment_ptr 1
		.amdhsa_user_sgpr_dispatch_id 0
		.amdhsa_user_sgpr_private_segment_size 0
		.amdhsa_wavefront_size32 1
		.amdhsa_uses_dynamic_stack 0
		.amdhsa_enable_private_segment 0
		.amdhsa_system_sgpr_workgroup_id_x 1
		.amdhsa_system_sgpr_workgroup_id_y 0
		.amdhsa_system_sgpr_workgroup_id_z 1
		.amdhsa_system_sgpr_workgroup_info 0
		.amdhsa_system_vgpr_workitem_id 0
		.amdhsa_next_free_vgpr 10
		.amdhsa_next_free_sgpr 24
		.amdhsa_reserve_vcc 1
		.amdhsa_float_round_mode_32 0
		.amdhsa_float_round_mode_16_64 0
		.amdhsa_float_denorm_mode_32 3
		.amdhsa_float_denorm_mode_16_64 3
		.amdhsa_dx10_clamp 1
		.amdhsa_ieee_mode 1
		.amdhsa_fp16_overflow 0
		.amdhsa_workgroup_processor_mode 1
		.amdhsa_memory_ordered 1
		.amdhsa_forward_progress 0
		.amdhsa_shared_vgpr_count 0
		.amdhsa_exception_fp_ieee_invalid_op 0
		.amdhsa_exception_fp_denorm_src 0
		.amdhsa_exception_fp_ieee_div_zero 0
		.amdhsa_exception_fp_ieee_overflow 0
		.amdhsa_exception_fp_ieee_underflow 0
		.amdhsa_exception_fp_ieee_inexact 0
		.amdhsa_exception_int_div_zero 0
	.end_amdhsa_kernel
	.section	.text._ZL23rocblas_dot_kernel_inc1ILb0ELi512ELi8ELb0E16rocblas_bfloat16PKPKS0_fEviT4_llS5_lliPT5_PT3_,"axG",@progbits,_ZL23rocblas_dot_kernel_inc1ILb0ELi512ELi8ELb0E16rocblas_bfloat16PKPKS0_fEviT4_llS5_lliPT5_PT3_,comdat
.Lfunc_end160:
	.size	_ZL23rocblas_dot_kernel_inc1ILb0ELi512ELi8ELb0E16rocblas_bfloat16PKPKS0_fEviT4_llS5_lliPT5_PT3_, .Lfunc_end160-_ZL23rocblas_dot_kernel_inc1ILb0ELi512ELi8ELb0E16rocblas_bfloat16PKPKS0_fEviT4_llS5_lliPT5_PT3_
                                        ; -- End function
	.section	.AMDGPU.csdata,"",@progbits
; Kernel info:
; codeLenInByte = 1016
; NumSgprs: 26
; NumVgprs: 10
; ScratchSize: 0
; MemoryBound: 0
; FloatMode: 240
; IeeeMode: 1
; LDSByteSize: 128 bytes/workgroup (compile time only)
; SGPRBlocks: 3
; VGPRBlocks: 1
; NumSGPRsForWavesPerEU: 26
; NumVGPRsForWavesPerEU: 10
; Occupancy: 16
; WaveLimiterHint : 1
; COMPUTE_PGM_RSRC2:SCRATCH_EN: 0
; COMPUTE_PGM_RSRC2:USER_SGPR: 14
; COMPUTE_PGM_RSRC2:TRAP_HANDLER: 0
; COMPUTE_PGM_RSRC2:TGID_X_EN: 1
; COMPUTE_PGM_RSRC2:TGID_Y_EN: 0
; COMPUTE_PGM_RSRC2:TGID_Z_EN: 1
; COMPUTE_PGM_RSRC2:TIDIG_COMP_CNT: 0
	.section	.text._ZL18rocblas_dot_kernelIiLb0ELi512ELi8ELb0E16rocblas_bfloat16PKPKS0_fEviT5_lT_lS5_lS6_liPT6_PT4_,"axG",@progbits,_ZL18rocblas_dot_kernelIiLb0ELi512ELi8ELb0E16rocblas_bfloat16PKPKS0_fEviT5_lT_lS5_lS6_liPT6_PT4_,comdat
	.globl	_ZL18rocblas_dot_kernelIiLb0ELi512ELi8ELb0E16rocblas_bfloat16PKPKS0_fEviT5_lT_lS5_lS6_liPT6_PT4_ ; -- Begin function _ZL18rocblas_dot_kernelIiLb0ELi512ELi8ELb0E16rocblas_bfloat16PKPKS0_fEviT5_lT_lS5_lS6_liPT6_PT4_
	.p2align	8
	.type	_ZL18rocblas_dot_kernelIiLb0ELi512ELi8ELb0E16rocblas_bfloat16PKPKS0_fEviT5_lT_lS5_lS6_liPT6_PT4_,@function
_ZL18rocblas_dot_kernelIiLb0ELi512ELi8ELb0E16rocblas_bfloat16PKPKS0_fEviT5_lT_lS5_lS6_liPT6_PT4_: ; @_ZL18rocblas_dot_kernelIiLb0ELi512ELi8ELb0E16rocblas_bfloat16PKPKS0_fEviT5_lT_lS5_lS6_liPT6_PT4_
; %bb.0:
	s_clause 0x2
	s_load_b32 s12, s[0:1], 0x60
	s_load_b32 s13, s[0:1], 0x0
	s_load_b128 s[4:7], s[0:1], 0x50
	v_lshl_or_b32 v1, s14, 9, v0
	v_mov_b32_e32 v5, 0
	s_mov_b32 s2, s15
	s_mov_b32 s3, 0
	s_mov_b32 s15, exec_lo
	s_waitcnt lgkmcnt(0)
	v_cmpx_gt_i32_e64 s13, v1
	s_cbranch_execz .LBB161_4
; %bb.1:
	s_clause 0x3
	s_load_b128 s[16:19], s[0:1], 0x8
	s_load_b128 s[8:11], s[0:1], 0x28
	s_load_b32 s22, s[0:1], 0x18
	s_load_b32 s24, s[0:1], 0x38
	s_lshl_b64 s[0:1], s[2:3], 3
	s_waitcnt lgkmcnt(0)
	s_add_u32 s16, s16, s0
	s_addc_u32 s17, s17, s1
	s_add_u32 s0, s8, s0
	s_load_b64 s[16:17], s[16:17], 0x0
	s_addc_u32 s1, s9, s1
	v_mad_i64_i32 v[2:3], null, s22, v1, 0
	s_load_b64 s[20:21], s[0:1], 0x0
	v_mad_i64_i32 v[4:5], null, s24, v1, 0
	s_lshl_b32 s1, s12, 9
	s_lshl_b64 s[8:9], s[18:19], 1
	v_add_nc_u32_e32 v6, s1, v1
	s_delay_alu instid0(VALU_DEP_3) | instskip(SKIP_2) | instid1(VALU_DEP_3)
	v_lshlrev_b64 v[1:2], 1, v[2:3]
	s_mul_hi_i32 s19, s22, s1
	s_mul_i32 s18, s22, s1
	v_lshlrev_b64 v[3:4], 1, v[4:5]
	v_mov_b32_e32 v5, 0
	s_mul_hi_i32 s23, s24, s1
	s_mul_i32 s22, s24, s1
	s_waitcnt lgkmcnt(0)
	s_add_u32 s0, s16, s8
	s_addc_u32 s16, s17, s9
	s_lshl_b64 s[10:11], s[10:11], 1
	s_lshl_b64 s[8:9], s[18:19], 1
	v_add_co_u32 v1, vcc_lo, s0, v1
	s_add_u32 s0, s20, s10
	v_add_co_ci_u32_e32 v2, vcc_lo, s16, v2, vcc_lo
	s_addc_u32 s10, s21, s11
	v_add_co_u32 v3, vcc_lo, s0, v3
	v_add_co_ci_u32_e32 v4, vcc_lo, s10, v4, vcc_lo
	s_lshl_b64 s[10:11], s[22:23], 1
	s_mov_b32 s16, s3
	s_mov_b32 s17, s3
	.p2align	6
.LBB161_2:                              ; =>This Inner Loop Header: Depth=1
	global_load_u16 v7, v[1:2], off
	global_load_u16 v8, v[3:4], off
	v_add_co_u32 v1, s0, v1, s8
	s_delay_alu instid0(VALU_DEP_1)
	v_add_co_ci_u32_e64 v2, s0, s9, v2, s0
	s_add_i32 s18, s17, 1
	v_cmp_le_i32_e32 vcc_lo, s13, v6
	v_add_co_u32 v3, s0, v3, s10
	s_cmp_gt_u32 s17, 6
	v_add_co_ci_u32_e64 v4, s0, s11, v4, s0
	s_cselect_b32 s0, -1, 0
	s_mov_b32 s17, s18
	s_or_b32 s0, s0, vcc_lo
	s_delay_alu instid0(SALU_CYCLE_1) | instskip(NEXT) | instid1(SALU_CYCLE_1)
	s_and_b32 s0, exec_lo, s0
	s_or_b32 s16, s0, s16
	s_waitcnt vmcnt(1)
	v_lshlrev_b32_e32 v7, 16, v7
	s_waitcnt vmcnt(0)
	v_lshlrev_b32_e32 v8, 16, v8
	s_delay_alu instid0(VALU_DEP_1)
	v_dual_fmac_f32 v5, v8, v7 :: v_dual_add_nc_u32 v6, s1, v6
	s_and_not1_b32 exec_lo, exec_lo, s16
	s_cbranch_execnz .LBB161_2
; %bb.3:
	s_or_b32 exec_lo, exec_lo, s16
.LBB161_4:
	s_delay_alu instid0(SALU_CYCLE_1) | instskip(SKIP_2) | instid1(VALU_DEP_2)
	s_or_b32 exec_lo, exec_lo, s15
	v_and_b32_e32 v1, 31, v0
	v_cmp_gt_u32_e32 vcc_lo, 32, v0
	v_lshlrev_b32_e32 v2, 2, v1
	s_and_saveexec_b32 s0, vcc_lo
	s_cbranch_execz .LBB161_6
; %bb.5:
	v_mov_b32_e32 v3, 0
	ds_store_b32 v2, v3
.LBB161_6:
	s_or_b32 exec_lo, exec_lo, s0
	v_mbcnt_lo_u32_b32 v6, -1, 0
	s_mov_b32 s1, exec_lo
	s_waitcnt lgkmcnt(0)
	s_barrier
	buffer_gl0_inv
	v_cmp_gt_u32_e64 s0, 16, v6
	s_delay_alu instid0(VALU_DEP_1) | instskip(SKIP_1) | instid1(VALU_DEP_2)
	v_cndmask_b32_e64 v3, 0, 1, s0
	v_cmp_gt_u32_e64 s0, 24, v6
	v_lshlrev_b32_e32 v3, 4, v3
	s_delay_alu instid0(VALU_DEP_1) | instskip(SKIP_3) | instid1(VALU_DEP_2)
	v_add_lshl_u32 v3, v3, v6, 2
	ds_bpermute_b32 v4, v3, v5
	v_cndmask_b32_e64 v3, 0, 1, s0
	v_cmp_gt_u32_e64 s0, 28, v6
	v_lshlrev_b32_e32 v3, 3, v3
	s_delay_alu instid0(VALU_DEP_1)
	v_add_lshl_u32 v3, v3, v6, 2
	s_waitcnt lgkmcnt(0)
	v_add_f32_e32 v5, v5, v4
	v_cndmask_b32_e64 v4, 0, 1, s0
	v_cmp_gt_u32_e64 s0, 30, v6
	ds_bpermute_b32 v7, v3, v5
	s_waitcnt lgkmcnt(0)
	v_dual_add_f32 v7, v5, v7 :: v_dual_lshlrev_b32 v4, 2, v4
	s_delay_alu instid0(VALU_DEP_1) | instskip(SKIP_4) | instid1(VALU_DEP_1)
	v_add_lshl_u32 v4, v4, v6, 2
	v_cndmask_b32_e64 v5, 0, 1, s0
	v_cmp_ne_u32_e64 s0, 31, v6
	ds_bpermute_b32 v8, v4, v7
	v_lshlrev_b32_e32 v5, 1, v5
	v_add_lshl_u32 v5, v5, v6, 2
	v_add_co_ci_u32_e64 v6, s0, 0, v6, s0
	s_waitcnt lgkmcnt(0)
	s_delay_alu instid0(VALU_DEP_1)
	v_dual_add_f32 v7, v7, v8 :: v_dual_lshlrev_b32 v6, 2, v6
	ds_bpermute_b32 v8, v5, v7
	s_waitcnt lgkmcnt(0)
	v_add_f32_e32 v7, v7, v8
	ds_bpermute_b32 v8, v6, v7
	v_cmpx_eq_u32_e32 0, v1
	s_cbranch_execz .LBB161_8
; %bb.7:
	v_lshrrev_b32_e32 v1, 3, v0
	s_waitcnt lgkmcnt(0)
	v_add_f32_e32 v7, v7, v8
	s_delay_alu instid0(VALU_DEP_2)
	v_and_b32_e32 v1, 60, v1
	ds_store_b32 v1, v7
.LBB161_8:
	s_or_b32 exec_lo, exec_lo, s1
	v_mov_b32_e32 v1, 0
	s_mov_b32 s1, exec_lo
	s_waitcnt lgkmcnt(0)
	s_barrier
	buffer_gl0_inv
	v_cmpx_gt_u32_e32 16, v0
	s_cbranch_execz .LBB161_10
; %bb.9:
	ds_load_b32 v1, v2
.LBB161_10:
	s_or_b32 exec_lo, exec_lo, s1
	s_and_saveexec_b32 s0, vcc_lo
	s_cbranch_execz .LBB161_12
; %bb.11:
	s_waitcnt lgkmcnt(0)
	ds_bpermute_b32 v2, v3, v1
	s_waitcnt lgkmcnt(0)
	v_add_f32_e32 v1, v1, v2
	ds_bpermute_b32 v2, v4, v1
	s_waitcnt lgkmcnt(0)
	v_add_f32_e32 v1, v1, v2
	;; [unrolled: 3-line block ×4, first 2 shown]
.LBB161_12:
	s_or_b32 exec_lo, exec_lo, s0
	s_delay_alu instid0(SALU_CYCLE_1)
	s_mov_b32 s0, exec_lo
	v_cmpx_eq_u32_e32 0, v0
	s_cbranch_execz .LBB161_21
; %bb.13:
	s_cmp_lg_u32 s12, 1
	s_mov_b32 s15, -1
	s_cbranch_scc0 .LBB161_15
; %bb.14:
	s_mul_hi_u32 s1, s12, s2
	s_mul_i32 s0, s12, s2
	s_mov_b32 s15, 0
	s_lshl_b64 s[0:1], s[0:1], 2
	v_mov_b32_e32 v0, 0
	s_add_u32 s4, s4, s0
	s_addc_u32 s5, s5, s1
	s_lshl_b64 s[0:1], s[14:15], 2
	s_delay_alu instid0(SALU_CYCLE_1)
	s_add_u32 s0, s4, s0
	s_addc_u32 s1, s5, s1
	s_waitcnt lgkmcnt(0)
	global_store_b32 v0, v1, s[0:1]
.LBB161_15:
	s_and_not1_b32 vcc_lo, exec_lo, s15
	s_cbranch_vccnz .LBB161_21
; %bb.16:
	s_waitcnt lgkmcnt(0)
	v_and_b32_e32 v0, 0x7f800000, v1
	s_delay_alu instid0(VALU_DEP_1) | instskip(SKIP_1) | instid1(SALU_CYCLE_1)
	v_cmp_ne_u32_e32 vcc_lo, 0x7f800000, v0
                                        ; implicit-def: $vgpr0
	s_and_saveexec_b32 s0, vcc_lo
	s_xor_b32 s0, exec_lo, s0
; %bb.17:
	v_bfe_u32 v0, v1, 16, 1
	s_delay_alu instid0(VALU_DEP_1)
	v_add3_u32 v0, v1, v0, 0x7fff
                                        ; implicit-def: $vgpr1
; %bb.18:
	s_and_not1_saveexec_b32 s0, s0
; %bb.19:
	v_and_b32_e32 v0, 0xffff, v1
	v_or_b32_e32 v2, 0x10000, v1
	s_delay_alu instid0(VALU_DEP_2) | instskip(NEXT) | instid1(VALU_DEP_2)
	v_cmp_eq_u32_e32 vcc_lo, 0, v0
	v_cndmask_b32_e32 v0, v2, v1, vcc_lo
; %bb.20:
	s_or_b32 exec_lo, exec_lo, s0
	s_lshl_b64 s[0:1], s[2:3], 1
	v_mov_b32_e32 v1, 0
	s_add_u32 s0, s6, s0
	s_addc_u32 s1, s7, s1
	global_store_d16_hi_b16 v1, v0, s[0:1]
.LBB161_21:
	s_nop 0
	s_sendmsg sendmsg(MSG_DEALLOC_VGPRS)
	s_endpgm
	.section	.rodata,"a",@progbits
	.p2align	6, 0x0
	.amdhsa_kernel _ZL18rocblas_dot_kernelIiLb0ELi512ELi8ELb0E16rocblas_bfloat16PKPKS0_fEviT5_lT_lS5_lS6_liPT6_PT4_
		.amdhsa_group_segment_fixed_size 128
		.amdhsa_private_segment_fixed_size 0
		.amdhsa_kernarg_size 352
		.amdhsa_user_sgpr_count 14
		.amdhsa_user_sgpr_dispatch_ptr 0
		.amdhsa_user_sgpr_queue_ptr 0
		.amdhsa_user_sgpr_kernarg_segment_ptr 1
		.amdhsa_user_sgpr_dispatch_id 0
		.amdhsa_user_sgpr_private_segment_size 0
		.amdhsa_wavefront_size32 1
		.amdhsa_uses_dynamic_stack 0
		.amdhsa_enable_private_segment 0
		.amdhsa_system_sgpr_workgroup_id_x 1
		.amdhsa_system_sgpr_workgroup_id_y 0
		.amdhsa_system_sgpr_workgroup_id_z 1
		.amdhsa_system_sgpr_workgroup_info 0
		.amdhsa_system_vgpr_workitem_id 0
		.amdhsa_next_free_vgpr 9
		.amdhsa_next_free_sgpr 25
		.amdhsa_reserve_vcc 1
		.amdhsa_float_round_mode_32 0
		.amdhsa_float_round_mode_16_64 0
		.amdhsa_float_denorm_mode_32 3
		.amdhsa_float_denorm_mode_16_64 3
		.amdhsa_dx10_clamp 1
		.amdhsa_ieee_mode 1
		.amdhsa_fp16_overflow 0
		.amdhsa_workgroup_processor_mode 1
		.amdhsa_memory_ordered 1
		.amdhsa_forward_progress 0
		.amdhsa_shared_vgpr_count 0
		.amdhsa_exception_fp_ieee_invalid_op 0
		.amdhsa_exception_fp_denorm_src 0
		.amdhsa_exception_fp_ieee_div_zero 0
		.amdhsa_exception_fp_ieee_overflow 0
		.amdhsa_exception_fp_ieee_underflow 0
		.amdhsa_exception_fp_ieee_inexact 0
		.amdhsa_exception_int_div_zero 0
	.end_amdhsa_kernel
	.section	.text._ZL18rocblas_dot_kernelIiLb0ELi512ELi8ELb0E16rocblas_bfloat16PKPKS0_fEviT5_lT_lS5_lS6_liPT6_PT4_,"axG",@progbits,_ZL18rocblas_dot_kernelIiLb0ELi512ELi8ELb0E16rocblas_bfloat16PKPKS0_fEviT5_lT_lS5_lS6_liPT6_PT4_,comdat
.Lfunc_end161:
	.size	_ZL18rocblas_dot_kernelIiLb0ELi512ELi8ELb0E16rocblas_bfloat16PKPKS0_fEviT5_lT_lS5_lS6_liPT6_PT4_, .Lfunc_end161-_ZL18rocblas_dot_kernelIiLb0ELi512ELi8ELb0E16rocblas_bfloat16PKPKS0_fEviT5_lT_lS5_lS6_liPT6_PT4_
                                        ; -- End function
	.section	.AMDGPU.csdata,"",@progbits
; Kernel info:
; codeLenInByte = 1084
; NumSgprs: 27
; NumVgprs: 9
; ScratchSize: 0
; MemoryBound: 0
; FloatMode: 240
; IeeeMode: 1
; LDSByteSize: 128 bytes/workgroup (compile time only)
; SGPRBlocks: 3
; VGPRBlocks: 1
; NumSGPRsForWavesPerEU: 27
; NumVGPRsForWavesPerEU: 9
; Occupancy: 16
; WaveLimiterHint : 0
; COMPUTE_PGM_RSRC2:SCRATCH_EN: 0
; COMPUTE_PGM_RSRC2:USER_SGPR: 14
; COMPUTE_PGM_RSRC2:TRAP_HANDLER: 0
; COMPUTE_PGM_RSRC2:TGID_X_EN: 1
; COMPUTE_PGM_RSRC2:TGID_Y_EN: 0
; COMPUTE_PGM_RSRC2:TGID_Z_EN: 1
; COMPUTE_PGM_RSRC2:TIDIG_COMP_CNT: 0
	.section	.text._ZL24rocblas_dot_kernel_magsqIiLb0ELi512ELi8ELb0E16rocblas_bfloat16PKPKS0_fEviT5_lT_liPT6_PT4_,"axG",@progbits,_ZL24rocblas_dot_kernel_magsqIiLb0ELi512ELi8ELb0E16rocblas_bfloat16PKPKS0_fEviT5_lT_liPT6_PT4_,comdat
	.globl	_ZL24rocblas_dot_kernel_magsqIiLb0ELi512ELi8ELb0E16rocblas_bfloat16PKPKS0_fEviT5_lT_liPT6_PT4_ ; -- Begin function _ZL24rocblas_dot_kernel_magsqIiLb0ELi512ELi8ELb0E16rocblas_bfloat16PKPKS0_fEviT5_lT_liPT6_PT4_
	.p2align	8
	.type	_ZL24rocblas_dot_kernel_magsqIiLb0ELi512ELi8ELb0E16rocblas_bfloat16PKPKS0_fEviT5_lT_liPT6_PT4_,@function
_ZL24rocblas_dot_kernel_magsqIiLb0ELi512ELi8ELb0E16rocblas_bfloat16PKPKS0_fEviT5_lT_liPT6_PT4_: ; @_ZL24rocblas_dot_kernel_magsqIiLb0ELi512ELi8ELb0E16rocblas_bfloat16PKPKS0_fEviT5_lT_liPT6_PT4_
; %bb.0:
	s_clause 0x2
	s_load_b32 s11, s[0:1], 0x0
	s_load_b128 s[4:7], s[0:1], 0x30
	s_load_b32 s10, s[0:1], 0x40
	v_lshl_or_b32 v1, s14, 9, v0
	v_mov_b32_e32 v3, 0
	s_mov_b32 s2, s15
	s_mov_b32 s3, 0
	s_mov_b32 s12, exec_lo
	s_waitcnt lgkmcnt(0)
	v_cmpx_gt_i32_e64 s11, v1
	s_cbranch_execz .LBB162_4
; %bb.1:
	s_clause 0x1
	s_load_b128 s[16:19], s[0:1], 0x8
	s_load_b32 s13, s[0:1], 0x18
	s_lshl_b64 s[0:1], s[2:3], 3
	s_mov_b32 s15, s3
	s_waitcnt lgkmcnt(0)
	s_add_u32 s0, s16, s0
	s_addc_u32 s1, s17, s1
	v_mad_i64_i32 v[2:3], null, s13, v1, 0
	s_load_b64 s[8:9], s[0:1], 0x0
	s_lshl_b32 s1, s10, 9
	s_lshl_b64 s[16:17], s[18:19], 1
	v_add_nc_u32_e32 v4, s1, v1
	s_mul_hi_i32 s19, s13, s1
	s_mul_i32 s18, s13, s1
	s_delay_alu instid0(VALU_DEP_2)
	v_lshlrev_b64 v[1:2], 1, v[2:3]
	v_mov_b32_e32 v3, 0
	s_mov_b32 s13, s3
	s_waitcnt lgkmcnt(0)
	s_add_u32 s0, s8, s16
	s_addc_u32 s8, s9, s17
	v_add_co_u32 v1, vcc_lo, s0, v1
	v_add_co_ci_u32_e32 v2, vcc_lo, s8, v2, vcc_lo
	s_lshl_b64 s[8:9], s[18:19], 1
	.p2align	6
.LBB162_2:                              ; =>This Inner Loop Header: Depth=1
	global_load_u16 v5, v[1:2], off
	s_add_i32 s16, s15, 1
	v_cmp_le_i32_e32 vcc_lo, s11, v4
	v_add_co_u32 v1, s0, v1, s8
	s_cmp_gt_u32 s15, 6
	v_add_co_ci_u32_e64 v2, s0, s9, v2, s0
	s_cselect_b32 s0, -1, 0
	s_mov_b32 s15, s16
	s_or_b32 s0, s0, vcc_lo
	s_delay_alu instid0(SALU_CYCLE_1) | instskip(NEXT) | instid1(SALU_CYCLE_1)
	s_and_b32 s0, exec_lo, s0
	s_or_b32 s13, s0, s13
	s_waitcnt vmcnt(0)
	v_lshlrev_b32_e32 v5, 16, v5
	s_delay_alu instid0(VALU_DEP_1)
	v_dual_fmac_f32 v3, v5, v5 :: v_dual_add_nc_u32 v4, s1, v4
	s_and_not1_b32 exec_lo, exec_lo, s13
	s_cbranch_execnz .LBB162_2
; %bb.3:
	s_or_b32 exec_lo, exec_lo, s13
.LBB162_4:
	s_delay_alu instid0(SALU_CYCLE_1) | instskip(SKIP_2) | instid1(VALU_DEP_2)
	s_or_b32 exec_lo, exec_lo, s12
	v_and_b32_e32 v1, 31, v0
	v_cmp_gt_u32_e32 vcc_lo, 32, v0
	v_lshlrev_b32_e32 v2, 2, v1
	s_and_saveexec_b32 s0, vcc_lo
	s_cbranch_execz .LBB162_6
; %bb.5:
	v_mov_b32_e32 v4, 0
	ds_store_b32 v2, v4
.LBB162_6:
	s_or_b32 exec_lo, exec_lo, s0
	v_mbcnt_lo_u32_b32 v6, -1, 0
	s_mov_b32 s1, exec_lo
	s_waitcnt lgkmcnt(0)
	s_barrier
	buffer_gl0_inv
	v_cmp_gt_u32_e64 s0, 16, v6
	s_delay_alu instid0(VALU_DEP_1) | instskip(SKIP_1) | instid1(VALU_DEP_2)
	v_cndmask_b32_e64 v4, 0, 1, s0
	v_cmp_gt_u32_e64 s0, 24, v6
	v_lshlrev_b32_e32 v4, 4, v4
	s_delay_alu instid0(VALU_DEP_1) | instskip(SKIP_4) | instid1(VALU_DEP_2)
	v_add_lshl_u32 v4, v4, v6, 2
	ds_bpermute_b32 v5, v4, v3
	v_cndmask_b32_e64 v4, 0, 1, s0
	v_cmp_gt_u32_e64 s0, 28, v6
	s_waitcnt lgkmcnt(0)
	v_dual_add_f32 v5, v3, v5 :: v_dual_lshlrev_b32 v4, 3, v4
	s_delay_alu instid0(VALU_DEP_2) | instskip(SKIP_1) | instid1(VALU_DEP_3)
	v_cndmask_b32_e64 v3, 0, 1, s0
	v_cmp_gt_u32_e64 s0, 30, v6
	v_add_lshl_u32 v4, v4, v6, 2
	s_delay_alu instid0(VALU_DEP_3)
	v_lshlrev_b32_e32 v3, 2, v3
	ds_bpermute_b32 v7, v4, v5
	v_add_lshl_u32 v3, v3, v6, 2
	s_waitcnt lgkmcnt(0)
	v_add_f32_e32 v7, v5, v7
	v_cndmask_b32_e64 v5, 0, 1, s0
	v_cmp_ne_u32_e64 s0, 31, v6
	ds_bpermute_b32 v8, v3, v7
	v_lshlrev_b32_e32 v5, 1, v5
	s_delay_alu instid0(VALU_DEP_1) | instskip(SKIP_2) | instid1(VALU_DEP_1)
	v_add_lshl_u32 v5, v5, v6, 2
	v_add_co_ci_u32_e64 v6, s0, 0, v6, s0
	s_waitcnt lgkmcnt(0)
	v_dual_add_f32 v7, v7, v8 :: v_dual_lshlrev_b32 v6, 2, v6
	ds_bpermute_b32 v8, v5, v7
	s_waitcnt lgkmcnt(0)
	v_add_f32_e32 v7, v7, v8
	ds_bpermute_b32 v8, v6, v7
	v_cmpx_eq_u32_e32 0, v1
	s_cbranch_execz .LBB162_8
; %bb.7:
	v_lshrrev_b32_e32 v1, 3, v0
	s_waitcnt lgkmcnt(0)
	v_add_f32_e32 v7, v7, v8
	s_delay_alu instid0(VALU_DEP_2)
	v_and_b32_e32 v1, 60, v1
	ds_store_b32 v1, v7
.LBB162_8:
	s_or_b32 exec_lo, exec_lo, s1
	v_mov_b32_e32 v1, 0
	s_mov_b32 s1, exec_lo
	s_waitcnt lgkmcnt(0)
	s_barrier
	buffer_gl0_inv
	v_cmpx_gt_u32_e32 16, v0
	s_cbranch_execz .LBB162_10
; %bb.9:
	ds_load_b32 v1, v2
.LBB162_10:
	s_or_b32 exec_lo, exec_lo, s1
	s_and_saveexec_b32 s0, vcc_lo
	s_cbranch_execz .LBB162_12
; %bb.11:
	s_waitcnt lgkmcnt(0)
	ds_bpermute_b32 v2, v4, v1
	s_waitcnt lgkmcnt(0)
	v_add_f32_e32 v1, v1, v2
	ds_bpermute_b32 v2, v3, v1
	s_waitcnt lgkmcnt(0)
	v_add_f32_e32 v1, v1, v2
	;; [unrolled: 3-line block ×4, first 2 shown]
.LBB162_12:
	s_or_b32 exec_lo, exec_lo, s0
	s_delay_alu instid0(SALU_CYCLE_1)
	s_mov_b32 s0, exec_lo
	v_cmpx_eq_u32_e32 0, v0
	s_cbranch_execz .LBB162_21
; %bb.13:
	s_cmp_lg_u32 s10, 1
	s_mov_b32 s15, -1
	s_cbranch_scc0 .LBB162_15
; %bb.14:
	s_mul_hi_u32 s1, s10, s2
	s_mul_i32 s0, s10, s2
	s_mov_b32 s15, 0
	s_lshl_b64 s[0:1], s[0:1], 2
	v_mov_b32_e32 v0, 0
	s_add_u32 s4, s4, s0
	s_addc_u32 s5, s5, s1
	s_lshl_b64 s[0:1], s[14:15], 2
	s_delay_alu instid0(SALU_CYCLE_1)
	s_add_u32 s0, s4, s0
	s_addc_u32 s1, s5, s1
	s_waitcnt lgkmcnt(0)
	global_store_b32 v0, v1, s[0:1]
.LBB162_15:
	s_and_not1_b32 vcc_lo, exec_lo, s15
	s_cbranch_vccnz .LBB162_21
; %bb.16:
	s_waitcnt lgkmcnt(0)
	v_and_b32_e32 v0, 0x7f800000, v1
	s_delay_alu instid0(VALU_DEP_1) | instskip(SKIP_1) | instid1(SALU_CYCLE_1)
	v_cmp_ne_u32_e32 vcc_lo, 0x7f800000, v0
                                        ; implicit-def: $vgpr0
	s_and_saveexec_b32 s0, vcc_lo
	s_xor_b32 s0, exec_lo, s0
; %bb.17:
	v_bfe_u32 v0, v1, 16, 1
	s_delay_alu instid0(VALU_DEP_1)
	v_add3_u32 v0, v1, v0, 0x7fff
                                        ; implicit-def: $vgpr1
; %bb.18:
	s_and_not1_saveexec_b32 s0, s0
; %bb.19:
	v_and_b32_e32 v0, 0xffff, v1
	v_or_b32_e32 v2, 0x10000, v1
	s_delay_alu instid0(VALU_DEP_2) | instskip(NEXT) | instid1(VALU_DEP_2)
	v_cmp_eq_u32_e32 vcc_lo, 0, v0
	v_cndmask_b32_e32 v0, v2, v1, vcc_lo
; %bb.20:
	s_or_b32 exec_lo, exec_lo, s0
	s_lshl_b64 s[0:1], s[2:3], 1
	v_mov_b32_e32 v1, 0
	s_add_u32 s0, s6, s0
	s_addc_u32 s1, s7, s1
	global_store_d16_hi_b16 v1, v0, s[0:1]
.LBB162_21:
	s_nop 0
	s_sendmsg sendmsg(MSG_DEALLOC_VGPRS)
	s_endpgm
	.section	.rodata,"a",@progbits
	.p2align	6, 0x0
	.amdhsa_kernel _ZL24rocblas_dot_kernel_magsqIiLb0ELi512ELi8ELb0E16rocblas_bfloat16PKPKS0_fEviT5_lT_liPT6_PT4_
		.amdhsa_group_segment_fixed_size 128
		.amdhsa_private_segment_fixed_size 0
		.amdhsa_kernarg_size 320
		.amdhsa_user_sgpr_count 14
		.amdhsa_user_sgpr_dispatch_ptr 0
		.amdhsa_user_sgpr_queue_ptr 0
		.amdhsa_user_sgpr_kernarg_segment_ptr 1
		.amdhsa_user_sgpr_dispatch_id 0
		.amdhsa_user_sgpr_private_segment_size 0
		.amdhsa_wavefront_size32 1
		.amdhsa_uses_dynamic_stack 0
		.amdhsa_enable_private_segment 0
		.amdhsa_system_sgpr_workgroup_id_x 1
		.amdhsa_system_sgpr_workgroup_id_y 0
		.amdhsa_system_sgpr_workgroup_id_z 1
		.amdhsa_system_sgpr_workgroup_info 0
		.amdhsa_system_vgpr_workitem_id 0
		.amdhsa_next_free_vgpr 9
		.amdhsa_next_free_sgpr 20
		.amdhsa_reserve_vcc 1
		.amdhsa_float_round_mode_32 0
		.amdhsa_float_round_mode_16_64 0
		.amdhsa_float_denorm_mode_32 3
		.amdhsa_float_denorm_mode_16_64 3
		.amdhsa_dx10_clamp 1
		.amdhsa_ieee_mode 1
		.amdhsa_fp16_overflow 0
		.amdhsa_workgroup_processor_mode 1
		.amdhsa_memory_ordered 1
		.amdhsa_forward_progress 0
		.amdhsa_shared_vgpr_count 0
		.amdhsa_exception_fp_ieee_invalid_op 0
		.amdhsa_exception_fp_denorm_src 0
		.amdhsa_exception_fp_ieee_div_zero 0
		.amdhsa_exception_fp_ieee_overflow 0
		.amdhsa_exception_fp_ieee_underflow 0
		.amdhsa_exception_fp_ieee_inexact 0
		.amdhsa_exception_int_div_zero 0
	.end_amdhsa_kernel
	.section	.text._ZL24rocblas_dot_kernel_magsqIiLb0ELi512ELi8ELb0E16rocblas_bfloat16PKPKS0_fEviT5_lT_liPT6_PT4_,"axG",@progbits,_ZL24rocblas_dot_kernel_magsqIiLb0ELi512ELi8ELb0E16rocblas_bfloat16PKPKS0_fEviT5_lT_liPT6_PT4_,comdat
.Lfunc_end162:
	.size	_ZL24rocblas_dot_kernel_magsqIiLb0ELi512ELi8ELb0E16rocblas_bfloat16PKPKS0_fEviT5_lT_liPT6_PT4_, .Lfunc_end162-_ZL24rocblas_dot_kernel_magsqIiLb0ELi512ELi8ELb0E16rocblas_bfloat16PKPKS0_fEviT5_lT_liPT6_PT4_
                                        ; -- End function
	.section	.AMDGPU.csdata,"",@progbits
; Kernel info:
; codeLenInByte = 964
; NumSgprs: 22
; NumVgprs: 9
; ScratchSize: 0
; MemoryBound: 0
; FloatMode: 240
; IeeeMode: 1
; LDSByteSize: 128 bytes/workgroup (compile time only)
; SGPRBlocks: 2
; VGPRBlocks: 1
; NumSGPRsForWavesPerEU: 22
; NumVGPRsForWavesPerEU: 9
; Occupancy: 16
; WaveLimiterHint : 0
; COMPUTE_PGM_RSRC2:SCRATCH_EN: 0
; COMPUTE_PGM_RSRC2:USER_SGPR: 14
; COMPUTE_PGM_RSRC2:TRAP_HANDLER: 0
; COMPUTE_PGM_RSRC2:TGID_X_EN: 1
; COMPUTE_PGM_RSRC2:TGID_Y_EN: 0
; COMPUTE_PGM_RSRC2:TGID_Z_EN: 1
; COMPUTE_PGM_RSRC2:TIDIG_COMP_CNT: 0
	.section	.text._ZL28rocblas_dot_batched_4_kernelIiLi32ELi4ELb0EffPKPK16rocblas_bfloat16EviT5_lT_lS5_lS6_liPT4_,"axG",@progbits,_ZL28rocblas_dot_batched_4_kernelIiLi32ELi4ELb0EffPKPK16rocblas_bfloat16EviT5_lT_lS5_lS6_liPT4_,comdat
	.globl	_ZL28rocblas_dot_batched_4_kernelIiLi32ELi4ELb0EffPKPK16rocblas_bfloat16EviT5_lT_lS5_lS6_liPT4_ ; -- Begin function _ZL28rocblas_dot_batched_4_kernelIiLi32ELi4ELb0EffPKPK16rocblas_bfloat16EviT5_lT_lS5_lS6_liPT4_
	.p2align	8
	.type	_ZL28rocblas_dot_batched_4_kernelIiLi32ELi4ELb0EffPKPK16rocblas_bfloat16EviT5_lT_lS5_lS6_liPT4_,@function
_ZL28rocblas_dot_batched_4_kernelIiLi32ELi4ELb0EffPKPK16rocblas_bfloat16EviT5_lT_lS5_lS6_liPT4_: ; @_ZL28rocblas_dot_batched_4_kernelIiLi32ELi4ELb0EffPKPK16rocblas_bfloat16EviT5_lT_lS5_lS6_liPT4_
; %bb.0:
	s_load_b32 s2, s[0:1], 0x48
	v_bfe_u32 v1, v0, 10, 10
	s_delay_alu instid0(VALU_DEP_1) | instskip(SKIP_1) | instid1(VALU_DEP_1)
	v_lshl_add_u32 v1, s15, 2, v1
	s_waitcnt lgkmcnt(0)
	v_cmp_gt_u32_e32 vcc_lo, s2, v1
	s_and_saveexec_b32 s2, vcc_lo
	s_cbranch_execz .LBB163_7
; %bb.1:
	s_clause 0x1
	s_load_b32 s12, s[0:1], 0x0
	s_load_b64 s[2:3], s[0:1], 0x50
	v_mov_b32_e32 v2, 0
	v_and_b32_e32 v0, 0x3ff, v0
	s_mov_b32 s13, exec_lo
	s_delay_alu instid0(VALU_DEP_2) | instskip(SKIP_1) | instid1(VALU_DEP_2)
	v_mov_b32_e32 v7, v2
	s_waitcnt lgkmcnt(0)
	v_cmpx_gt_i32_e64 s12, v0
	s_cbranch_execz .LBB163_5
; %bb.2:
	s_clause 0x1
	s_load_b128 s[4:7], s[0:1], 0x8
	s_load_b128 s[8:11], s[0:1], 0x28
	v_lshlrev_b64 v[3:4], 3, v[1:2]
	s_clause 0x1
	s_load_b32 s14, s[0:1], 0x18
	s_load_b32 s0, s[0:1], 0x38
	v_mov_b32_e32 v7, 0
	s_waitcnt lgkmcnt(0)
	v_add_co_u32 v5, vcc_lo, s4, v3
	v_add_co_ci_u32_e32 v6, vcc_lo, s5, v4, vcc_lo
	v_add_co_u32 v3, vcc_lo, s8, v3
	v_add_co_ci_u32_e32 v4, vcc_lo, s9, v4, vcc_lo
	v_mad_i64_i32 v[10:11], null, s0, v0, 0
	global_load_b64 v[5:6], v[5:6], off
	global_load_b64 v[8:9], v[3:4], off
	v_mad_i64_i32 v[3:4], null, s14, v0, 0
	s_lshl_b64 s[4:5], s[6:7], 1
	s_lshl_b64 s[6:7], s[10:11], 1
	s_ashr_i32 s15, s14, 31
	v_lshlrev_b64 v[10:11], 1, v[10:11]
	s_ashr_i32 s1, s0, 31
	s_delay_alu instid0(VALU_DEP_2) | instskip(NEXT) | instid1(VALU_DEP_1)
	v_lshlrev_b64 v[3:4], 1, v[3:4]
	v_add_co_u32 v3, vcc_lo, v3, s4
	s_delay_alu instid0(VALU_DEP_2) | instskip(NEXT) | instid1(VALU_DEP_4)
	v_add_co_ci_u32_e32 v4, vcc_lo, s5, v4, vcc_lo
	v_add_co_u32 v10, vcc_lo, v10, s6
	v_add_co_ci_u32_e32 v11, vcc_lo, s7, v11, vcc_lo
	s_lshl_b64 s[4:5], s[14:15], 6
	s_lshl_b64 s[6:7], s[0:1], 6
	s_mov_b32 s1, 0
	s_waitcnt vmcnt(1)
	v_add_co_u32 v3, vcc_lo, v5, v3
	v_add_co_ci_u32_e32 v4, vcc_lo, v6, v4, vcc_lo
	s_waitcnt vmcnt(0)
	v_add_co_u32 v5, vcc_lo, v8, v10
	v_mov_b32_e32 v8, v0
	v_add_co_ci_u32_e32 v6, vcc_lo, v9, v11, vcc_lo
	.p2align	6
.LBB163_3:                              ; =>This Inner Loop Header: Depth=1
	global_load_u16 v9, v[5:6], off
	global_load_u16 v10, v[3:4], off
	v_add_co_u32 v3, vcc_lo, v3, s4
	v_add_co_ci_u32_e32 v4, vcc_lo, s5, v4, vcc_lo
	v_add_co_u32 v5, vcc_lo, v5, s6
	v_add_co_ci_u32_e32 v6, vcc_lo, s7, v6, vcc_lo
	s_waitcnt vmcnt(1)
	v_lshlrev_b32_e32 v9, 16, v9
	s_waitcnt vmcnt(0)
	v_lshlrev_b32_e32 v10, 16, v10
	s_delay_alu instid0(VALU_DEP_1) | instskip(NEXT) | instid1(VALU_DEP_1)
	v_dual_fmac_f32 v7, v10, v9 :: v_dual_add_nc_u32 v8, 32, v8
	v_cmp_le_i32_e64 s0, s12, v8
	s_delay_alu instid0(VALU_DEP_1) | instskip(NEXT) | instid1(SALU_CYCLE_1)
	s_or_b32 s1, s0, s1
	s_and_not1_b32 exec_lo, exec_lo, s1
	s_cbranch_execnz .LBB163_3
; %bb.4:
	s_or_b32 exec_lo, exec_lo, s1
.LBB163_5:
	s_delay_alu instid0(SALU_CYCLE_1)
	s_or_b32 exec_lo, exec_lo, s13
	v_mbcnt_lo_u32_b32 v3, -1, 0
	s_barrier
	buffer_gl0_inv
	v_cmp_gt_u32_e32 vcc_lo, 16, v3
	v_cndmask_b32_e64 v4, 0, 1, vcc_lo
	v_cmp_gt_u32_e32 vcc_lo, 24, v3
	s_delay_alu instid0(VALU_DEP_2) | instskip(SKIP_2) | instid1(VALU_DEP_3)
	v_lshlrev_b32_e32 v4, 4, v4
	v_cndmask_b32_e64 v5, 0, 1, vcc_lo
	v_cmp_gt_u32_e32 vcc_lo, 28, v3
	v_add_lshl_u32 v4, v4, v3, 2
	v_cndmask_b32_e64 v6, 0, 1, vcc_lo
	v_cmp_gt_u32_e32 vcc_lo, 30, v3
	ds_bpermute_b32 v4, v4, v7
	v_lshlrev_b32_e32 v5, 3, v5
	v_lshlrev_b32_e32 v6, 2, v6
	s_delay_alu instid0(VALU_DEP_1)
	v_add_lshl_u32 v6, v6, v3, 2
	s_waitcnt lgkmcnt(0)
	v_add_f32_e32 v4, v7, v4
	v_add_lshl_u32 v5, v5, v3, 2
	ds_bpermute_b32 v5, v5, v4
	s_waitcnt lgkmcnt(0)
	v_add_f32_e32 v4, v4, v5
	ds_bpermute_b32 v5, v6, v4
	v_cndmask_b32_e64 v6, 0, 1, vcc_lo
	v_cmp_ne_u32_e32 vcc_lo, 31, v3
	s_delay_alu instid0(VALU_DEP_2) | instskip(NEXT) | instid1(VALU_DEP_1)
	v_lshlrev_b32_e32 v6, 1, v6
	v_add_lshl_u32 v6, v6, v3, 2
	s_waitcnt lgkmcnt(0)
	v_add_f32_e32 v4, v4, v5
	ds_bpermute_b32 v5, v6, v4
	v_add_co_ci_u32_e32 v6, vcc_lo, 0, v3, vcc_lo
	v_cmp_eq_u32_e32 vcc_lo, 0, v0
	s_waitcnt lgkmcnt(0)
	s_delay_alu instid0(VALU_DEP_2)
	v_dual_add_f32 v3, v4, v5 :: v_dual_lshlrev_b32 v4, 2, v6
	ds_bpermute_b32 v4, v4, v3
	s_and_b32 exec_lo, exec_lo, vcc_lo
	s_cbranch_execz .LBB163_7
; %bb.6:
	v_lshlrev_b64 v[0:1], 2, v[1:2]
	s_waitcnt lgkmcnt(0)
	v_add_f32_e32 v2, v3, v4
	s_delay_alu instid0(VALU_DEP_2) | instskip(NEXT) | instid1(VALU_DEP_3)
	v_add_co_u32 v0, vcc_lo, s2, v0
	v_add_co_ci_u32_e32 v1, vcc_lo, s3, v1, vcc_lo
	global_store_b32 v[0:1], v2, off
.LBB163_7:
	s_nop 0
	s_sendmsg sendmsg(MSG_DEALLOC_VGPRS)
	s_endpgm
	.section	.rodata,"a",@progbits
	.p2align	6, 0x0
	.amdhsa_kernel _ZL28rocblas_dot_batched_4_kernelIiLi32ELi4ELb0EffPKPK16rocblas_bfloat16EviT5_lT_lS5_lS6_liPT4_
		.amdhsa_group_segment_fixed_size 0
		.amdhsa_private_segment_fixed_size 0
		.amdhsa_kernarg_size 88
		.amdhsa_user_sgpr_count 15
		.amdhsa_user_sgpr_dispatch_ptr 0
		.amdhsa_user_sgpr_queue_ptr 0
		.amdhsa_user_sgpr_kernarg_segment_ptr 1
		.amdhsa_user_sgpr_dispatch_id 0
		.amdhsa_user_sgpr_private_segment_size 0
		.amdhsa_wavefront_size32 1
		.amdhsa_uses_dynamic_stack 0
		.amdhsa_enable_private_segment 0
		.amdhsa_system_sgpr_workgroup_id_x 1
		.amdhsa_system_sgpr_workgroup_id_y 0
		.amdhsa_system_sgpr_workgroup_id_z 0
		.amdhsa_system_sgpr_workgroup_info 0
		.amdhsa_system_vgpr_workitem_id 1
		.amdhsa_next_free_vgpr 12
		.amdhsa_next_free_sgpr 16
		.amdhsa_reserve_vcc 1
		.amdhsa_float_round_mode_32 0
		.amdhsa_float_round_mode_16_64 0
		.amdhsa_float_denorm_mode_32 3
		.amdhsa_float_denorm_mode_16_64 3
		.amdhsa_dx10_clamp 1
		.amdhsa_ieee_mode 1
		.amdhsa_fp16_overflow 0
		.amdhsa_workgroup_processor_mode 1
		.amdhsa_memory_ordered 1
		.amdhsa_forward_progress 0
		.amdhsa_shared_vgpr_count 0
		.amdhsa_exception_fp_ieee_invalid_op 0
		.amdhsa_exception_fp_denorm_src 0
		.amdhsa_exception_fp_ieee_div_zero 0
		.amdhsa_exception_fp_ieee_overflow 0
		.amdhsa_exception_fp_ieee_underflow 0
		.amdhsa_exception_fp_ieee_inexact 0
		.amdhsa_exception_int_div_zero 0
	.end_amdhsa_kernel
	.section	.text._ZL28rocblas_dot_batched_4_kernelIiLi32ELi4ELb0EffPKPK16rocblas_bfloat16EviT5_lT_lS5_lS6_liPT4_,"axG",@progbits,_ZL28rocblas_dot_batched_4_kernelIiLi32ELi4ELb0EffPKPK16rocblas_bfloat16EviT5_lT_lS5_lS6_liPT4_,comdat
.Lfunc_end163:
	.size	_ZL28rocblas_dot_batched_4_kernelIiLi32ELi4ELb0EffPKPK16rocblas_bfloat16EviT5_lT_lS5_lS6_liPT4_, .Lfunc_end163-_ZL28rocblas_dot_batched_4_kernelIiLi32ELi4ELb0EffPKPK16rocblas_bfloat16EviT5_lT_lS5_lS6_liPT4_
                                        ; -- End function
	.section	.AMDGPU.csdata,"",@progbits
; Kernel info:
; codeLenInByte = 712
; NumSgprs: 18
; NumVgprs: 12
; ScratchSize: 0
; MemoryBound: 0
; FloatMode: 240
; IeeeMode: 1
; LDSByteSize: 0 bytes/workgroup (compile time only)
; SGPRBlocks: 2
; VGPRBlocks: 1
; NumSGPRsForWavesPerEU: 18
; NumVGPRsForWavesPerEU: 12
; Occupancy: 16
; WaveLimiterHint : 0
; COMPUTE_PGM_RSRC2:SCRATCH_EN: 0
; COMPUTE_PGM_RSRC2:USER_SGPR: 15
; COMPUTE_PGM_RSRC2:TRAP_HANDLER: 0
; COMPUTE_PGM_RSRC2:TGID_X_EN: 1
; COMPUTE_PGM_RSRC2:TGID_Y_EN: 0
; COMPUTE_PGM_RSRC2:TGID_Z_EN: 0
; COMPUTE_PGM_RSRC2:TIDIG_COMP_CNT: 1
	.section	.text._ZL28rocblas_dot_batched_4_kernelIiLi64ELi4ELb0EffPKPK16rocblas_bfloat16EviT5_lT_lS5_lS6_liPT4_,"axG",@progbits,_ZL28rocblas_dot_batched_4_kernelIiLi64ELi4ELb0EffPKPK16rocblas_bfloat16EviT5_lT_lS5_lS6_liPT4_,comdat
	.globl	_ZL28rocblas_dot_batched_4_kernelIiLi64ELi4ELb0EffPKPK16rocblas_bfloat16EviT5_lT_lS5_lS6_liPT4_ ; -- Begin function _ZL28rocblas_dot_batched_4_kernelIiLi64ELi4ELb0EffPKPK16rocblas_bfloat16EviT5_lT_lS5_lS6_liPT4_
	.p2align	8
	.type	_ZL28rocblas_dot_batched_4_kernelIiLi64ELi4ELb0EffPKPK16rocblas_bfloat16EviT5_lT_lS5_lS6_liPT4_,@function
_ZL28rocblas_dot_batched_4_kernelIiLi64ELi4ELb0EffPKPK16rocblas_bfloat16EviT5_lT_lS5_lS6_liPT4_: ; @_ZL28rocblas_dot_batched_4_kernelIiLi64ELi4ELb0EffPKPK16rocblas_bfloat16EviT5_lT_lS5_lS6_liPT4_
; %bb.0:
	s_load_b32 s2, s[0:1], 0x48
	v_bfe_u32 v1, v0, 10, 10
	s_delay_alu instid0(VALU_DEP_1) | instskip(SKIP_1) | instid1(VALU_DEP_1)
	v_lshl_add_u32 v1, s15, 2, v1
	s_waitcnt lgkmcnt(0)
	v_cmp_gt_u32_e32 vcc_lo, s2, v1
	s_and_saveexec_b32 s2, vcc_lo
	s_cbranch_execz .LBB164_7
; %bb.1:
	s_clause 0x1
	s_load_b32 s12, s[0:1], 0x0
	s_load_b64 s[2:3], s[0:1], 0x50
	v_mov_b32_e32 v2, 0
	v_and_b32_e32 v0, 0x3ff, v0
	s_mov_b32 s13, exec_lo
	s_delay_alu instid0(VALU_DEP_2) | instskip(SKIP_1) | instid1(VALU_DEP_2)
	v_mov_b32_e32 v7, v2
	s_waitcnt lgkmcnt(0)
	v_cmpx_gt_i32_e64 s12, v0
	s_cbranch_execz .LBB164_5
; %bb.2:
	s_clause 0x1
	s_load_b128 s[4:7], s[0:1], 0x8
	s_load_b128 s[8:11], s[0:1], 0x28
	v_lshlrev_b64 v[3:4], 3, v[1:2]
	s_clause 0x1
	s_load_b32 s14, s[0:1], 0x18
	s_load_b32 s0, s[0:1], 0x38
	v_mov_b32_e32 v7, 0
	s_waitcnt lgkmcnt(0)
	v_add_co_u32 v5, vcc_lo, s4, v3
	v_add_co_ci_u32_e32 v6, vcc_lo, s5, v4, vcc_lo
	v_add_co_u32 v3, vcc_lo, s8, v3
	v_add_co_ci_u32_e32 v4, vcc_lo, s9, v4, vcc_lo
	v_mad_i64_i32 v[10:11], null, s0, v0, 0
	global_load_b64 v[5:6], v[5:6], off
	global_load_b64 v[8:9], v[3:4], off
	v_mad_i64_i32 v[3:4], null, s14, v0, 0
	s_lshl_b64 s[4:5], s[6:7], 1
	s_lshl_b64 s[6:7], s[10:11], 1
	s_ashr_i32 s15, s14, 31
	v_lshlrev_b64 v[10:11], 1, v[10:11]
	s_ashr_i32 s1, s0, 31
	s_delay_alu instid0(VALU_DEP_2) | instskip(NEXT) | instid1(VALU_DEP_1)
	v_lshlrev_b64 v[3:4], 1, v[3:4]
	v_add_co_u32 v3, vcc_lo, v3, s4
	s_delay_alu instid0(VALU_DEP_2) | instskip(NEXT) | instid1(VALU_DEP_4)
	v_add_co_ci_u32_e32 v4, vcc_lo, s5, v4, vcc_lo
	v_add_co_u32 v10, vcc_lo, v10, s6
	v_add_co_ci_u32_e32 v11, vcc_lo, s7, v11, vcc_lo
	s_lshl_b64 s[4:5], s[14:15], 7
	s_lshl_b64 s[6:7], s[0:1], 7
	s_mov_b32 s1, 0
	s_waitcnt vmcnt(1)
	v_add_co_u32 v3, vcc_lo, v5, v3
	v_add_co_ci_u32_e32 v4, vcc_lo, v6, v4, vcc_lo
	s_waitcnt vmcnt(0)
	v_add_co_u32 v5, vcc_lo, v8, v10
	v_mov_b32_e32 v8, v0
	v_add_co_ci_u32_e32 v6, vcc_lo, v9, v11, vcc_lo
	.p2align	6
.LBB164_3:                              ; =>This Inner Loop Header: Depth=1
	global_load_u16 v9, v[5:6], off
	global_load_u16 v10, v[3:4], off
	v_add_co_u32 v3, vcc_lo, v3, s4
	v_add_co_ci_u32_e32 v4, vcc_lo, s5, v4, vcc_lo
	v_add_co_u32 v5, vcc_lo, v5, s6
	v_add_co_ci_u32_e32 v6, vcc_lo, s7, v6, vcc_lo
	s_waitcnt vmcnt(1)
	v_lshlrev_b32_e32 v9, 16, v9
	s_waitcnt vmcnt(0)
	v_lshlrev_b32_e32 v10, 16, v10
	s_delay_alu instid0(VALU_DEP_1) | instskip(NEXT) | instid1(VALU_DEP_1)
	v_dual_fmac_f32 v7, v10, v9 :: v_dual_add_nc_u32 v8, 64, v8
	v_cmp_le_i32_e64 s0, s12, v8
	s_delay_alu instid0(VALU_DEP_1) | instskip(NEXT) | instid1(SALU_CYCLE_1)
	s_or_b32 s1, s0, s1
	s_and_not1_b32 exec_lo, exec_lo, s1
	s_cbranch_execnz .LBB164_3
; %bb.4:
	s_or_b32 exec_lo, exec_lo, s1
.LBB164_5:
	s_delay_alu instid0(SALU_CYCLE_1)
	s_or_b32 exec_lo, exec_lo, s13
	v_mbcnt_lo_u32_b32 v3, -1, 0
	s_barrier
	buffer_gl0_inv
	v_lshlrev_b32_e32 v4, 2, v3
	v_cmp_gt_u32_e32 vcc_lo, 16, v3
	ds_bpermute_b32 v4, v4, v7
	v_cndmask_b32_e64 v5, 0, 1, vcc_lo
	v_cmp_gt_u32_e32 vcc_lo, 24, v3
	s_delay_alu instid0(VALU_DEP_2) | instskip(SKIP_2) | instid1(VALU_DEP_2)
	v_lshlrev_b32_e32 v5, 4, v5
	v_cndmask_b32_e64 v6, 0, 1, vcc_lo
	v_cmp_gt_u32_e32 vcc_lo, 28, v3
	v_lshlrev_b32_e32 v6, 3, v6
	s_delay_alu instid0(VALU_DEP_1)
	v_add_lshl_u32 v6, v6, v3, 2
	s_waitcnt lgkmcnt(0)
	v_add_f32_e32 v4, v7, v4
	v_add_lshl_u32 v5, v5, v3, 2
	ds_bpermute_b32 v5, v5, v4
	s_waitcnt lgkmcnt(0)
	v_add_f32_e32 v4, v4, v5
	ds_bpermute_b32 v5, v6, v4
	v_cndmask_b32_e64 v6, 0, 1, vcc_lo
	v_cmp_gt_u32_e32 vcc_lo, 30, v3
	s_delay_alu instid0(VALU_DEP_2) | instskip(NEXT) | instid1(VALU_DEP_1)
	v_lshlrev_b32_e32 v6, 2, v6
	v_add_lshl_u32 v6, v6, v3, 2
	s_waitcnt lgkmcnt(0)
	v_add_f32_e32 v4, v4, v5
	ds_bpermute_b32 v5, v6, v4
	v_cndmask_b32_e64 v6, 0, 1, vcc_lo
	v_cmp_ne_u32_e32 vcc_lo, 31, v3
	s_delay_alu instid0(VALU_DEP_2) | instskip(NEXT) | instid1(VALU_DEP_1)
	v_lshlrev_b32_e32 v6, 1, v6
	v_add_lshl_u32 v6, v6, v3, 2
	s_waitcnt lgkmcnt(0)
	v_add_f32_e32 v4, v4, v5
	ds_bpermute_b32 v5, v6, v4
	v_add_co_ci_u32_e32 v6, vcc_lo, 0, v3, vcc_lo
	v_cmp_eq_u32_e32 vcc_lo, 0, v0
	s_waitcnt lgkmcnt(0)
	s_delay_alu instid0(VALU_DEP_2)
	v_dual_add_f32 v3, v4, v5 :: v_dual_lshlrev_b32 v4, 2, v6
	ds_bpermute_b32 v4, v4, v3
	s_and_b32 exec_lo, exec_lo, vcc_lo
	s_cbranch_execz .LBB164_7
; %bb.6:
	v_lshlrev_b64 v[0:1], 2, v[1:2]
	s_waitcnt lgkmcnt(0)
	v_add_f32_e32 v2, v3, v4
	s_delay_alu instid0(VALU_DEP_2) | instskip(NEXT) | instid1(VALU_DEP_3)
	v_add_co_u32 v0, vcc_lo, s2, v0
	v_add_co_ci_u32_e32 v1, vcc_lo, s3, v1, vcc_lo
	global_store_b32 v[0:1], v2, off
.LBB164_7:
	s_nop 0
	s_sendmsg sendmsg(MSG_DEALLOC_VGPRS)
	s_endpgm
	.section	.rodata,"a",@progbits
	.p2align	6, 0x0
	.amdhsa_kernel _ZL28rocblas_dot_batched_4_kernelIiLi64ELi4ELb0EffPKPK16rocblas_bfloat16EviT5_lT_lS5_lS6_liPT4_
		.amdhsa_group_segment_fixed_size 0
		.amdhsa_private_segment_fixed_size 0
		.amdhsa_kernarg_size 88
		.amdhsa_user_sgpr_count 15
		.amdhsa_user_sgpr_dispatch_ptr 0
		.amdhsa_user_sgpr_queue_ptr 0
		.amdhsa_user_sgpr_kernarg_segment_ptr 1
		.amdhsa_user_sgpr_dispatch_id 0
		.amdhsa_user_sgpr_private_segment_size 0
		.amdhsa_wavefront_size32 1
		.amdhsa_uses_dynamic_stack 0
		.amdhsa_enable_private_segment 0
		.amdhsa_system_sgpr_workgroup_id_x 1
		.amdhsa_system_sgpr_workgroup_id_y 0
		.amdhsa_system_sgpr_workgroup_id_z 0
		.amdhsa_system_sgpr_workgroup_info 0
		.amdhsa_system_vgpr_workitem_id 1
		.amdhsa_next_free_vgpr 12
		.amdhsa_next_free_sgpr 16
		.amdhsa_reserve_vcc 1
		.amdhsa_float_round_mode_32 0
		.amdhsa_float_round_mode_16_64 0
		.amdhsa_float_denorm_mode_32 3
		.amdhsa_float_denorm_mode_16_64 3
		.amdhsa_dx10_clamp 1
		.amdhsa_ieee_mode 1
		.amdhsa_fp16_overflow 0
		.amdhsa_workgroup_processor_mode 1
		.amdhsa_memory_ordered 1
		.amdhsa_forward_progress 0
		.amdhsa_shared_vgpr_count 0
		.amdhsa_exception_fp_ieee_invalid_op 0
		.amdhsa_exception_fp_denorm_src 0
		.amdhsa_exception_fp_ieee_div_zero 0
		.amdhsa_exception_fp_ieee_overflow 0
		.amdhsa_exception_fp_ieee_underflow 0
		.amdhsa_exception_fp_ieee_inexact 0
		.amdhsa_exception_int_div_zero 0
	.end_amdhsa_kernel
	.section	.text._ZL28rocblas_dot_batched_4_kernelIiLi64ELi4ELb0EffPKPK16rocblas_bfloat16EviT5_lT_lS5_lS6_liPT4_,"axG",@progbits,_ZL28rocblas_dot_batched_4_kernelIiLi64ELi4ELb0EffPKPK16rocblas_bfloat16EviT5_lT_lS5_lS6_liPT4_,comdat
.Lfunc_end164:
	.size	_ZL28rocblas_dot_batched_4_kernelIiLi64ELi4ELb0EffPKPK16rocblas_bfloat16EviT5_lT_lS5_lS6_liPT4_, .Lfunc_end164-_ZL28rocblas_dot_batched_4_kernelIiLi64ELi4ELb0EffPKPK16rocblas_bfloat16EviT5_lT_lS5_lS6_liPT4_
                                        ; -- End function
	.section	.AMDGPU.csdata,"",@progbits
; Kernel info:
; codeLenInByte = 736
; NumSgprs: 18
; NumVgprs: 12
; ScratchSize: 0
; MemoryBound: 0
; FloatMode: 240
; IeeeMode: 1
; LDSByteSize: 0 bytes/workgroup (compile time only)
; SGPRBlocks: 2
; VGPRBlocks: 1
; NumSGPRsForWavesPerEU: 18
; NumVGPRsForWavesPerEU: 12
; Occupancy: 16
; WaveLimiterHint : 0
; COMPUTE_PGM_RSRC2:SCRATCH_EN: 0
; COMPUTE_PGM_RSRC2:USER_SGPR: 15
; COMPUTE_PGM_RSRC2:TRAP_HANDLER: 0
; COMPUTE_PGM_RSRC2:TGID_X_EN: 1
; COMPUTE_PGM_RSRC2:TGID_Y_EN: 0
; COMPUTE_PGM_RSRC2:TGID_Z_EN: 0
; COMPUTE_PGM_RSRC2:TIDIG_COMP_CNT: 1
	.section	.text._ZL18rocblas_dot_kernelIiLb1ELi1024ELi32ELb0EfPKPK16rocblas_bfloat16fEviT5_lT_lS5_lS6_liPT6_PT4_,"axG",@progbits,_ZL18rocblas_dot_kernelIiLb1ELi1024ELi32ELb0EfPKPK16rocblas_bfloat16fEviT5_lT_lS5_lS6_liPT6_PT4_,comdat
	.globl	_ZL18rocblas_dot_kernelIiLb1ELi1024ELi32ELb0EfPKPK16rocblas_bfloat16fEviT5_lT_lS5_lS6_liPT6_PT4_ ; -- Begin function _ZL18rocblas_dot_kernelIiLb1ELi1024ELi32ELb0EfPKPK16rocblas_bfloat16fEviT5_lT_lS5_lS6_liPT6_PT4_
	.p2align	8
	.type	_ZL18rocblas_dot_kernelIiLb1ELi1024ELi32ELb0EfPKPK16rocblas_bfloat16fEviT5_lT_lS5_lS6_liPT6_PT4_,@function
_ZL18rocblas_dot_kernelIiLb1ELi1024ELi32ELb0EfPKPK16rocblas_bfloat16fEviT5_lT_lS5_lS6_liPT6_PT4_: ; @_ZL18rocblas_dot_kernelIiLb1ELi1024ELi32ELb0EfPKPK16rocblas_bfloat16fEviT5_lT_lS5_lS6_liPT6_PT4_
; %bb.0:
	s_clause 0x1
	s_load_b32 s10, s[0:1], 0x0
	s_load_b64 s[2:3], s[0:1], 0x58
	v_mov_b32_e32 v5, 0
	s_mov_b32 s8, s15
	s_mov_b32 s9, 0
	s_mov_b32 s11, exec_lo
	s_waitcnt lgkmcnt(0)
	v_cmpx_gt_i32_e64 s10, v0
	s_cbranch_execz .LBB165_4
; %bb.1:
	s_clause 0x4
	s_load_b128 s[12:15], s[0:1], 0x8
	s_load_b128 s[4:7], s[0:1], 0x28
	s_load_b32 s18, s[0:1], 0x18
	s_load_b32 s20, s[0:1], 0x38
	;; [unrolled: 1-line block ×3, first 2 shown]
	s_lshl_b64 s[0:1], s[8:9], 3
	v_mov_b32_e32 v5, 0
	s_waitcnt lgkmcnt(0)
	s_add_u32 s12, s12, s0
	s_addc_u32 s13, s13, s1
	s_add_u32 s0, s4, s0
	s_load_b64 s[12:13], s[12:13], 0x0
	s_addc_u32 s1, s5, s1
	v_mad_i64_i32 v[1:2], null, s18, v0, 0
	s_load_b64 s[16:17], s[0:1], 0x0
	v_mad_i64_i32 v[3:4], null, s20, v0, 0
	s_lshl_b32 s1, s19, 10
	s_lshl_b64 s[4:5], s[14:15], 1
	s_mul_hi_i32 s15, s18, s1
	s_delay_alu instid0(VALU_DEP_2) | instskip(SKIP_2) | instid1(VALU_DEP_3)
	v_lshlrev_b64 v[1:2], 1, v[1:2]
	s_mul_i32 s14, s18, s1
	v_or_b32_e32 v6, s1, v0
	v_lshlrev_b64 v[3:4], 1, v[3:4]
	s_mul_hi_i32 s19, s20, s1
	s_mul_i32 s18, s20, s1
	s_waitcnt lgkmcnt(0)
	s_add_u32 s0, s12, s4
	s_addc_u32 s12, s13, s5
	s_lshl_b64 s[6:7], s[6:7], 1
	s_lshl_b64 s[4:5], s[14:15], 1
	v_add_co_u32 v1, vcc_lo, s0, v1
	s_add_u32 s0, s16, s6
	v_add_co_ci_u32_e32 v2, vcc_lo, s12, v2, vcc_lo
	s_addc_u32 s6, s17, s7
	v_add_co_u32 v3, vcc_lo, s0, v3
	v_add_co_ci_u32_e32 v4, vcc_lo, s6, v4, vcc_lo
	s_lshl_b64 s[6:7], s[18:19], 1
	s_mov_b32 s12, s9
	s_mov_b32 s13, s9
	.p2align	6
.LBB165_2:                              ; =>This Inner Loop Header: Depth=1
	global_load_u16 v7, v[1:2], off
	global_load_u16 v8, v[3:4], off
	v_add_co_u32 v1, s0, v1, s4
	s_delay_alu instid0(VALU_DEP_1)
	v_add_co_ci_u32_e64 v2, s0, s5, v2, s0
	s_add_i32 s14, s13, 1
	v_cmp_le_i32_e32 vcc_lo, s10, v6
	v_add_co_u32 v3, s0, v3, s6
	s_cmp_gt_u32 s13, 30
	v_add_co_ci_u32_e64 v4, s0, s7, v4, s0
	s_cselect_b32 s0, -1, 0
	s_mov_b32 s13, s14
	s_or_b32 s0, s0, vcc_lo
	s_delay_alu instid0(SALU_CYCLE_1) | instskip(NEXT) | instid1(SALU_CYCLE_1)
	s_and_b32 s0, exec_lo, s0
	s_or_b32 s12, s0, s12
	s_waitcnt vmcnt(1)
	v_lshlrev_b32_e32 v7, 16, v7
	s_waitcnt vmcnt(0)
	v_lshlrev_b32_e32 v8, 16, v8
	s_delay_alu instid0(VALU_DEP_1)
	v_dual_fmac_f32 v5, v8, v7 :: v_dual_add_nc_u32 v6, s1, v6
	s_and_not1_b32 exec_lo, exec_lo, s12
	s_cbranch_execnz .LBB165_2
; %bb.3:
	s_or_b32 exec_lo, exec_lo, s12
.LBB165_4:
	s_delay_alu instid0(SALU_CYCLE_1) | instskip(SKIP_2) | instid1(VALU_DEP_2)
	s_or_b32 exec_lo, exec_lo, s11
	v_and_b32_e32 v7, 31, v0
	v_cmp_gt_u32_e32 vcc_lo, 32, v0
	v_lshlrev_b32_e32 v1, 2, v7
	s_and_saveexec_b32 s0, vcc_lo
	s_cbranch_execz .LBB165_6
; %bb.5:
	v_mov_b32_e32 v2, 0
	ds_store_b32 v1, v2
.LBB165_6:
	s_or_b32 exec_lo, exec_lo, s0
	v_mbcnt_lo_u32_b32 v6, -1, 0
	s_mov_b32 s1, exec_lo
	s_waitcnt lgkmcnt(0)
	s_barrier
	buffer_gl0_inv
	v_cmp_gt_u32_e64 s0, 16, v6
	s_delay_alu instid0(VALU_DEP_1) | instskip(SKIP_1) | instid1(VALU_DEP_2)
	v_cndmask_b32_e64 v2, 0, 1, s0
	v_cmp_gt_u32_e64 s0, 24, v6
	v_lshlrev_b32_e32 v2, 4, v2
	s_delay_alu instid0(VALU_DEP_2) | instskip(SKIP_1) | instid1(VALU_DEP_3)
	v_cndmask_b32_e64 v3, 0, 1, s0
	v_cmp_gt_u32_e64 s0, 28, v6
	v_add_lshl_u32 v2, v2, v6, 2
	ds_bpermute_b32 v4, v2, v5
	s_waitcnt lgkmcnt(0)
	v_add_f32_e32 v5, v5, v4
	v_lshlrev_b32_e32 v3, 3, v3
	v_cndmask_b32_e64 v4, 0, 1, s0
	v_cmp_gt_u32_e64 s0, 30, v6
	s_delay_alu instid0(VALU_DEP_3) | instskip(NEXT) | instid1(VALU_DEP_3)
	v_add_lshl_u32 v3, v3, v6, 2
	v_lshlrev_b32_e32 v4, 2, v4
	ds_bpermute_b32 v8, v3, v5
	v_add_lshl_u32 v4, v4, v6, 2
	s_waitcnt lgkmcnt(0)
	v_add_f32_e32 v8, v5, v8
	v_cndmask_b32_e64 v5, 0, 1, s0
	v_cmp_ne_u32_e64 s0, 31, v6
	ds_bpermute_b32 v9, v4, v8
	v_lshlrev_b32_e32 v5, 1, v5
	s_delay_alu instid0(VALU_DEP_1) | instskip(SKIP_1) | instid1(VALU_DEP_1)
	v_add_lshl_u32 v5, v5, v6, 2
	v_add_co_ci_u32_e64 v6, s0, 0, v6, s0
	v_lshlrev_b32_e32 v6, 2, v6
	s_waitcnt lgkmcnt(0)
	v_add_f32_e32 v8, v8, v9
	ds_bpermute_b32 v9, v5, v8
	s_waitcnt lgkmcnt(0)
	v_add_f32_e32 v8, v8, v9
	ds_bpermute_b32 v9, v6, v8
	v_cmpx_eq_u32_e32 0, v7
	s_cbranch_execz .LBB165_8
; %bb.7:
	v_lshrrev_b32_e32 v7, 3, v0
	s_waitcnt lgkmcnt(0)
	s_delay_alu instid0(VALU_DEP_1)
	v_dual_add_f32 v8, v8, v9 :: v_dual_and_b32 v7, 0x7c, v7
	ds_store_b32 v7, v8
.LBB165_8:
	s_or_b32 exec_lo, exec_lo, s1
	v_mov_b32_e32 v7, 0
	s_waitcnt lgkmcnt(0)
	s_barrier
	buffer_gl0_inv
	s_and_saveexec_b32 s0, vcc_lo
	s_cbranch_execz .LBB165_10
; %bb.9:
	ds_load_b32 v7, v1
.LBB165_10:
	s_or_b32 exec_lo, exec_lo, s0
	s_and_saveexec_b32 s0, vcc_lo
	s_cbranch_execz .LBB165_12
; %bb.11:
	s_waitcnt lgkmcnt(0)
	ds_bpermute_b32 v1, v2, v7
	s_waitcnt lgkmcnt(0)
	v_add_f32_e32 v1, v7, v1
	ds_bpermute_b32 v2, v3, v1
	s_waitcnt lgkmcnt(0)
	v_add_f32_e32 v1, v1, v2
	;; [unrolled: 3-line block ×5, first 2 shown]
.LBB165_12:
	s_or_b32 exec_lo, exec_lo, s0
	s_delay_alu instid0(SALU_CYCLE_1)
	s_mov_b32 s0, exec_lo
	v_cmpx_eq_u32_e32 0, v0
	s_cbranch_execz .LBB165_14
; %bb.13:
	s_lshl_b64 s[0:1], s[8:9], 2
	v_mov_b32_e32 v0, 0
	s_add_u32 s0, s2, s0
	s_addc_u32 s1, s3, s1
	s_waitcnt lgkmcnt(0)
	global_store_b32 v0, v7, s[0:1]
.LBB165_14:
	s_nop 0
	s_sendmsg sendmsg(MSG_DEALLOC_VGPRS)
	s_endpgm
	.section	.rodata,"a",@progbits
	.p2align	6, 0x0
	.amdhsa_kernel _ZL18rocblas_dot_kernelIiLb1ELi1024ELi32ELb0EfPKPK16rocblas_bfloat16fEviT5_lT_lS5_lS6_liPT6_PT4_
		.amdhsa_group_segment_fixed_size 128
		.amdhsa_private_segment_fixed_size 0
		.amdhsa_kernarg_size 352
		.amdhsa_user_sgpr_count 14
		.amdhsa_user_sgpr_dispatch_ptr 0
		.amdhsa_user_sgpr_queue_ptr 0
		.amdhsa_user_sgpr_kernarg_segment_ptr 1
		.amdhsa_user_sgpr_dispatch_id 0
		.amdhsa_user_sgpr_private_segment_size 0
		.amdhsa_wavefront_size32 1
		.amdhsa_uses_dynamic_stack 0
		.amdhsa_enable_private_segment 0
		.amdhsa_system_sgpr_workgroup_id_x 1
		.amdhsa_system_sgpr_workgroup_id_y 0
		.amdhsa_system_sgpr_workgroup_id_z 1
		.amdhsa_system_sgpr_workgroup_info 0
		.amdhsa_system_vgpr_workitem_id 0
		.amdhsa_next_free_vgpr 10
		.amdhsa_next_free_sgpr 21
		.amdhsa_reserve_vcc 1
		.amdhsa_float_round_mode_32 0
		.amdhsa_float_round_mode_16_64 0
		.amdhsa_float_denorm_mode_32 3
		.amdhsa_float_denorm_mode_16_64 3
		.amdhsa_dx10_clamp 1
		.amdhsa_ieee_mode 1
		.amdhsa_fp16_overflow 0
		.amdhsa_workgroup_processor_mode 1
		.amdhsa_memory_ordered 1
		.amdhsa_forward_progress 0
		.amdhsa_shared_vgpr_count 0
		.amdhsa_exception_fp_ieee_invalid_op 0
		.amdhsa_exception_fp_denorm_src 0
		.amdhsa_exception_fp_ieee_div_zero 0
		.amdhsa_exception_fp_ieee_overflow 0
		.amdhsa_exception_fp_ieee_underflow 0
		.amdhsa_exception_fp_ieee_inexact 0
		.amdhsa_exception_int_div_zero 0
	.end_amdhsa_kernel
	.section	.text._ZL18rocblas_dot_kernelIiLb1ELi1024ELi32ELb0EfPKPK16rocblas_bfloat16fEviT5_lT_lS5_lS6_liPT6_PT4_,"axG",@progbits,_ZL18rocblas_dot_kernelIiLb1ELi1024ELi32ELb0EfPKPK16rocblas_bfloat16fEviT5_lT_lS5_lS6_liPT6_PT4_,comdat
.Lfunc_end165:
	.size	_ZL18rocblas_dot_kernelIiLb1ELi1024ELi32ELb0EfPKPK16rocblas_bfloat16fEviT5_lT_lS5_lS6_liPT6_PT4_, .Lfunc_end165-_ZL18rocblas_dot_kernelIiLb1ELi1024ELi32ELb0EfPKPK16rocblas_bfloat16fEviT5_lT_lS5_lS6_liPT6_PT4_
                                        ; -- End function
	.section	.AMDGPU.csdata,"",@progbits
; Kernel info:
; codeLenInByte = 924
; NumSgprs: 23
; NumVgprs: 10
; ScratchSize: 0
; MemoryBound: 0
; FloatMode: 240
; IeeeMode: 1
; LDSByteSize: 128 bytes/workgroup (compile time only)
; SGPRBlocks: 2
; VGPRBlocks: 1
; NumSGPRsForWavesPerEU: 23
; NumVGPRsForWavesPerEU: 10
; Occupancy: 16
; WaveLimiterHint : 0
; COMPUTE_PGM_RSRC2:SCRATCH_EN: 0
; COMPUTE_PGM_RSRC2:USER_SGPR: 14
; COMPUTE_PGM_RSRC2:TRAP_HANDLER: 0
; COMPUTE_PGM_RSRC2:TGID_X_EN: 1
; COMPUTE_PGM_RSRC2:TGID_Y_EN: 0
; COMPUTE_PGM_RSRC2:TGID_Z_EN: 1
; COMPUTE_PGM_RSRC2:TIDIG_COMP_CNT: 0
	.section	.text._ZL24rocblas_dot_kernel_magsqIiLb1ELi1024ELi32ELb0EfPKPK16rocblas_bfloat16fEviT5_lT_liPT6_PT4_,"axG",@progbits,_ZL24rocblas_dot_kernel_magsqIiLb1ELi1024ELi32ELb0EfPKPK16rocblas_bfloat16fEviT5_lT_liPT6_PT4_,comdat
	.globl	_ZL24rocblas_dot_kernel_magsqIiLb1ELi1024ELi32ELb0EfPKPK16rocblas_bfloat16fEviT5_lT_liPT6_PT4_ ; -- Begin function _ZL24rocblas_dot_kernel_magsqIiLb1ELi1024ELi32ELb0EfPKPK16rocblas_bfloat16fEviT5_lT_liPT6_PT4_
	.p2align	8
	.type	_ZL24rocblas_dot_kernel_magsqIiLb1ELi1024ELi32ELb0EfPKPK16rocblas_bfloat16fEviT5_lT_liPT6_PT4_,@function
_ZL24rocblas_dot_kernel_magsqIiLb1ELi1024ELi32ELb0EfPKPK16rocblas_bfloat16fEviT5_lT_liPT6_PT4_: ; @_ZL24rocblas_dot_kernel_magsqIiLb1ELi1024ELi32ELb0EfPKPK16rocblas_bfloat16fEviT5_lT_liPT6_PT4_
; %bb.0:
	s_clause 0x1
	s_load_b32 s8, s[0:1], 0x0
	s_load_b64 s[2:3], s[0:1], 0x38
	v_mov_b32_e32 v3, 0
	s_mov_b32 s4, s15
	s_mov_b32 s5, 0
	s_mov_b32 s9, exec_lo
	s_waitcnt lgkmcnt(0)
	v_cmpx_gt_i32_e64 s8, v0
	s_cbranch_execz .LBB166_4
; %bb.1:
	s_clause 0x2
	s_load_b128 s[12:15], s[0:1], 0x8
	s_load_b32 s16, s[0:1], 0x18
	s_load_b32 s10, s[0:1], 0x40
	s_lshl_b64 s[0:1], s[4:5], 3
	v_mov_b32_e32 v3, 0
	s_waitcnt lgkmcnt(0)
	s_add_u32 s0, s12, s0
	s_addc_u32 s1, s13, s1
	v_mad_i64_i32 v[1:2], null, s16, v0, 0
	s_load_b64 s[6:7], s[0:1], 0x0
	s_lshl_b32 s1, s10, 10
	s_lshl_b64 s[10:11], s[14:15], 1
	v_or_b32_e32 v4, s1, v0
	s_mul_hi_i32 s13, s16, s1
	s_mul_i32 s12, s16, s1
	s_delay_alu instid0(VALU_DEP_2) | instskip(SKIP_3) | instid1(VALU_DEP_1)
	v_lshlrev_b64 v[1:2], 1, v[1:2]
	s_waitcnt lgkmcnt(0)
	s_add_u32 s0, s6, s10
	s_addc_u32 s6, s7, s11
	v_add_co_u32 v1, vcc_lo, s0, v1
	s_delay_alu instid0(VALU_DEP_2)
	v_add_co_ci_u32_e32 v2, vcc_lo, s6, v2, vcc_lo
	s_lshl_b64 s[6:7], s[12:13], 1
	s_mov_b32 s10, s5
	s_mov_b32 s11, s5
	.p2align	6
.LBB166_2:                              ; =>This Inner Loop Header: Depth=1
	global_load_u16 v5, v[1:2], off
	s_add_i32 s12, s11, 1
	v_cmp_le_i32_e32 vcc_lo, s8, v4
	v_add_co_u32 v1, s0, v1, s6
	s_cmp_gt_u32 s11, 30
	v_add_co_ci_u32_e64 v2, s0, s7, v2, s0
	s_cselect_b32 s0, -1, 0
	s_mov_b32 s11, s12
	s_or_b32 s0, s0, vcc_lo
	s_delay_alu instid0(SALU_CYCLE_1) | instskip(NEXT) | instid1(SALU_CYCLE_1)
	s_and_b32 s0, exec_lo, s0
	s_or_b32 s10, s0, s10
	s_waitcnt vmcnt(0)
	v_lshlrev_b32_e32 v5, 16, v5
	s_delay_alu instid0(VALU_DEP_1)
	v_dual_fmac_f32 v3, v5, v5 :: v_dual_add_nc_u32 v4, s1, v4
	s_and_not1_b32 exec_lo, exec_lo, s10
	s_cbranch_execnz .LBB166_2
; %bb.3:
	s_or_b32 exec_lo, exec_lo, s10
.LBB166_4:
	s_delay_alu instid0(SALU_CYCLE_1) | instskip(SKIP_2) | instid1(VALU_DEP_2)
	s_or_b32 exec_lo, exec_lo, s9
	v_and_b32_e32 v7, 31, v0
	v_cmp_gt_u32_e32 vcc_lo, 32, v0
	v_lshlrev_b32_e32 v1, 2, v7
	s_and_saveexec_b32 s0, vcc_lo
	s_cbranch_execz .LBB166_6
; %bb.5:
	v_mov_b32_e32 v2, 0
	ds_store_b32 v1, v2
.LBB166_6:
	s_or_b32 exec_lo, exec_lo, s0
	v_mbcnt_lo_u32_b32 v6, -1, 0
	s_mov_b32 s1, exec_lo
	s_waitcnt lgkmcnt(0)
	s_barrier
	buffer_gl0_inv
	v_cmp_gt_u32_e64 s0, 16, v6
	s_delay_alu instid0(VALU_DEP_1) | instskip(SKIP_1) | instid1(VALU_DEP_2)
	v_cndmask_b32_e64 v2, 0, 1, s0
	v_cmp_gt_u32_e64 s0, 24, v6
	v_lshlrev_b32_e32 v2, 4, v2
	s_delay_alu instid0(VALU_DEP_2) | instskip(SKIP_1) | instid1(VALU_DEP_3)
	v_cndmask_b32_e64 v4, 0, 1, s0
	v_cmp_gt_u32_e64 s0, 28, v6
	v_add_lshl_u32 v2, v2, v6, 2
	s_delay_alu instid0(VALU_DEP_3)
	v_lshlrev_b32_e32 v4, 3, v4
	ds_bpermute_b32 v5, v2, v3
	v_add_lshl_u32 v4, v4, v6, 2
	s_waitcnt lgkmcnt(0)
	v_add_f32_e32 v5, v3, v5
	v_cndmask_b32_e64 v3, 0, 1, s0
	v_cmp_gt_u32_e64 s0, 30, v6
	ds_bpermute_b32 v8, v4, v5
	s_waitcnt lgkmcnt(0)
	v_dual_add_f32 v8, v5, v8 :: v_dual_lshlrev_b32 v3, 2, v3
	s_delay_alu instid0(VALU_DEP_1) | instskip(SKIP_4) | instid1(VALU_DEP_1)
	v_add_lshl_u32 v3, v3, v6, 2
	v_cndmask_b32_e64 v5, 0, 1, s0
	v_cmp_ne_u32_e64 s0, 31, v6
	ds_bpermute_b32 v9, v3, v8
	v_lshlrev_b32_e32 v5, 1, v5
	v_add_lshl_u32 v5, v5, v6, 2
	v_add_co_ci_u32_e64 v6, s0, 0, v6, s0
	s_delay_alu instid0(VALU_DEP_1)
	v_lshlrev_b32_e32 v6, 2, v6
	s_waitcnt lgkmcnt(0)
	v_add_f32_e32 v8, v8, v9
	ds_bpermute_b32 v9, v5, v8
	s_waitcnt lgkmcnt(0)
	v_add_f32_e32 v8, v8, v9
	ds_bpermute_b32 v9, v6, v8
	v_cmpx_eq_u32_e32 0, v7
	s_cbranch_execz .LBB166_8
; %bb.7:
	v_lshrrev_b32_e32 v7, 3, v0
	s_waitcnt lgkmcnt(0)
	s_delay_alu instid0(VALU_DEP_1)
	v_dual_add_f32 v8, v8, v9 :: v_dual_and_b32 v7, 0x7c, v7
	ds_store_b32 v7, v8
.LBB166_8:
	s_or_b32 exec_lo, exec_lo, s1
	v_mov_b32_e32 v7, 0
	s_waitcnt lgkmcnt(0)
	s_barrier
	buffer_gl0_inv
	s_and_saveexec_b32 s0, vcc_lo
	s_cbranch_execz .LBB166_10
; %bb.9:
	ds_load_b32 v7, v1
.LBB166_10:
	s_or_b32 exec_lo, exec_lo, s0
	s_and_saveexec_b32 s0, vcc_lo
	s_cbranch_execz .LBB166_12
; %bb.11:
	s_waitcnt lgkmcnt(0)
	ds_bpermute_b32 v1, v2, v7
	s_waitcnt lgkmcnt(0)
	v_add_f32_e32 v1, v7, v1
	ds_bpermute_b32 v2, v4, v1
	s_waitcnt lgkmcnt(0)
	v_add_f32_e32 v1, v1, v2
	;; [unrolled: 3-line block ×5, first 2 shown]
.LBB166_12:
	s_or_b32 exec_lo, exec_lo, s0
	s_delay_alu instid0(SALU_CYCLE_1)
	s_mov_b32 s0, exec_lo
	v_cmpx_eq_u32_e32 0, v0
	s_cbranch_execz .LBB166_14
; %bb.13:
	s_lshl_b64 s[0:1], s[4:5], 2
	v_mov_b32_e32 v0, 0
	s_add_u32 s0, s2, s0
	s_addc_u32 s1, s3, s1
	s_waitcnt lgkmcnt(0)
	global_store_b32 v0, v7, s[0:1]
.LBB166_14:
	s_nop 0
	s_sendmsg sendmsg(MSG_DEALLOC_VGPRS)
	s_endpgm
	.section	.rodata,"a",@progbits
	.p2align	6, 0x0
	.amdhsa_kernel _ZL24rocblas_dot_kernel_magsqIiLb1ELi1024ELi32ELb0EfPKPK16rocblas_bfloat16fEviT5_lT_liPT6_PT4_
		.amdhsa_group_segment_fixed_size 128
		.amdhsa_private_segment_fixed_size 0
		.amdhsa_kernarg_size 320
		.amdhsa_user_sgpr_count 14
		.amdhsa_user_sgpr_dispatch_ptr 0
		.amdhsa_user_sgpr_queue_ptr 0
		.amdhsa_user_sgpr_kernarg_segment_ptr 1
		.amdhsa_user_sgpr_dispatch_id 0
		.amdhsa_user_sgpr_private_segment_size 0
		.amdhsa_wavefront_size32 1
		.amdhsa_uses_dynamic_stack 0
		.amdhsa_enable_private_segment 0
		.amdhsa_system_sgpr_workgroup_id_x 1
		.amdhsa_system_sgpr_workgroup_id_y 0
		.amdhsa_system_sgpr_workgroup_id_z 1
		.amdhsa_system_sgpr_workgroup_info 0
		.amdhsa_system_vgpr_workitem_id 0
		.amdhsa_next_free_vgpr 10
		.amdhsa_next_free_sgpr 17
		.amdhsa_reserve_vcc 1
		.amdhsa_float_round_mode_32 0
		.amdhsa_float_round_mode_16_64 0
		.amdhsa_float_denorm_mode_32 3
		.amdhsa_float_denorm_mode_16_64 3
		.amdhsa_dx10_clamp 1
		.amdhsa_ieee_mode 1
		.amdhsa_fp16_overflow 0
		.amdhsa_workgroup_processor_mode 1
		.amdhsa_memory_ordered 1
		.amdhsa_forward_progress 0
		.amdhsa_shared_vgpr_count 0
		.amdhsa_exception_fp_ieee_invalid_op 0
		.amdhsa_exception_fp_denorm_src 0
		.amdhsa_exception_fp_ieee_div_zero 0
		.amdhsa_exception_fp_ieee_overflow 0
		.amdhsa_exception_fp_ieee_underflow 0
		.amdhsa_exception_fp_ieee_inexact 0
		.amdhsa_exception_int_div_zero 0
	.end_amdhsa_kernel
	.section	.text._ZL24rocblas_dot_kernel_magsqIiLb1ELi1024ELi32ELb0EfPKPK16rocblas_bfloat16fEviT5_lT_liPT6_PT4_,"axG",@progbits,_ZL24rocblas_dot_kernel_magsqIiLb1ELi1024ELi32ELb0EfPKPK16rocblas_bfloat16fEviT5_lT_liPT6_PT4_,comdat
.Lfunc_end166:
	.size	_ZL24rocblas_dot_kernel_magsqIiLb1ELi1024ELi32ELb0EfPKPK16rocblas_bfloat16fEviT5_lT_liPT6_PT4_, .Lfunc_end166-_ZL24rocblas_dot_kernel_magsqIiLb1ELi1024ELi32ELb0EfPKPK16rocblas_bfloat16fEviT5_lT_liPT6_PT4_
                                        ; -- End function
	.section	.AMDGPU.csdata,"",@progbits
; Kernel info:
; codeLenInByte = 812
; NumSgprs: 19
; NumVgprs: 10
; ScratchSize: 0
; MemoryBound: 0
; FloatMode: 240
; IeeeMode: 1
; LDSByteSize: 128 bytes/workgroup (compile time only)
; SGPRBlocks: 2
; VGPRBlocks: 1
; NumSGPRsForWavesPerEU: 19
; NumVGPRsForWavesPerEU: 10
; Occupancy: 16
; WaveLimiterHint : 0
; COMPUTE_PGM_RSRC2:SCRATCH_EN: 0
; COMPUTE_PGM_RSRC2:USER_SGPR: 14
; COMPUTE_PGM_RSRC2:TRAP_HANDLER: 0
; COMPUTE_PGM_RSRC2:TGID_X_EN: 1
; COMPUTE_PGM_RSRC2:TGID_Y_EN: 0
; COMPUTE_PGM_RSRC2:TGID_Z_EN: 1
; COMPUTE_PGM_RSRC2:TIDIG_COMP_CNT: 0
	.section	.text._ZL38rocblas_dot_kernel_gfx942_float_doubleIiLi1024EfPKPK16rocblas_bfloat16fEviT2_lT_lS5_lS6_lPT3_PT1_,"axG",@progbits,_ZL38rocblas_dot_kernel_gfx942_float_doubleIiLi1024EfPKPK16rocblas_bfloat16fEviT2_lT_lS5_lS6_lPT3_PT1_,comdat
	.globl	_ZL38rocblas_dot_kernel_gfx942_float_doubleIiLi1024EfPKPK16rocblas_bfloat16fEviT2_lT_lS5_lS6_lPT3_PT1_ ; -- Begin function _ZL38rocblas_dot_kernel_gfx942_float_doubleIiLi1024EfPKPK16rocblas_bfloat16fEviT2_lT_lS5_lS6_lPT3_PT1_
	.p2align	8
	.type	_ZL38rocblas_dot_kernel_gfx942_float_doubleIiLi1024EfPKPK16rocblas_bfloat16fEviT2_lT_lS5_lS6_lPT3_PT1_,@function
_ZL38rocblas_dot_kernel_gfx942_float_doubleIiLi1024EfPKPK16rocblas_bfloat16fEviT2_lT_lS5_lS6_lPT3_PT1_: ; @_ZL38rocblas_dot_kernel_gfx942_float_doubleIiLi1024EfPKPK16rocblas_bfloat16fEviT2_lT_lS5_lS6_lPT3_PT1_
; %bb.0:
	s_endpgm
	.section	.rodata,"a",@progbits
	.p2align	6, 0x0
	.amdhsa_kernel _ZL38rocblas_dot_kernel_gfx942_float_doubleIiLi1024EfPKPK16rocblas_bfloat16fEviT2_lT_lS5_lS6_lPT3_PT1_
		.amdhsa_group_segment_fixed_size 0
		.amdhsa_private_segment_fixed_size 0
		.amdhsa_kernarg_size 88
		.amdhsa_user_sgpr_count 15
		.amdhsa_user_sgpr_dispatch_ptr 0
		.amdhsa_user_sgpr_queue_ptr 0
		.amdhsa_user_sgpr_kernarg_segment_ptr 1
		.amdhsa_user_sgpr_dispatch_id 0
		.amdhsa_user_sgpr_private_segment_size 0
		.amdhsa_wavefront_size32 1
		.amdhsa_uses_dynamic_stack 0
		.amdhsa_enable_private_segment 0
		.amdhsa_system_sgpr_workgroup_id_x 1
		.amdhsa_system_sgpr_workgroup_id_y 0
		.amdhsa_system_sgpr_workgroup_id_z 0
		.amdhsa_system_sgpr_workgroup_info 0
		.amdhsa_system_vgpr_workitem_id 0
		.amdhsa_next_free_vgpr 1
		.amdhsa_next_free_sgpr 1
		.amdhsa_reserve_vcc 0
		.amdhsa_float_round_mode_32 0
		.amdhsa_float_round_mode_16_64 0
		.amdhsa_float_denorm_mode_32 3
		.amdhsa_float_denorm_mode_16_64 3
		.amdhsa_dx10_clamp 1
		.amdhsa_ieee_mode 1
		.amdhsa_fp16_overflow 0
		.amdhsa_workgroup_processor_mode 1
		.amdhsa_memory_ordered 1
		.amdhsa_forward_progress 0
		.amdhsa_shared_vgpr_count 0
		.amdhsa_exception_fp_ieee_invalid_op 0
		.amdhsa_exception_fp_denorm_src 0
		.amdhsa_exception_fp_ieee_div_zero 0
		.amdhsa_exception_fp_ieee_overflow 0
		.amdhsa_exception_fp_ieee_underflow 0
		.amdhsa_exception_fp_ieee_inexact 0
		.amdhsa_exception_int_div_zero 0
	.end_amdhsa_kernel
	.section	.text._ZL38rocblas_dot_kernel_gfx942_float_doubleIiLi1024EfPKPK16rocblas_bfloat16fEviT2_lT_lS5_lS6_lPT3_PT1_,"axG",@progbits,_ZL38rocblas_dot_kernel_gfx942_float_doubleIiLi1024EfPKPK16rocblas_bfloat16fEviT2_lT_lS5_lS6_lPT3_PT1_,comdat
.Lfunc_end167:
	.size	_ZL38rocblas_dot_kernel_gfx942_float_doubleIiLi1024EfPKPK16rocblas_bfloat16fEviT2_lT_lS5_lS6_lPT3_PT1_, .Lfunc_end167-_ZL38rocblas_dot_kernel_gfx942_float_doubleIiLi1024EfPKPK16rocblas_bfloat16fEviT2_lT_lS5_lS6_lPT3_PT1_
                                        ; -- End function
	.section	.AMDGPU.csdata,"",@progbits
; Kernel info:
; codeLenInByte = 4
; NumSgprs: 0
; NumVgprs: 0
; ScratchSize: 0
; MemoryBound: 0
; FloatMode: 240
; IeeeMode: 1
; LDSByteSize: 0 bytes/workgroup (compile time only)
; SGPRBlocks: 0
; VGPRBlocks: 0
; NumSGPRsForWavesPerEU: 1
; NumVGPRsForWavesPerEU: 1
; Occupancy: 16
; WaveLimiterHint : 0
; COMPUTE_PGM_RSRC2:SCRATCH_EN: 0
; COMPUTE_PGM_RSRC2:USER_SGPR: 15
; COMPUTE_PGM_RSRC2:TRAP_HANDLER: 0
; COMPUTE_PGM_RSRC2:TGID_X_EN: 1
; COMPUTE_PGM_RSRC2:TGID_Y_EN: 0
; COMPUTE_PGM_RSRC2:TGID_Z_EN: 0
; COMPUTE_PGM_RSRC2:TIDIG_COMP_CNT: 0
	.section	.text._ZL18rocblas_dot_kernelIiLb0ELi512ELi4ELb0EfPKPK16rocblas_bfloat16fEviT5_lT_lS5_lS6_liPT6_PT4_,"axG",@progbits,_ZL18rocblas_dot_kernelIiLb0ELi512ELi4ELb0EfPKPK16rocblas_bfloat16fEviT5_lT_lS5_lS6_liPT6_PT4_,comdat
	.globl	_ZL18rocblas_dot_kernelIiLb0ELi512ELi4ELb0EfPKPK16rocblas_bfloat16fEviT5_lT_lS5_lS6_liPT6_PT4_ ; -- Begin function _ZL18rocblas_dot_kernelIiLb0ELi512ELi4ELb0EfPKPK16rocblas_bfloat16fEviT5_lT_lS5_lS6_liPT6_PT4_
	.p2align	8
	.type	_ZL18rocblas_dot_kernelIiLb0ELi512ELi4ELb0EfPKPK16rocblas_bfloat16fEviT5_lT_lS5_lS6_liPT6_PT4_,@function
_ZL18rocblas_dot_kernelIiLb0ELi512ELi4ELb0EfPKPK16rocblas_bfloat16fEviT5_lT_lS5_lS6_liPT6_PT4_: ; @_ZL18rocblas_dot_kernelIiLb0ELi512ELi4ELb0EfPKPK16rocblas_bfloat16fEviT5_lT_lS5_lS6_liPT6_PT4_
; %bb.0:
	s_clause 0x2
	s_load_b32 s12, s[0:1], 0x60
	s_load_b32 s13, s[0:1], 0x0
	s_load_b128 s[4:7], s[0:1], 0x50
	v_lshl_or_b32 v1, s14, 9, v0
	v_mov_b32_e32 v5, 0
	s_mov_b32 s2, s15
	s_mov_b32 s3, 0
	s_mov_b32 s15, exec_lo
	s_waitcnt lgkmcnt(0)
	v_cmpx_gt_i32_e64 s13, v1
	s_cbranch_execz .LBB168_4
; %bb.1:
	s_clause 0x3
	s_load_b128 s[16:19], s[0:1], 0x8
	s_load_b128 s[8:11], s[0:1], 0x28
	s_load_b32 s22, s[0:1], 0x18
	s_load_b32 s24, s[0:1], 0x38
	s_lshl_b64 s[0:1], s[2:3], 3
	s_waitcnt lgkmcnt(0)
	s_add_u32 s16, s16, s0
	s_addc_u32 s17, s17, s1
	s_add_u32 s0, s8, s0
	s_load_b64 s[16:17], s[16:17], 0x0
	s_addc_u32 s1, s9, s1
	v_mad_i64_i32 v[2:3], null, s22, v1, 0
	s_load_b64 s[20:21], s[0:1], 0x0
	v_mad_i64_i32 v[4:5], null, s24, v1, 0
	s_lshl_b32 s1, s12, 9
	s_lshl_b64 s[8:9], s[18:19], 1
	v_add_nc_u32_e32 v6, s1, v1
	s_delay_alu instid0(VALU_DEP_3) | instskip(SKIP_2) | instid1(VALU_DEP_3)
	v_lshlrev_b64 v[1:2], 1, v[2:3]
	s_mul_hi_i32 s19, s22, s1
	s_mul_i32 s18, s22, s1
	v_lshlrev_b64 v[3:4], 1, v[4:5]
	v_mov_b32_e32 v5, 0
	s_mul_hi_i32 s23, s24, s1
	s_mul_i32 s22, s24, s1
	s_waitcnt lgkmcnt(0)
	s_add_u32 s0, s16, s8
	s_addc_u32 s16, s17, s9
	s_lshl_b64 s[10:11], s[10:11], 1
	s_lshl_b64 s[8:9], s[18:19], 1
	v_add_co_u32 v1, vcc_lo, s0, v1
	s_add_u32 s0, s20, s10
	v_add_co_ci_u32_e32 v2, vcc_lo, s16, v2, vcc_lo
	s_addc_u32 s10, s21, s11
	v_add_co_u32 v3, vcc_lo, s0, v3
	v_add_co_ci_u32_e32 v4, vcc_lo, s10, v4, vcc_lo
	s_lshl_b64 s[10:11], s[22:23], 1
	s_mov_b32 s16, s3
	s_mov_b32 s17, s3
	.p2align	6
.LBB168_2:                              ; =>This Inner Loop Header: Depth=1
	global_load_u16 v7, v[1:2], off
	global_load_u16 v8, v[3:4], off
	v_add_co_u32 v1, s0, v1, s8
	s_delay_alu instid0(VALU_DEP_1)
	v_add_co_ci_u32_e64 v2, s0, s9, v2, s0
	s_add_i32 s18, s17, 1
	v_cmp_le_i32_e32 vcc_lo, s13, v6
	v_add_co_u32 v3, s0, v3, s10
	s_cmp_gt_u32 s17, 2
	v_add_co_ci_u32_e64 v4, s0, s11, v4, s0
	s_cselect_b32 s0, -1, 0
	s_mov_b32 s17, s18
	s_or_b32 s0, s0, vcc_lo
	s_delay_alu instid0(SALU_CYCLE_1) | instskip(NEXT) | instid1(SALU_CYCLE_1)
	s_and_b32 s0, exec_lo, s0
	s_or_b32 s16, s0, s16
	s_waitcnt vmcnt(1)
	v_lshlrev_b32_e32 v7, 16, v7
	s_waitcnt vmcnt(0)
	v_lshlrev_b32_e32 v8, 16, v8
	s_delay_alu instid0(VALU_DEP_1)
	v_dual_fmac_f32 v5, v8, v7 :: v_dual_add_nc_u32 v6, s1, v6
	s_and_not1_b32 exec_lo, exec_lo, s16
	s_cbranch_execnz .LBB168_2
; %bb.3:
	s_or_b32 exec_lo, exec_lo, s16
.LBB168_4:
	s_delay_alu instid0(SALU_CYCLE_1) | instskip(SKIP_2) | instid1(VALU_DEP_2)
	s_or_b32 exec_lo, exec_lo, s15
	v_and_b32_e32 v2, 31, v0
	v_cmp_gt_u32_e32 vcc_lo, 32, v0
	v_lshlrev_b32_e32 v1, 2, v2
	s_and_saveexec_b32 s0, vcc_lo
	s_cbranch_execz .LBB168_6
; %bb.5:
	v_mov_b32_e32 v3, 0
	ds_store_b32 v1, v3
.LBB168_6:
	s_or_b32 exec_lo, exec_lo, s0
	v_mbcnt_lo_u32_b32 v6, -1, 0
	s_mov_b32 s1, exec_lo
	s_waitcnt lgkmcnt(0)
	s_barrier
	buffer_gl0_inv
	v_cmp_gt_u32_e64 s0, 16, v6
	s_delay_alu instid0(VALU_DEP_1) | instskip(SKIP_1) | instid1(VALU_DEP_2)
	v_cndmask_b32_e64 v3, 0, 1, s0
	v_cmp_gt_u32_e64 s0, 24, v6
	v_lshlrev_b32_e32 v3, 4, v3
	s_delay_alu instid0(VALU_DEP_1) | instskip(SKIP_3) | instid1(VALU_DEP_2)
	v_add_lshl_u32 v3, v3, v6, 2
	ds_bpermute_b32 v4, v3, v5
	v_cndmask_b32_e64 v3, 0, 1, s0
	v_cmp_gt_u32_e64 s0, 28, v6
	v_lshlrev_b32_e32 v3, 3, v3
	s_delay_alu instid0(VALU_DEP_1)
	v_add_lshl_u32 v3, v3, v6, 2
	s_waitcnt lgkmcnt(0)
	v_add_f32_e32 v5, v5, v4
	v_cndmask_b32_e64 v4, 0, 1, s0
	v_cmp_gt_u32_e64 s0, 30, v6
	ds_bpermute_b32 v7, v3, v5
	s_waitcnt lgkmcnt(0)
	v_dual_add_f32 v7, v5, v7 :: v_dual_lshlrev_b32 v4, 2, v4
	s_delay_alu instid0(VALU_DEP_1) | instskip(SKIP_4) | instid1(VALU_DEP_1)
	v_add_lshl_u32 v4, v4, v6, 2
	v_cndmask_b32_e64 v5, 0, 1, s0
	v_cmp_ne_u32_e64 s0, 31, v6
	ds_bpermute_b32 v8, v4, v7
	v_lshlrev_b32_e32 v5, 1, v5
	v_add_lshl_u32 v5, v5, v6, 2
	v_add_co_ci_u32_e64 v6, s0, 0, v6, s0
	s_waitcnt lgkmcnt(0)
	s_delay_alu instid0(VALU_DEP_1)
	v_dual_add_f32 v7, v7, v8 :: v_dual_lshlrev_b32 v6, 2, v6
	ds_bpermute_b32 v8, v5, v7
	s_waitcnt lgkmcnt(0)
	v_add_f32_e32 v7, v7, v8
	ds_bpermute_b32 v8, v6, v7
	v_cmpx_eq_u32_e32 0, v2
	s_cbranch_execz .LBB168_8
; %bb.7:
	v_lshrrev_b32_e32 v2, 3, v0
	s_waitcnt lgkmcnt(0)
	s_delay_alu instid0(VALU_DEP_1)
	v_dual_add_f32 v7, v7, v8 :: v_dual_and_b32 v2, 60, v2
	ds_store_b32 v2, v7
.LBB168_8:
	s_or_b32 exec_lo, exec_lo, s1
	v_mov_b32_e32 v2, 0
	s_mov_b32 s1, exec_lo
	s_waitcnt lgkmcnt(0)
	s_barrier
	buffer_gl0_inv
	v_cmpx_gt_u32_e32 16, v0
	s_cbranch_execz .LBB168_10
; %bb.9:
	ds_load_b32 v2, v1
.LBB168_10:
	s_or_b32 exec_lo, exec_lo, s1
	s_and_saveexec_b32 s0, vcc_lo
	s_cbranch_execz .LBB168_12
; %bb.11:
	s_waitcnt lgkmcnt(0)
	ds_bpermute_b32 v1, v3, v2
	s_waitcnt lgkmcnt(0)
	v_add_f32_e32 v1, v2, v1
	ds_bpermute_b32 v2, v4, v1
	s_waitcnt lgkmcnt(0)
	v_add_f32_e32 v1, v1, v2
	;; [unrolled: 3-line block ×4, first 2 shown]
.LBB168_12:
	s_or_b32 exec_lo, exec_lo, s0
	s_delay_alu instid0(SALU_CYCLE_1)
	s_mov_b32 s0, exec_lo
	v_cmpx_eq_u32_e32 0, v0
	s_cbranch_execz .LBB168_18
; %bb.13:
	s_cmp_lg_u32 s12, 1
	s_cbranch_scc0 .LBB168_15
; %bb.14:
	s_mul_hi_u32 s1, s12, s2
	s_mul_i32 s0, s12, s2
	s_mov_b32 s15, 0
	s_lshl_b64 s[0:1], s[0:1], 2
	s_delay_alu instid0(SALU_CYCLE_1) | instskip(SKIP_2) | instid1(SALU_CYCLE_1)
	s_add_u32 s4, s4, s0
	s_addc_u32 s5, s5, s1
	s_lshl_b64 s[0:1], s[14:15], 2
	s_add_u32 s0, s4, s0
	s_addc_u32 s1, s5, s1
	s_cbranch_execz .LBB168_16
	s_branch .LBB168_17
.LBB168_15:
                                        ; implicit-def: $sgpr0_sgpr1
.LBB168_16:
	s_lshl_b64 s[0:1], s[2:3], 2
	s_delay_alu instid0(SALU_CYCLE_1)
	s_add_u32 s0, s6, s0
	s_addc_u32 s1, s7, s1
.LBB168_17:
	v_mov_b32_e32 v0, 0
	s_waitcnt lgkmcnt(0)
	global_store_b32 v0, v2, s[0:1]
.LBB168_18:
	s_nop 0
	s_sendmsg sendmsg(MSG_DEALLOC_VGPRS)
	s_endpgm
	.section	.rodata,"a",@progbits
	.p2align	6, 0x0
	.amdhsa_kernel _ZL18rocblas_dot_kernelIiLb0ELi512ELi4ELb0EfPKPK16rocblas_bfloat16fEviT5_lT_lS5_lS6_liPT6_PT4_
		.amdhsa_group_segment_fixed_size 128
		.amdhsa_private_segment_fixed_size 0
		.amdhsa_kernarg_size 352
		.amdhsa_user_sgpr_count 14
		.amdhsa_user_sgpr_dispatch_ptr 0
		.amdhsa_user_sgpr_queue_ptr 0
		.amdhsa_user_sgpr_kernarg_segment_ptr 1
		.amdhsa_user_sgpr_dispatch_id 0
		.amdhsa_user_sgpr_private_segment_size 0
		.amdhsa_wavefront_size32 1
		.amdhsa_uses_dynamic_stack 0
		.amdhsa_enable_private_segment 0
		.amdhsa_system_sgpr_workgroup_id_x 1
		.amdhsa_system_sgpr_workgroup_id_y 0
		.amdhsa_system_sgpr_workgroup_id_z 1
		.amdhsa_system_sgpr_workgroup_info 0
		.amdhsa_system_vgpr_workitem_id 0
		.amdhsa_next_free_vgpr 9
		.amdhsa_next_free_sgpr 25
		.amdhsa_reserve_vcc 1
		.amdhsa_float_round_mode_32 0
		.amdhsa_float_round_mode_16_64 0
		.amdhsa_float_denorm_mode_32 3
		.amdhsa_float_denorm_mode_16_64 3
		.amdhsa_dx10_clamp 1
		.amdhsa_ieee_mode 1
		.amdhsa_fp16_overflow 0
		.amdhsa_workgroup_processor_mode 1
		.amdhsa_memory_ordered 1
		.amdhsa_forward_progress 0
		.amdhsa_shared_vgpr_count 0
		.amdhsa_exception_fp_ieee_invalid_op 0
		.amdhsa_exception_fp_denorm_src 0
		.amdhsa_exception_fp_ieee_div_zero 0
		.amdhsa_exception_fp_ieee_overflow 0
		.amdhsa_exception_fp_ieee_underflow 0
		.amdhsa_exception_fp_ieee_inexact 0
		.amdhsa_exception_int_div_zero 0
	.end_amdhsa_kernel
	.section	.text._ZL18rocblas_dot_kernelIiLb0ELi512ELi4ELb0EfPKPK16rocblas_bfloat16fEviT5_lT_lS5_lS6_liPT6_PT4_,"axG",@progbits,_ZL18rocblas_dot_kernelIiLb0ELi512ELi4ELb0EfPKPK16rocblas_bfloat16fEviT5_lT_lS5_lS6_liPT6_PT4_,comdat
.Lfunc_end168:
	.size	_ZL18rocblas_dot_kernelIiLb0ELi512ELi4ELb0EfPKPK16rocblas_bfloat16fEviT5_lT_lS5_lS6_liPT6_PT4_, .Lfunc_end168-_ZL18rocblas_dot_kernelIiLb0ELi512ELi4ELb0EfPKPK16rocblas_bfloat16fEviT5_lT_lS5_lS6_liPT6_PT4_
                                        ; -- End function
	.section	.AMDGPU.csdata,"",@progbits
; Kernel info:
; codeLenInByte = 980
; NumSgprs: 27
; NumVgprs: 9
; ScratchSize: 0
; MemoryBound: 0
; FloatMode: 240
; IeeeMode: 1
; LDSByteSize: 128 bytes/workgroup (compile time only)
; SGPRBlocks: 3
; VGPRBlocks: 1
; NumSGPRsForWavesPerEU: 27
; NumVGPRsForWavesPerEU: 9
; Occupancy: 16
; WaveLimiterHint : 0
; COMPUTE_PGM_RSRC2:SCRATCH_EN: 0
; COMPUTE_PGM_RSRC2:USER_SGPR: 14
; COMPUTE_PGM_RSRC2:TRAP_HANDLER: 0
; COMPUTE_PGM_RSRC2:TGID_X_EN: 1
; COMPUTE_PGM_RSRC2:TGID_Y_EN: 0
; COMPUTE_PGM_RSRC2:TGID_Z_EN: 1
; COMPUTE_PGM_RSRC2:TIDIG_COMP_CNT: 0
	.section	.text._ZL24rocblas_dot_kernel_magsqIiLb0ELi512ELi4ELb0EfPKPK16rocblas_bfloat16fEviT5_lT_liPT6_PT4_,"axG",@progbits,_ZL24rocblas_dot_kernel_magsqIiLb0ELi512ELi4ELb0EfPKPK16rocblas_bfloat16fEviT5_lT_liPT6_PT4_,comdat
	.globl	_ZL24rocblas_dot_kernel_magsqIiLb0ELi512ELi4ELb0EfPKPK16rocblas_bfloat16fEviT5_lT_liPT6_PT4_ ; -- Begin function _ZL24rocblas_dot_kernel_magsqIiLb0ELi512ELi4ELb0EfPKPK16rocblas_bfloat16fEviT5_lT_liPT6_PT4_
	.p2align	8
	.type	_ZL24rocblas_dot_kernel_magsqIiLb0ELi512ELi4ELb0EfPKPK16rocblas_bfloat16fEviT5_lT_liPT6_PT4_,@function
_ZL24rocblas_dot_kernel_magsqIiLb0ELi512ELi4ELb0EfPKPK16rocblas_bfloat16fEviT5_lT_liPT6_PT4_: ; @_ZL24rocblas_dot_kernel_magsqIiLb0ELi512ELi4ELb0EfPKPK16rocblas_bfloat16fEviT5_lT_liPT6_PT4_
; %bb.0:
	s_clause 0x2
	s_load_b32 s11, s[0:1], 0x0
	s_load_b128 s[4:7], s[0:1], 0x30
	s_load_b32 s10, s[0:1], 0x40
	v_lshl_or_b32 v1, s14, 9, v0
	v_mov_b32_e32 v3, 0
	s_mov_b32 s2, s15
	s_mov_b32 s3, 0
	s_mov_b32 s12, exec_lo
	s_waitcnt lgkmcnt(0)
	v_cmpx_gt_i32_e64 s11, v1
	s_cbranch_execz .LBB169_4
; %bb.1:
	s_clause 0x1
	s_load_b128 s[16:19], s[0:1], 0x8
	s_load_b32 s13, s[0:1], 0x18
	s_lshl_b64 s[0:1], s[2:3], 3
	s_mov_b32 s15, s3
	s_waitcnt lgkmcnt(0)
	s_add_u32 s0, s16, s0
	s_addc_u32 s1, s17, s1
	v_mad_i64_i32 v[2:3], null, s13, v1, 0
	s_load_b64 s[8:9], s[0:1], 0x0
	s_lshl_b32 s1, s10, 9
	s_lshl_b64 s[16:17], s[18:19], 1
	v_add_nc_u32_e32 v4, s1, v1
	s_mul_hi_i32 s19, s13, s1
	s_mul_i32 s18, s13, s1
	s_delay_alu instid0(VALU_DEP_2)
	v_lshlrev_b64 v[1:2], 1, v[2:3]
	v_mov_b32_e32 v3, 0
	s_mov_b32 s13, s3
	s_waitcnt lgkmcnt(0)
	s_add_u32 s0, s8, s16
	s_addc_u32 s8, s9, s17
	v_add_co_u32 v1, vcc_lo, s0, v1
	v_add_co_ci_u32_e32 v2, vcc_lo, s8, v2, vcc_lo
	s_lshl_b64 s[8:9], s[18:19], 1
	.p2align	6
.LBB169_2:                              ; =>This Inner Loop Header: Depth=1
	global_load_u16 v5, v[1:2], off
	s_add_i32 s16, s15, 1
	v_cmp_le_i32_e32 vcc_lo, s11, v4
	v_add_co_u32 v1, s0, v1, s8
	s_cmp_gt_u32 s15, 2
	v_add_co_ci_u32_e64 v2, s0, s9, v2, s0
	s_cselect_b32 s0, -1, 0
	s_mov_b32 s15, s16
	s_or_b32 s0, s0, vcc_lo
	s_delay_alu instid0(SALU_CYCLE_1) | instskip(NEXT) | instid1(SALU_CYCLE_1)
	s_and_b32 s0, exec_lo, s0
	s_or_b32 s13, s0, s13
	s_waitcnt vmcnt(0)
	v_lshlrev_b32_e32 v5, 16, v5
	s_delay_alu instid0(VALU_DEP_1)
	v_dual_fmac_f32 v3, v5, v5 :: v_dual_add_nc_u32 v4, s1, v4
	s_and_not1_b32 exec_lo, exec_lo, s13
	s_cbranch_execnz .LBB169_2
; %bb.3:
	s_or_b32 exec_lo, exec_lo, s13
.LBB169_4:
	s_delay_alu instid0(SALU_CYCLE_1) | instskip(SKIP_2) | instid1(VALU_DEP_2)
	s_or_b32 exec_lo, exec_lo, s12
	v_and_b32_e32 v2, 31, v0
	v_cmp_gt_u32_e32 vcc_lo, 32, v0
	v_lshlrev_b32_e32 v1, 2, v2
	s_and_saveexec_b32 s0, vcc_lo
	s_cbranch_execz .LBB169_6
; %bb.5:
	v_mov_b32_e32 v4, 0
	ds_store_b32 v1, v4
.LBB169_6:
	s_or_b32 exec_lo, exec_lo, s0
	v_mbcnt_lo_u32_b32 v6, -1, 0
	s_mov_b32 s1, exec_lo
	s_waitcnt lgkmcnt(0)
	s_barrier
	buffer_gl0_inv
	v_cmp_gt_u32_e64 s0, 16, v6
	s_delay_alu instid0(VALU_DEP_1) | instskip(SKIP_1) | instid1(VALU_DEP_2)
	v_cndmask_b32_e64 v4, 0, 1, s0
	v_cmp_gt_u32_e64 s0, 24, v6
	v_lshlrev_b32_e32 v4, 4, v4
	s_delay_alu instid0(VALU_DEP_1) | instskip(SKIP_4) | instid1(VALU_DEP_2)
	v_add_lshl_u32 v4, v4, v6, 2
	ds_bpermute_b32 v5, v4, v3
	v_cndmask_b32_e64 v4, 0, 1, s0
	v_cmp_gt_u32_e64 s0, 28, v6
	s_waitcnt lgkmcnt(0)
	v_dual_add_f32 v5, v3, v5 :: v_dual_lshlrev_b32 v4, 3, v4
	s_delay_alu instid0(VALU_DEP_2) | instskip(SKIP_1) | instid1(VALU_DEP_3)
	v_cndmask_b32_e64 v3, 0, 1, s0
	v_cmp_gt_u32_e64 s0, 30, v6
	v_add_lshl_u32 v4, v4, v6, 2
	s_delay_alu instid0(VALU_DEP_3)
	v_lshlrev_b32_e32 v3, 2, v3
	ds_bpermute_b32 v7, v4, v5
	v_add_lshl_u32 v3, v3, v6, 2
	s_waitcnt lgkmcnt(0)
	v_add_f32_e32 v7, v5, v7
	v_cndmask_b32_e64 v5, 0, 1, s0
	v_cmp_ne_u32_e64 s0, 31, v6
	ds_bpermute_b32 v8, v3, v7
	v_lshlrev_b32_e32 v5, 1, v5
	s_delay_alu instid0(VALU_DEP_1) | instskip(SKIP_2) | instid1(VALU_DEP_1)
	v_add_lshl_u32 v5, v5, v6, 2
	v_add_co_ci_u32_e64 v6, s0, 0, v6, s0
	s_waitcnt lgkmcnt(0)
	v_dual_add_f32 v7, v7, v8 :: v_dual_lshlrev_b32 v6, 2, v6
	ds_bpermute_b32 v8, v5, v7
	s_waitcnt lgkmcnt(0)
	v_add_f32_e32 v7, v7, v8
	ds_bpermute_b32 v8, v6, v7
	v_cmpx_eq_u32_e32 0, v2
	s_cbranch_execz .LBB169_8
; %bb.7:
	v_lshrrev_b32_e32 v2, 3, v0
	s_waitcnt lgkmcnt(0)
	s_delay_alu instid0(VALU_DEP_1)
	v_dual_add_f32 v7, v7, v8 :: v_dual_and_b32 v2, 60, v2
	ds_store_b32 v2, v7
.LBB169_8:
	s_or_b32 exec_lo, exec_lo, s1
	v_mov_b32_e32 v2, 0
	s_mov_b32 s1, exec_lo
	s_waitcnt lgkmcnt(0)
	s_barrier
	buffer_gl0_inv
	v_cmpx_gt_u32_e32 16, v0
	s_cbranch_execz .LBB169_10
; %bb.9:
	ds_load_b32 v2, v1
.LBB169_10:
	s_or_b32 exec_lo, exec_lo, s1
	s_and_saveexec_b32 s0, vcc_lo
	s_cbranch_execz .LBB169_12
; %bb.11:
	s_waitcnt lgkmcnt(0)
	ds_bpermute_b32 v1, v4, v2
	s_waitcnt lgkmcnt(0)
	v_add_f32_e32 v1, v2, v1
	ds_bpermute_b32 v2, v3, v1
	s_waitcnt lgkmcnt(0)
	v_add_f32_e32 v1, v1, v2
	;; [unrolled: 3-line block ×4, first 2 shown]
.LBB169_12:
	s_or_b32 exec_lo, exec_lo, s0
	s_delay_alu instid0(SALU_CYCLE_1)
	s_mov_b32 s0, exec_lo
	v_cmpx_eq_u32_e32 0, v0
	s_cbranch_execz .LBB169_18
; %bb.13:
	s_cmp_lg_u32 s10, 1
	s_cbranch_scc0 .LBB169_15
; %bb.14:
	s_mul_hi_u32 s1, s10, s2
	s_mul_i32 s0, s10, s2
	s_mov_b32 s15, 0
	s_lshl_b64 s[0:1], s[0:1], 2
	s_delay_alu instid0(SALU_CYCLE_1) | instskip(SKIP_2) | instid1(SALU_CYCLE_1)
	s_add_u32 s4, s4, s0
	s_addc_u32 s5, s5, s1
	s_lshl_b64 s[0:1], s[14:15], 2
	s_add_u32 s0, s4, s0
	s_addc_u32 s1, s5, s1
	s_cbranch_execz .LBB169_16
	s_branch .LBB169_17
.LBB169_15:
                                        ; implicit-def: $sgpr0_sgpr1
.LBB169_16:
	s_lshl_b64 s[0:1], s[2:3], 2
	s_delay_alu instid0(SALU_CYCLE_1)
	s_add_u32 s0, s6, s0
	s_addc_u32 s1, s7, s1
.LBB169_17:
	v_mov_b32_e32 v0, 0
	s_waitcnt lgkmcnt(0)
	global_store_b32 v0, v2, s[0:1]
.LBB169_18:
	s_nop 0
	s_sendmsg sendmsg(MSG_DEALLOC_VGPRS)
	s_endpgm
	.section	.rodata,"a",@progbits
	.p2align	6, 0x0
	.amdhsa_kernel _ZL24rocblas_dot_kernel_magsqIiLb0ELi512ELi4ELb0EfPKPK16rocblas_bfloat16fEviT5_lT_liPT6_PT4_
		.amdhsa_group_segment_fixed_size 128
		.amdhsa_private_segment_fixed_size 0
		.amdhsa_kernarg_size 320
		.amdhsa_user_sgpr_count 14
		.amdhsa_user_sgpr_dispatch_ptr 0
		.amdhsa_user_sgpr_queue_ptr 0
		.amdhsa_user_sgpr_kernarg_segment_ptr 1
		.amdhsa_user_sgpr_dispatch_id 0
		.amdhsa_user_sgpr_private_segment_size 0
		.amdhsa_wavefront_size32 1
		.amdhsa_uses_dynamic_stack 0
		.amdhsa_enable_private_segment 0
		.amdhsa_system_sgpr_workgroup_id_x 1
		.amdhsa_system_sgpr_workgroup_id_y 0
		.amdhsa_system_sgpr_workgroup_id_z 1
		.amdhsa_system_sgpr_workgroup_info 0
		.amdhsa_system_vgpr_workitem_id 0
		.amdhsa_next_free_vgpr 9
		.amdhsa_next_free_sgpr 20
		.amdhsa_reserve_vcc 1
		.amdhsa_float_round_mode_32 0
		.amdhsa_float_round_mode_16_64 0
		.amdhsa_float_denorm_mode_32 3
		.amdhsa_float_denorm_mode_16_64 3
		.amdhsa_dx10_clamp 1
		.amdhsa_ieee_mode 1
		.amdhsa_fp16_overflow 0
		.amdhsa_workgroup_processor_mode 1
		.amdhsa_memory_ordered 1
		.amdhsa_forward_progress 0
		.amdhsa_shared_vgpr_count 0
		.amdhsa_exception_fp_ieee_invalid_op 0
		.amdhsa_exception_fp_denorm_src 0
		.amdhsa_exception_fp_ieee_div_zero 0
		.amdhsa_exception_fp_ieee_overflow 0
		.amdhsa_exception_fp_ieee_underflow 0
		.amdhsa_exception_fp_ieee_inexact 0
		.amdhsa_exception_int_div_zero 0
	.end_amdhsa_kernel
	.section	.text._ZL24rocblas_dot_kernel_magsqIiLb0ELi512ELi4ELb0EfPKPK16rocblas_bfloat16fEviT5_lT_liPT6_PT4_,"axG",@progbits,_ZL24rocblas_dot_kernel_magsqIiLb0ELi512ELi4ELb0EfPKPK16rocblas_bfloat16fEviT5_lT_liPT6_PT4_,comdat
.Lfunc_end169:
	.size	_ZL24rocblas_dot_kernel_magsqIiLb0ELi512ELi4ELb0EfPKPK16rocblas_bfloat16fEviT5_lT_liPT6_PT4_, .Lfunc_end169-_ZL24rocblas_dot_kernel_magsqIiLb0ELi512ELi4ELb0EfPKPK16rocblas_bfloat16fEviT5_lT_liPT6_PT4_
                                        ; -- End function
	.section	.AMDGPU.csdata,"",@progbits
; Kernel info:
; codeLenInByte = 860
; NumSgprs: 22
; NumVgprs: 9
; ScratchSize: 0
; MemoryBound: 0
; FloatMode: 240
; IeeeMode: 1
; LDSByteSize: 128 bytes/workgroup (compile time only)
; SGPRBlocks: 2
; VGPRBlocks: 1
; NumSGPRsForWavesPerEU: 22
; NumVGPRsForWavesPerEU: 9
; Occupancy: 16
; WaveLimiterHint : 0
; COMPUTE_PGM_RSRC2:SCRATCH_EN: 0
; COMPUTE_PGM_RSRC2:USER_SGPR: 14
; COMPUTE_PGM_RSRC2:TRAP_HANDLER: 0
; COMPUTE_PGM_RSRC2:TGID_X_EN: 1
; COMPUTE_PGM_RSRC2:TGID_Y_EN: 0
; COMPUTE_PGM_RSRC2:TGID_Z_EN: 1
; COMPUTE_PGM_RSRC2:TIDIG_COMP_CNT: 0
	.section	.text._ZL28rocblas_dot_batched_4_kernelIlLi32ELi4ELb0Ef16rocblas_bfloat16PKPKS0_EviT5_lT_lS5_lS6_liPT4_,"axG",@progbits,_ZL28rocblas_dot_batched_4_kernelIlLi32ELi4ELb0Ef16rocblas_bfloat16PKPKS0_EviT5_lT_lS5_lS6_liPT4_,comdat
	.globl	_ZL28rocblas_dot_batched_4_kernelIlLi32ELi4ELb0Ef16rocblas_bfloat16PKPKS0_EviT5_lT_lS5_lS6_liPT4_ ; -- Begin function _ZL28rocblas_dot_batched_4_kernelIlLi32ELi4ELb0Ef16rocblas_bfloat16PKPKS0_EviT5_lT_lS5_lS6_liPT4_
	.p2align	8
	.type	_ZL28rocblas_dot_batched_4_kernelIlLi32ELi4ELb0Ef16rocblas_bfloat16PKPKS0_EviT5_lT_lS5_lS6_liPT4_,@function
_ZL28rocblas_dot_batched_4_kernelIlLi32ELi4ELb0Ef16rocblas_bfloat16PKPKS0_EviT5_lT_lS5_lS6_liPT4_: ; @_ZL28rocblas_dot_batched_4_kernelIlLi32ELi4ELb0Ef16rocblas_bfloat16PKPKS0_EviT5_lT_lS5_lS6_liPT4_
; %bb.0:
	s_load_b32 s2, s[0:1], 0x48
	v_bfe_u32 v1, v0, 10, 10
	s_delay_alu instid0(VALU_DEP_1) | instskip(SKIP_1) | instid1(VALU_DEP_1)
	v_lshl_add_u32 v1, s15, 2, v1
	s_waitcnt lgkmcnt(0)
	v_cmp_gt_u32_e32 vcc_lo, s2, v1
	s_and_saveexec_b32 s2, vcc_lo
	s_cbranch_execz .LBB170_11
; %bb.1:
	s_clause 0x1
	s_load_b32 s10, s[0:1], 0x0
	s_load_b64 s[8:9], s[0:1], 0x50
	v_mov_b32_e32 v2, 0
	v_and_b32_e32 v0, 0x3ff, v0
	s_mov_b32 s11, exec_lo
	s_delay_alu instid0(VALU_DEP_2) | instskip(SKIP_1) | instid1(VALU_DEP_2)
	v_mov_b32_e32 v7, v2
	s_waitcnt lgkmcnt(0)
	v_cmpx_gt_i32_e64 s10, v0
	s_cbranch_execz .LBB170_5
; %bb.2:
	s_clause 0x1
	s_load_b64 s[12:13], s[0:1], 0x8
	s_load_b64 s[14:15], s[0:1], 0x28
	v_lshlrev_b64 v[3:4], 3, v[1:2]
	s_clause 0x1
	s_load_b128 s[4:7], s[0:1], 0x10
	s_load_b128 s[0:3], s[0:1], 0x30
	s_waitcnt lgkmcnt(0)
	s_delay_alu instid0(VALU_DEP_1)
	v_add_co_u32 v5, vcc_lo, s12, v3
	v_add_co_ci_u32_e32 v6, vcc_lo, s13, v4, vcc_lo
	v_add_co_u32 v3, vcc_lo, s14, v3
	v_add_co_ci_u32_e32 v4, vcc_lo, s15, v4, vcc_lo
	v_mad_u64_u32 v[10:11], null, s2, v0, 0
	global_load_b64 v[5:6], v[5:6], off
	global_load_b64 v[8:9], v[3:4], off
	v_mad_u64_u32 v[3:4], null, s6, v0, 0
	s_lshl_b64 s[4:5], s[4:5], 1
	s_lshl_b64 s[0:1], s[0:1], 1
	v_mov_b32_e32 v7, v11
	s_waitcnt vmcnt(1)
	s_delay_alu instid0(VALU_DEP_2) | instskip(SKIP_1) | instid1(VALU_DEP_2)
	v_mad_u64_u32 v[11:12], null, s7, v0, v[4:5]
	s_waitcnt vmcnt(0)
	v_mad_u64_u32 v[12:13], null, s3, v0, v[7:8]
	v_mov_b32_e32 v7, 0
	s_lshl_b64 s[2:3], s[2:3], 6
	s_delay_alu instid0(VALU_DEP_2) | instskip(NEXT) | instid1(VALU_DEP_1)
	v_dual_mov_b32 v4, v11 :: v_dual_mov_b32 v11, v12
	v_lshlrev_b64 v[3:4], 1, v[3:4]
	s_delay_alu instid0(VALU_DEP_2) | instskip(NEXT) | instid1(VALU_DEP_2)
	v_lshlrev_b64 v[10:11], 1, v[10:11]
	v_add_co_u32 v3, vcc_lo, v3, s4
	s_delay_alu instid0(VALU_DEP_3) | instskip(NEXT) | instid1(VALU_DEP_3)
	v_add_co_ci_u32_e32 v4, vcc_lo, s5, v4, vcc_lo
	v_add_co_u32 v10, vcc_lo, v10, s0
	s_delay_alu instid0(VALU_DEP_4) | instskip(NEXT) | instid1(VALU_DEP_4)
	v_add_co_ci_u32_e32 v11, vcc_lo, s1, v11, vcc_lo
	v_add_co_u32 v3, vcc_lo, v5, v3
	s_delay_alu instid0(VALU_DEP_4) | instskip(NEXT) | instid1(VALU_DEP_4)
	v_add_co_ci_u32_e32 v4, vcc_lo, v6, v4, vcc_lo
	v_add_co_u32 v5, vcc_lo, v8, v10
	s_delay_alu instid0(VALU_DEP_4)
	v_add_co_ci_u32_e32 v6, vcc_lo, v9, v11, vcc_lo
	v_mov_b32_e32 v8, v0
	s_lshl_b64 s[4:5], s[6:7], 6
	s_mov_b32 s1, 0
	.p2align	6
.LBB170_3:                              ; =>This Inner Loop Header: Depth=1
	global_load_u16 v9, v[5:6], off
	global_load_u16 v10, v[3:4], off
	v_add_co_u32 v3, vcc_lo, v3, s4
	v_add_co_ci_u32_e32 v4, vcc_lo, s5, v4, vcc_lo
	v_add_co_u32 v5, vcc_lo, v5, s2
	v_add_co_ci_u32_e32 v6, vcc_lo, s3, v6, vcc_lo
	s_waitcnt vmcnt(1)
	v_lshlrev_b32_e32 v9, 16, v9
	s_waitcnt vmcnt(0)
	v_lshlrev_b32_e32 v10, 16, v10
	s_delay_alu instid0(VALU_DEP_1) | instskip(NEXT) | instid1(VALU_DEP_1)
	v_dual_fmac_f32 v7, v10, v9 :: v_dual_add_nc_u32 v8, 32, v8
	v_cmp_le_i32_e64 s0, s10, v8
	s_delay_alu instid0(VALU_DEP_1) | instskip(NEXT) | instid1(SALU_CYCLE_1)
	s_or_b32 s1, s0, s1
	s_and_not1_b32 exec_lo, exec_lo, s1
	s_cbranch_execnz .LBB170_3
; %bb.4:
	s_or_b32 exec_lo, exec_lo, s1
.LBB170_5:
	s_delay_alu instid0(SALU_CYCLE_1)
	s_or_b32 exec_lo, exec_lo, s11
	v_mbcnt_lo_u32_b32 v3, -1, 0
	s_barrier
	buffer_gl0_inv
	v_cmp_gt_u32_e32 vcc_lo, 16, v3
	v_cndmask_b32_e64 v4, 0, 1, vcc_lo
	v_cmp_gt_u32_e32 vcc_lo, 24, v3
	s_delay_alu instid0(VALU_DEP_2) | instskip(SKIP_2) | instid1(VALU_DEP_3)
	v_lshlrev_b32_e32 v4, 4, v4
	v_cndmask_b32_e64 v5, 0, 1, vcc_lo
	v_cmp_gt_u32_e32 vcc_lo, 28, v3
	v_add_lshl_u32 v4, v4, v3, 2
	v_cndmask_b32_e64 v6, 0, 1, vcc_lo
	v_cmp_gt_u32_e32 vcc_lo, 30, v3
	ds_bpermute_b32 v4, v4, v7
	v_lshlrev_b32_e32 v5, 3, v5
	v_lshlrev_b32_e32 v6, 2, v6
	s_delay_alu instid0(VALU_DEP_1)
	v_add_lshl_u32 v6, v6, v3, 2
	s_waitcnt lgkmcnt(0)
	v_add_f32_e32 v4, v7, v4
	v_add_lshl_u32 v5, v5, v3, 2
	ds_bpermute_b32 v5, v5, v4
	s_waitcnt lgkmcnt(0)
	v_add_f32_e32 v4, v4, v5
	ds_bpermute_b32 v5, v6, v4
	v_cndmask_b32_e64 v6, 0, 1, vcc_lo
	v_cmp_ne_u32_e32 vcc_lo, 31, v3
	s_delay_alu instid0(VALU_DEP_2) | instskip(NEXT) | instid1(VALU_DEP_1)
	v_lshlrev_b32_e32 v6, 1, v6
	v_add_lshl_u32 v6, v6, v3, 2
	s_waitcnt lgkmcnt(0)
	v_add_f32_e32 v4, v4, v5
	ds_bpermute_b32 v5, v6, v4
	v_add_co_ci_u32_e32 v6, vcc_lo, 0, v3, vcc_lo
	v_cmp_eq_u32_e32 vcc_lo, 0, v0
	s_waitcnt lgkmcnt(0)
	s_delay_alu instid0(VALU_DEP_2)
	v_dual_add_f32 v3, v4, v5 :: v_dual_lshlrev_b32 v4, 2, v6
	ds_bpermute_b32 v4, v4, v3
	s_and_b32 exec_lo, exec_lo, vcc_lo
	s_cbranch_execz .LBB170_11
; %bb.6:
	s_waitcnt lgkmcnt(0)
	v_add_f32_e32 v3, v3, v4
	s_delay_alu instid0(VALU_DEP_1) | instskip(NEXT) | instid1(VALU_DEP_1)
	v_and_b32_e32 v0, 0x7f800000, v3
	v_cmp_ne_u32_e32 vcc_lo, 0x7f800000, v0
                                        ; implicit-def: $vgpr0
	s_and_saveexec_b32 s0, vcc_lo
	s_delay_alu instid0(SALU_CYCLE_1)
	s_xor_b32 s0, exec_lo, s0
; %bb.7:
	v_bfe_u32 v0, v3, 16, 1
	s_delay_alu instid0(VALU_DEP_1)
	v_add3_u32 v0, v3, v0, 0x7fff
                                        ; implicit-def: $vgpr3
; %bb.8:
	s_and_not1_saveexec_b32 s0, s0
; %bb.9:
	v_and_b32_e32 v0, 0xffff, v3
	v_or_b32_e32 v4, 0x10000, v3
	s_delay_alu instid0(VALU_DEP_2) | instskip(NEXT) | instid1(VALU_DEP_2)
	v_cmp_eq_u32_e32 vcc_lo, 0, v0
	v_cndmask_b32_e32 v0, v4, v3, vcc_lo
; %bb.10:
	s_or_b32 exec_lo, exec_lo, s0
	v_lshlrev_b64 v[1:2], 1, v[1:2]
	s_delay_alu instid0(VALU_DEP_1) | instskip(NEXT) | instid1(VALU_DEP_2)
	v_add_co_u32 v1, vcc_lo, s8, v1
	v_add_co_ci_u32_e32 v2, vcc_lo, s9, v2, vcc_lo
	global_store_d16_hi_b16 v[1:2], v0, off
.LBB170_11:
	s_nop 0
	s_sendmsg sendmsg(MSG_DEALLOC_VGPRS)
	s_endpgm
	.section	.rodata,"a",@progbits
	.p2align	6, 0x0
	.amdhsa_kernel _ZL28rocblas_dot_batched_4_kernelIlLi32ELi4ELb0Ef16rocblas_bfloat16PKPKS0_EviT5_lT_lS5_lS6_liPT4_
		.amdhsa_group_segment_fixed_size 0
		.amdhsa_private_segment_fixed_size 0
		.amdhsa_kernarg_size 88
		.amdhsa_user_sgpr_count 15
		.amdhsa_user_sgpr_dispatch_ptr 0
		.amdhsa_user_sgpr_queue_ptr 0
		.amdhsa_user_sgpr_kernarg_segment_ptr 1
		.amdhsa_user_sgpr_dispatch_id 0
		.amdhsa_user_sgpr_private_segment_size 0
		.amdhsa_wavefront_size32 1
		.amdhsa_uses_dynamic_stack 0
		.amdhsa_enable_private_segment 0
		.amdhsa_system_sgpr_workgroup_id_x 1
		.amdhsa_system_sgpr_workgroup_id_y 0
		.amdhsa_system_sgpr_workgroup_id_z 0
		.amdhsa_system_sgpr_workgroup_info 0
		.amdhsa_system_vgpr_workitem_id 1
		.amdhsa_next_free_vgpr 14
		.amdhsa_next_free_sgpr 16
		.amdhsa_reserve_vcc 1
		.amdhsa_float_round_mode_32 0
		.amdhsa_float_round_mode_16_64 0
		.amdhsa_float_denorm_mode_32 3
		.amdhsa_float_denorm_mode_16_64 3
		.amdhsa_dx10_clamp 1
		.amdhsa_ieee_mode 1
		.amdhsa_fp16_overflow 0
		.amdhsa_workgroup_processor_mode 1
		.amdhsa_memory_ordered 1
		.amdhsa_forward_progress 0
		.amdhsa_shared_vgpr_count 0
		.amdhsa_exception_fp_ieee_invalid_op 0
		.amdhsa_exception_fp_denorm_src 0
		.amdhsa_exception_fp_ieee_div_zero 0
		.amdhsa_exception_fp_ieee_overflow 0
		.amdhsa_exception_fp_ieee_underflow 0
		.amdhsa_exception_fp_ieee_inexact 0
		.amdhsa_exception_int_div_zero 0
	.end_amdhsa_kernel
	.section	.text._ZL28rocblas_dot_batched_4_kernelIlLi32ELi4ELb0Ef16rocblas_bfloat16PKPKS0_EviT5_lT_lS5_lS6_liPT4_,"axG",@progbits,_ZL28rocblas_dot_batched_4_kernelIlLi32ELi4ELb0Ef16rocblas_bfloat16PKPKS0_EviT5_lT_lS5_lS6_liPT4_,comdat
.Lfunc_end170:
	.size	_ZL28rocblas_dot_batched_4_kernelIlLi32ELi4ELb0Ef16rocblas_bfloat16PKPKS0_EviT5_lT_lS5_lS6_liPT4_, .Lfunc_end170-_ZL28rocblas_dot_batched_4_kernelIlLi32ELi4ELb0Ef16rocblas_bfloat16PKPKS0_EviT5_lT_lS5_lS6_liPT4_
                                        ; -- End function
	.section	.AMDGPU.csdata,"",@progbits
; Kernel info:
; codeLenInByte = 848
; NumSgprs: 18
; NumVgprs: 14
; ScratchSize: 0
; MemoryBound: 0
; FloatMode: 240
; IeeeMode: 1
; LDSByteSize: 0 bytes/workgroup (compile time only)
; SGPRBlocks: 2
; VGPRBlocks: 1
; NumSGPRsForWavesPerEU: 18
; NumVGPRsForWavesPerEU: 14
; Occupancy: 16
; WaveLimiterHint : 0
; COMPUTE_PGM_RSRC2:SCRATCH_EN: 0
; COMPUTE_PGM_RSRC2:USER_SGPR: 15
; COMPUTE_PGM_RSRC2:TRAP_HANDLER: 0
; COMPUTE_PGM_RSRC2:TGID_X_EN: 1
; COMPUTE_PGM_RSRC2:TGID_Y_EN: 0
; COMPUTE_PGM_RSRC2:TGID_Z_EN: 0
; COMPUTE_PGM_RSRC2:TIDIG_COMP_CNT: 1
	.section	.text._ZL28rocblas_dot_batched_4_kernelIlLi64ELi4ELb0Ef16rocblas_bfloat16PKPKS0_EviT5_lT_lS5_lS6_liPT4_,"axG",@progbits,_ZL28rocblas_dot_batched_4_kernelIlLi64ELi4ELb0Ef16rocblas_bfloat16PKPKS0_EviT5_lT_lS5_lS6_liPT4_,comdat
	.globl	_ZL28rocblas_dot_batched_4_kernelIlLi64ELi4ELb0Ef16rocblas_bfloat16PKPKS0_EviT5_lT_lS5_lS6_liPT4_ ; -- Begin function _ZL28rocblas_dot_batched_4_kernelIlLi64ELi4ELb0Ef16rocblas_bfloat16PKPKS0_EviT5_lT_lS5_lS6_liPT4_
	.p2align	8
	.type	_ZL28rocblas_dot_batched_4_kernelIlLi64ELi4ELb0Ef16rocblas_bfloat16PKPKS0_EviT5_lT_lS5_lS6_liPT4_,@function
_ZL28rocblas_dot_batched_4_kernelIlLi64ELi4ELb0Ef16rocblas_bfloat16PKPKS0_EviT5_lT_lS5_lS6_liPT4_: ; @_ZL28rocblas_dot_batched_4_kernelIlLi64ELi4ELb0Ef16rocblas_bfloat16PKPKS0_EviT5_lT_lS5_lS6_liPT4_
; %bb.0:
	s_load_b32 s2, s[0:1], 0x48
	v_bfe_u32 v1, v0, 10, 10
	s_delay_alu instid0(VALU_DEP_1) | instskip(SKIP_1) | instid1(VALU_DEP_1)
	v_lshl_add_u32 v1, s15, 2, v1
	s_waitcnt lgkmcnt(0)
	v_cmp_gt_u32_e32 vcc_lo, s2, v1
	s_and_saveexec_b32 s2, vcc_lo
	s_cbranch_execz .LBB171_11
; %bb.1:
	s_clause 0x1
	s_load_b32 s10, s[0:1], 0x0
	s_load_b64 s[8:9], s[0:1], 0x50
	v_mov_b32_e32 v2, 0
	v_and_b32_e32 v0, 0x3ff, v0
	s_mov_b32 s11, exec_lo
	s_delay_alu instid0(VALU_DEP_2) | instskip(SKIP_1) | instid1(VALU_DEP_2)
	v_mov_b32_e32 v7, v2
	s_waitcnt lgkmcnt(0)
	v_cmpx_gt_i32_e64 s10, v0
	s_cbranch_execz .LBB171_5
; %bb.2:
	s_clause 0x1
	s_load_b64 s[12:13], s[0:1], 0x8
	s_load_b64 s[14:15], s[0:1], 0x28
	v_lshlrev_b64 v[3:4], 3, v[1:2]
	s_clause 0x1
	s_load_b128 s[4:7], s[0:1], 0x10
	s_load_b128 s[0:3], s[0:1], 0x30
	s_waitcnt lgkmcnt(0)
	s_delay_alu instid0(VALU_DEP_1)
	v_add_co_u32 v5, vcc_lo, s12, v3
	v_add_co_ci_u32_e32 v6, vcc_lo, s13, v4, vcc_lo
	v_add_co_u32 v3, vcc_lo, s14, v3
	v_add_co_ci_u32_e32 v4, vcc_lo, s15, v4, vcc_lo
	v_mad_u64_u32 v[10:11], null, s2, v0, 0
	global_load_b64 v[5:6], v[5:6], off
	global_load_b64 v[8:9], v[3:4], off
	v_mad_u64_u32 v[3:4], null, s6, v0, 0
	s_lshl_b64 s[4:5], s[4:5], 1
	s_lshl_b64 s[0:1], s[0:1], 1
	v_mov_b32_e32 v7, v11
	s_waitcnt vmcnt(1)
	s_delay_alu instid0(VALU_DEP_2) | instskip(SKIP_1) | instid1(VALU_DEP_2)
	v_mad_u64_u32 v[11:12], null, s7, v0, v[4:5]
	s_waitcnt vmcnt(0)
	v_mad_u64_u32 v[12:13], null, s3, v0, v[7:8]
	v_mov_b32_e32 v7, 0
	s_lshl_b64 s[2:3], s[2:3], 7
	s_delay_alu instid0(VALU_DEP_2) | instskip(NEXT) | instid1(VALU_DEP_1)
	v_dual_mov_b32 v4, v11 :: v_dual_mov_b32 v11, v12
	v_lshlrev_b64 v[3:4], 1, v[3:4]
	s_delay_alu instid0(VALU_DEP_2) | instskip(NEXT) | instid1(VALU_DEP_2)
	v_lshlrev_b64 v[10:11], 1, v[10:11]
	v_add_co_u32 v3, vcc_lo, v3, s4
	s_delay_alu instid0(VALU_DEP_3) | instskip(NEXT) | instid1(VALU_DEP_3)
	v_add_co_ci_u32_e32 v4, vcc_lo, s5, v4, vcc_lo
	v_add_co_u32 v10, vcc_lo, v10, s0
	s_delay_alu instid0(VALU_DEP_4) | instskip(NEXT) | instid1(VALU_DEP_4)
	v_add_co_ci_u32_e32 v11, vcc_lo, s1, v11, vcc_lo
	v_add_co_u32 v3, vcc_lo, v5, v3
	s_delay_alu instid0(VALU_DEP_4) | instskip(NEXT) | instid1(VALU_DEP_4)
	v_add_co_ci_u32_e32 v4, vcc_lo, v6, v4, vcc_lo
	v_add_co_u32 v5, vcc_lo, v8, v10
	s_delay_alu instid0(VALU_DEP_4)
	v_add_co_ci_u32_e32 v6, vcc_lo, v9, v11, vcc_lo
	v_mov_b32_e32 v8, v0
	s_lshl_b64 s[4:5], s[6:7], 7
	s_mov_b32 s1, 0
	.p2align	6
.LBB171_3:                              ; =>This Inner Loop Header: Depth=1
	global_load_u16 v9, v[5:6], off
	global_load_u16 v10, v[3:4], off
	v_add_co_u32 v3, vcc_lo, v3, s4
	v_add_co_ci_u32_e32 v4, vcc_lo, s5, v4, vcc_lo
	v_add_co_u32 v5, vcc_lo, v5, s2
	v_add_co_ci_u32_e32 v6, vcc_lo, s3, v6, vcc_lo
	s_waitcnt vmcnt(1)
	v_lshlrev_b32_e32 v9, 16, v9
	s_waitcnt vmcnt(0)
	v_lshlrev_b32_e32 v10, 16, v10
	s_delay_alu instid0(VALU_DEP_1) | instskip(NEXT) | instid1(VALU_DEP_1)
	v_dual_fmac_f32 v7, v10, v9 :: v_dual_add_nc_u32 v8, 64, v8
	v_cmp_le_i32_e64 s0, s10, v8
	s_delay_alu instid0(VALU_DEP_1) | instskip(NEXT) | instid1(SALU_CYCLE_1)
	s_or_b32 s1, s0, s1
	s_and_not1_b32 exec_lo, exec_lo, s1
	s_cbranch_execnz .LBB171_3
; %bb.4:
	s_or_b32 exec_lo, exec_lo, s1
.LBB171_5:
	s_delay_alu instid0(SALU_CYCLE_1)
	s_or_b32 exec_lo, exec_lo, s11
	v_mbcnt_lo_u32_b32 v3, -1, 0
	s_barrier
	buffer_gl0_inv
	v_lshlrev_b32_e32 v4, 2, v3
	v_cmp_gt_u32_e32 vcc_lo, 16, v3
	ds_bpermute_b32 v4, v4, v7
	v_cndmask_b32_e64 v5, 0, 1, vcc_lo
	v_cmp_gt_u32_e32 vcc_lo, 24, v3
	s_delay_alu instid0(VALU_DEP_2) | instskip(SKIP_2) | instid1(VALU_DEP_2)
	v_lshlrev_b32_e32 v5, 4, v5
	v_cndmask_b32_e64 v6, 0, 1, vcc_lo
	v_cmp_gt_u32_e32 vcc_lo, 28, v3
	v_lshlrev_b32_e32 v6, 3, v6
	s_delay_alu instid0(VALU_DEP_1)
	v_add_lshl_u32 v6, v6, v3, 2
	s_waitcnt lgkmcnt(0)
	v_add_f32_e32 v4, v7, v4
	v_add_lshl_u32 v5, v5, v3, 2
	ds_bpermute_b32 v5, v5, v4
	s_waitcnt lgkmcnt(0)
	v_add_f32_e32 v4, v4, v5
	ds_bpermute_b32 v5, v6, v4
	v_cndmask_b32_e64 v6, 0, 1, vcc_lo
	v_cmp_gt_u32_e32 vcc_lo, 30, v3
	s_delay_alu instid0(VALU_DEP_2) | instskip(NEXT) | instid1(VALU_DEP_1)
	v_lshlrev_b32_e32 v6, 2, v6
	v_add_lshl_u32 v6, v6, v3, 2
	s_waitcnt lgkmcnt(0)
	v_add_f32_e32 v4, v4, v5
	ds_bpermute_b32 v5, v6, v4
	v_cndmask_b32_e64 v6, 0, 1, vcc_lo
	v_cmp_ne_u32_e32 vcc_lo, 31, v3
	s_delay_alu instid0(VALU_DEP_2) | instskip(NEXT) | instid1(VALU_DEP_1)
	v_lshlrev_b32_e32 v6, 1, v6
	v_add_lshl_u32 v6, v6, v3, 2
	s_waitcnt lgkmcnt(0)
	v_add_f32_e32 v4, v4, v5
	ds_bpermute_b32 v5, v6, v4
	v_add_co_ci_u32_e32 v6, vcc_lo, 0, v3, vcc_lo
	v_cmp_eq_u32_e32 vcc_lo, 0, v0
	s_waitcnt lgkmcnt(0)
	s_delay_alu instid0(VALU_DEP_2)
	v_dual_add_f32 v3, v4, v5 :: v_dual_lshlrev_b32 v4, 2, v6
	ds_bpermute_b32 v4, v4, v3
	s_and_b32 exec_lo, exec_lo, vcc_lo
	s_cbranch_execz .LBB171_11
; %bb.6:
	s_waitcnt lgkmcnt(0)
	v_add_f32_e32 v3, v3, v4
	s_delay_alu instid0(VALU_DEP_1) | instskip(NEXT) | instid1(VALU_DEP_1)
	v_and_b32_e32 v0, 0x7f800000, v3
	v_cmp_ne_u32_e32 vcc_lo, 0x7f800000, v0
                                        ; implicit-def: $vgpr0
	s_and_saveexec_b32 s0, vcc_lo
	s_delay_alu instid0(SALU_CYCLE_1)
	s_xor_b32 s0, exec_lo, s0
; %bb.7:
	v_bfe_u32 v0, v3, 16, 1
	s_delay_alu instid0(VALU_DEP_1)
	v_add3_u32 v0, v3, v0, 0x7fff
                                        ; implicit-def: $vgpr3
; %bb.8:
	s_and_not1_saveexec_b32 s0, s0
; %bb.9:
	v_and_b32_e32 v0, 0xffff, v3
	v_or_b32_e32 v4, 0x10000, v3
	s_delay_alu instid0(VALU_DEP_2) | instskip(NEXT) | instid1(VALU_DEP_2)
	v_cmp_eq_u32_e32 vcc_lo, 0, v0
	v_cndmask_b32_e32 v0, v4, v3, vcc_lo
; %bb.10:
	s_or_b32 exec_lo, exec_lo, s0
	v_lshlrev_b64 v[1:2], 1, v[1:2]
	s_delay_alu instid0(VALU_DEP_1) | instskip(NEXT) | instid1(VALU_DEP_2)
	v_add_co_u32 v1, vcc_lo, s8, v1
	v_add_co_ci_u32_e32 v2, vcc_lo, s9, v2, vcc_lo
	global_store_d16_hi_b16 v[1:2], v0, off
.LBB171_11:
	s_nop 0
	s_sendmsg sendmsg(MSG_DEALLOC_VGPRS)
	s_endpgm
	.section	.rodata,"a",@progbits
	.p2align	6, 0x0
	.amdhsa_kernel _ZL28rocblas_dot_batched_4_kernelIlLi64ELi4ELb0Ef16rocblas_bfloat16PKPKS0_EviT5_lT_lS5_lS6_liPT4_
		.amdhsa_group_segment_fixed_size 0
		.amdhsa_private_segment_fixed_size 0
		.amdhsa_kernarg_size 88
		.amdhsa_user_sgpr_count 15
		.amdhsa_user_sgpr_dispatch_ptr 0
		.amdhsa_user_sgpr_queue_ptr 0
		.amdhsa_user_sgpr_kernarg_segment_ptr 1
		.amdhsa_user_sgpr_dispatch_id 0
		.amdhsa_user_sgpr_private_segment_size 0
		.amdhsa_wavefront_size32 1
		.amdhsa_uses_dynamic_stack 0
		.amdhsa_enable_private_segment 0
		.amdhsa_system_sgpr_workgroup_id_x 1
		.amdhsa_system_sgpr_workgroup_id_y 0
		.amdhsa_system_sgpr_workgroup_id_z 0
		.amdhsa_system_sgpr_workgroup_info 0
		.amdhsa_system_vgpr_workitem_id 1
		.amdhsa_next_free_vgpr 14
		.amdhsa_next_free_sgpr 16
		.amdhsa_reserve_vcc 1
		.amdhsa_float_round_mode_32 0
		.amdhsa_float_round_mode_16_64 0
		.amdhsa_float_denorm_mode_32 3
		.amdhsa_float_denorm_mode_16_64 3
		.amdhsa_dx10_clamp 1
		.amdhsa_ieee_mode 1
		.amdhsa_fp16_overflow 0
		.amdhsa_workgroup_processor_mode 1
		.amdhsa_memory_ordered 1
		.amdhsa_forward_progress 0
		.amdhsa_shared_vgpr_count 0
		.amdhsa_exception_fp_ieee_invalid_op 0
		.amdhsa_exception_fp_denorm_src 0
		.amdhsa_exception_fp_ieee_div_zero 0
		.amdhsa_exception_fp_ieee_overflow 0
		.amdhsa_exception_fp_ieee_underflow 0
		.amdhsa_exception_fp_ieee_inexact 0
		.amdhsa_exception_int_div_zero 0
	.end_amdhsa_kernel
	.section	.text._ZL28rocblas_dot_batched_4_kernelIlLi64ELi4ELb0Ef16rocblas_bfloat16PKPKS0_EviT5_lT_lS5_lS6_liPT4_,"axG",@progbits,_ZL28rocblas_dot_batched_4_kernelIlLi64ELi4ELb0Ef16rocblas_bfloat16PKPKS0_EviT5_lT_lS5_lS6_liPT4_,comdat
.Lfunc_end171:
	.size	_ZL28rocblas_dot_batched_4_kernelIlLi64ELi4ELb0Ef16rocblas_bfloat16PKPKS0_EviT5_lT_lS5_lS6_liPT4_, .Lfunc_end171-_ZL28rocblas_dot_batched_4_kernelIlLi64ELi4ELb0Ef16rocblas_bfloat16PKPKS0_EviT5_lT_lS5_lS6_liPT4_
                                        ; -- End function
	.section	.AMDGPU.csdata,"",@progbits
; Kernel info:
; codeLenInByte = 872
; NumSgprs: 18
; NumVgprs: 14
; ScratchSize: 0
; MemoryBound: 0
; FloatMode: 240
; IeeeMode: 1
; LDSByteSize: 0 bytes/workgroup (compile time only)
; SGPRBlocks: 2
; VGPRBlocks: 1
; NumSGPRsForWavesPerEU: 18
; NumVGPRsForWavesPerEU: 14
; Occupancy: 16
; WaveLimiterHint : 0
; COMPUTE_PGM_RSRC2:SCRATCH_EN: 0
; COMPUTE_PGM_RSRC2:USER_SGPR: 15
; COMPUTE_PGM_RSRC2:TRAP_HANDLER: 0
; COMPUTE_PGM_RSRC2:TGID_X_EN: 1
; COMPUTE_PGM_RSRC2:TGID_Y_EN: 0
; COMPUTE_PGM_RSRC2:TGID_Z_EN: 0
; COMPUTE_PGM_RSRC2:TIDIG_COMP_CNT: 1
	.section	.text._ZL18rocblas_dot_kernelIlLb1ELi1024ELi32ELb0E16rocblas_bfloat16PKPKS0_fEviT5_lT_lS5_lS6_liPT6_PT4_,"axG",@progbits,_ZL18rocblas_dot_kernelIlLb1ELi1024ELi32ELb0E16rocblas_bfloat16PKPKS0_fEviT5_lT_lS5_lS6_liPT6_PT4_,comdat
	.globl	_ZL18rocblas_dot_kernelIlLb1ELi1024ELi32ELb0E16rocblas_bfloat16PKPKS0_fEviT5_lT_lS5_lS6_liPT6_PT4_ ; -- Begin function _ZL18rocblas_dot_kernelIlLb1ELi1024ELi32ELb0E16rocblas_bfloat16PKPKS0_fEviT5_lT_lS5_lS6_liPT6_PT4_
	.p2align	8
	.type	_ZL18rocblas_dot_kernelIlLb1ELi1024ELi32ELb0E16rocblas_bfloat16PKPKS0_fEviT5_lT_lS5_lS6_liPT6_PT4_,@function
_ZL18rocblas_dot_kernelIlLb1ELi1024ELi32ELb0E16rocblas_bfloat16PKPKS0_fEviT5_lT_lS5_lS6_liPT6_PT4_: ; @_ZL18rocblas_dot_kernelIlLb1ELi1024ELi32ELb0E16rocblas_bfloat16PKPKS0_fEviT5_lT_lS5_lS6_liPT6_PT4_
; %bb.0:
	s_clause 0x1
	s_load_b32 s14, s[0:1], 0x0
	s_load_b64 s[2:3], s[0:1], 0x58
	v_mov_b32_e32 v5, 0
	s_mov_b32 s12, s15
	s_mov_b32 s13, 0
	s_mov_b32 s15, exec_lo
	s_waitcnt lgkmcnt(0)
	v_cmpx_gt_i32_e64 s14, v0
	s_cbranch_execz .LBB172_4
; %bb.1:
	s_clause 0x4
	s_load_b64 s[16:17], s[0:1], 0x8
	s_load_b128 s[8:11], s[0:1], 0x10
	s_load_b128 s[4:7], s[0:1], 0x30
	s_load_b64 s[18:19], s[0:1], 0x28
	s_load_b32 s20, s[0:1], 0x60
	s_lshl_b64 s[0:1], s[12:13], 3
	s_waitcnt lgkmcnt(0)
	s_add_u32 s16, s16, s0
	v_mad_u64_u32 v[1:2], null, s10, v0, 0
	v_mad_u64_u32 v[3:4], null, s6, v0, 0
	s_addc_u32 s17, s17, s1
	s_add_u32 s18, s18, s0
	s_load_b64 s[16:17], s[16:17], 0x0
	s_addc_u32 s19, s19, s1
	s_lshl_b64 s[8:9], s[8:9], 1
	s_load_b64 s[18:19], s[18:19], 0x0
	s_delay_alu instid0(VALU_DEP_1) | instskip(SKIP_2) | instid1(SALU_CYCLE_1)
	v_mad_u64_u32 v[7:8], null, s11, v0, v[2:3]
	v_mov_b32_e32 v5, 0
	s_lshl_b32 s1, s20, 10
	s_mul_hi_u32 s0, s10, s1
	s_mul_i32 s11, s11, s1
	s_mul_i32 s20, s10, s1
	s_delay_alu instid0(VALU_DEP_2) | instskip(SKIP_3) | instid1(VALU_DEP_2)
	v_mov_b32_e32 v2, v7
	v_mad_u64_u32 v[8:9], null, s7, v0, v[4:5]
	s_mul_hi_u32 s23, s6, s1
	s_mul_i32 s22, s6, s1
	v_lshlrev_b64 v[1:2], 1, v[1:2]
	s_mul_i32 s7, s7, s1
	v_or_b32_e32 v6, s1, v0
	s_waitcnt lgkmcnt(0)
	s_add_u32 s16, s16, s8
	v_mov_b32_e32 v4, v8
	s_addc_u32 s17, s17, s9
	s_ashr_i32 s24, s1, 31
	s_lshl_b64 s[8:9], s[4:5], 1
	s_mul_i32 s4, s10, s24
	v_lshlrev_b64 v[3:4], 1, v[3:4]
	s_add_i32 s0, s0, s4
	v_add_co_u32 v1, vcc_lo, s16, v1
	s_add_i32 s21, s0, s11
	s_mul_i32 s0, s6, s24
	s_lshl_b64 s[4:5], s[20:21], 1
	s_add_u32 s6, s18, s8
	v_add_co_ci_u32_e32 v2, vcc_lo, s17, v2, vcc_lo
	s_addc_u32 s8, s19, s9
	v_add_co_u32 v3, vcc_lo, s6, v3
	s_add_i32 s0, s23, s0
	v_add_co_ci_u32_e32 v4, vcc_lo, s8, v4, vcc_lo
	s_add_i32 s23, s0, s7
	s_mov_b32 s8, s13
	s_lshl_b64 s[6:7], s[22:23], 1
	s_mov_b32 s9, s13
	.p2align	6
.LBB172_2:                              ; =>This Inner Loop Header: Depth=1
	global_load_u16 v7, v[1:2], off
	global_load_u16 v8, v[3:4], off
	v_add_co_u32 v1, s0, v1, s4
	s_delay_alu instid0(VALU_DEP_1)
	v_add_co_ci_u32_e64 v2, s0, s5, v2, s0
	s_add_i32 s10, s9, 1
	v_cmp_le_i32_e32 vcc_lo, s14, v6
	v_add_co_u32 v3, s0, v3, s6
	s_cmp_gt_u32 s9, 30
	v_add_co_ci_u32_e64 v4, s0, s7, v4, s0
	s_cselect_b32 s0, -1, 0
	s_mov_b32 s9, s10
	s_or_b32 s0, s0, vcc_lo
	s_delay_alu instid0(SALU_CYCLE_1) | instskip(NEXT) | instid1(SALU_CYCLE_1)
	s_and_b32 s0, exec_lo, s0
	s_or_b32 s8, s0, s8
	s_waitcnt vmcnt(1)
	v_lshlrev_b32_e32 v7, 16, v7
	s_waitcnt vmcnt(0)
	v_lshlrev_b32_e32 v8, 16, v8
	s_delay_alu instid0(VALU_DEP_1)
	v_dual_fmac_f32 v5, v8, v7 :: v_dual_add_nc_u32 v6, s1, v6
	s_and_not1_b32 exec_lo, exec_lo, s8
	s_cbranch_execnz .LBB172_2
; %bb.3:
	s_or_b32 exec_lo, exec_lo, s8
.LBB172_4:
	s_delay_alu instid0(SALU_CYCLE_1) | instskip(SKIP_2) | instid1(VALU_DEP_2)
	s_or_b32 exec_lo, exec_lo, s15
	v_and_b32_e32 v8, 31, v0
	v_cmp_gt_u32_e32 vcc_lo, 32, v0
	v_lshlrev_b32_e32 v1, 2, v8
	s_and_saveexec_b32 s0, vcc_lo
	s_cbranch_execz .LBB172_6
; %bb.5:
	v_mov_b32_e32 v2, 0
	ds_store_b32 v1, v2
.LBB172_6:
	s_or_b32 exec_lo, exec_lo, s0
	v_mbcnt_lo_u32_b32 v7, -1, 0
	s_mov_b32 s1, exec_lo
	s_waitcnt lgkmcnt(0)
	s_barrier
	buffer_gl0_inv
	v_cmp_gt_u32_e64 s0, 16, v7
	s_delay_alu instid0(VALU_DEP_1) | instskip(SKIP_1) | instid1(VALU_DEP_2)
	v_cndmask_b32_e64 v2, 0, 1, s0
	v_cmp_gt_u32_e64 s0, 24, v7
	v_lshlrev_b32_e32 v2, 4, v2
	s_delay_alu instid0(VALU_DEP_2) | instskip(SKIP_1) | instid1(VALU_DEP_3)
	v_cndmask_b32_e64 v3, 0, 1, s0
	v_cmp_gt_u32_e64 s0, 28, v7
	v_add_lshl_u32 v2, v2, v7, 2
	s_delay_alu instid0(VALU_DEP_3)
	v_lshlrev_b32_e32 v3, 3, v3
	ds_bpermute_b32 v4, v2, v5
	v_add_lshl_u32 v3, v3, v7, 2
	s_waitcnt lgkmcnt(0)
	v_add_f32_e32 v5, v5, v4
	v_cndmask_b32_e64 v4, 0, 1, s0
	v_cmp_gt_u32_e64 s0, 30, v7
	ds_bpermute_b32 v6, v3, v5
	s_waitcnt lgkmcnt(0)
	v_dual_add_f32 v5, v5, v6 :: v_dual_lshlrev_b32 v4, 2, v4
	s_delay_alu instid0(VALU_DEP_1)
	v_add_lshl_u32 v4, v4, v7, 2
	v_cndmask_b32_e64 v6, 0, 1, s0
	v_cmp_ne_u32_e64 s0, 31, v7
	ds_bpermute_b32 v9, v4, v5
	s_waitcnt lgkmcnt(0)
	v_dual_add_f32 v5, v5, v9 :: v_dual_lshlrev_b32 v6, 1, v6
	s_delay_alu instid0(VALU_DEP_1)
	v_add_lshl_u32 v6, v6, v7, 2
	v_add_co_ci_u32_e64 v7, s0, 0, v7, s0
	ds_bpermute_b32 v9, v6, v5
	v_lshlrev_b32_e32 v7, 2, v7
	s_waitcnt lgkmcnt(0)
	v_add_f32_e32 v5, v5, v9
	ds_bpermute_b32 v9, v7, v5
	v_cmpx_eq_u32_e32 0, v8
	s_cbranch_execz .LBB172_8
; %bb.7:
	v_lshrrev_b32_e32 v8, 3, v0
	s_waitcnt lgkmcnt(0)
	s_delay_alu instid0(VALU_DEP_1)
	v_dual_add_f32 v5, v5, v9 :: v_dual_and_b32 v8, 0x7c, v8
	ds_store_b32 v8, v5
.LBB172_8:
	s_or_b32 exec_lo, exec_lo, s1
	v_mov_b32_e32 v5, 0
	s_waitcnt lgkmcnt(0)
	s_barrier
	buffer_gl0_inv
	s_and_saveexec_b32 s0, vcc_lo
	s_cbranch_execz .LBB172_10
; %bb.9:
	ds_load_b32 v5, v1
.LBB172_10:
	s_or_b32 exec_lo, exec_lo, s0
	s_and_saveexec_b32 s0, vcc_lo
	s_cbranch_execz .LBB172_12
; %bb.11:
	s_waitcnt lgkmcnt(0)
	ds_bpermute_b32 v1, v2, v5
	s_waitcnt lgkmcnt(0)
	v_add_f32_e32 v1, v5, v1
	ds_bpermute_b32 v2, v3, v1
	s_waitcnt lgkmcnt(0)
	v_add_f32_e32 v1, v1, v2
	;; [unrolled: 3-line block ×5, first 2 shown]
.LBB172_12:
	s_or_b32 exec_lo, exec_lo, s0
	s_delay_alu instid0(SALU_CYCLE_1)
	s_mov_b32 s0, exec_lo
	v_cmpx_eq_u32_e32 0, v0
	s_cbranch_execz .LBB172_18
; %bb.13:
	s_waitcnt lgkmcnt(0)
	v_and_b32_e32 v0, 0x7f800000, v5
	s_delay_alu instid0(VALU_DEP_1) | instskip(SKIP_1) | instid1(SALU_CYCLE_1)
	v_cmp_ne_u32_e32 vcc_lo, 0x7f800000, v0
                                        ; implicit-def: $vgpr0
	s_and_saveexec_b32 s0, vcc_lo
	s_xor_b32 s0, exec_lo, s0
; %bb.14:
	v_bfe_u32 v0, v5, 16, 1
	s_delay_alu instid0(VALU_DEP_1)
	v_add3_u32 v0, v5, v0, 0x7fff
                                        ; implicit-def: $vgpr5
; %bb.15:
	s_and_not1_saveexec_b32 s0, s0
; %bb.16:
	v_and_b32_e32 v0, 0xffff, v5
	v_or_b32_e32 v1, 0x10000, v5
	s_delay_alu instid0(VALU_DEP_2) | instskip(NEXT) | instid1(VALU_DEP_2)
	v_cmp_eq_u32_e32 vcc_lo, 0, v0
	v_cndmask_b32_e32 v0, v1, v5, vcc_lo
; %bb.17:
	s_or_b32 exec_lo, exec_lo, s0
	s_lshl_b64 s[0:1], s[12:13], 1
	v_mov_b32_e32 v1, 0
	s_add_u32 s0, s2, s0
	s_addc_u32 s1, s3, s1
	global_store_d16_hi_b16 v1, v0, s[0:1]
.LBB172_18:
	s_nop 0
	s_sendmsg sendmsg(MSG_DEALLOC_VGPRS)
	s_endpgm
	.section	.rodata,"a",@progbits
	.p2align	6, 0x0
	.amdhsa_kernel _ZL18rocblas_dot_kernelIlLb1ELi1024ELi32ELb0E16rocblas_bfloat16PKPKS0_fEviT5_lT_lS5_lS6_liPT6_PT4_
		.amdhsa_group_segment_fixed_size 128
		.amdhsa_private_segment_fixed_size 0
		.amdhsa_kernarg_size 352
		.amdhsa_user_sgpr_count 14
		.amdhsa_user_sgpr_dispatch_ptr 0
		.amdhsa_user_sgpr_queue_ptr 0
		.amdhsa_user_sgpr_kernarg_segment_ptr 1
		.amdhsa_user_sgpr_dispatch_id 0
		.amdhsa_user_sgpr_private_segment_size 0
		.amdhsa_wavefront_size32 1
		.amdhsa_uses_dynamic_stack 0
		.amdhsa_enable_private_segment 0
		.amdhsa_system_sgpr_workgroup_id_x 1
		.amdhsa_system_sgpr_workgroup_id_y 0
		.amdhsa_system_sgpr_workgroup_id_z 1
		.amdhsa_system_sgpr_workgroup_info 0
		.amdhsa_system_vgpr_workitem_id 0
		.amdhsa_next_free_vgpr 10
		.amdhsa_next_free_sgpr 25
		.amdhsa_reserve_vcc 1
		.amdhsa_float_round_mode_32 0
		.amdhsa_float_round_mode_16_64 0
		.amdhsa_float_denorm_mode_32 3
		.amdhsa_float_denorm_mode_16_64 3
		.amdhsa_dx10_clamp 1
		.amdhsa_ieee_mode 1
		.amdhsa_fp16_overflow 0
		.amdhsa_workgroup_processor_mode 1
		.amdhsa_memory_ordered 1
		.amdhsa_forward_progress 0
		.amdhsa_shared_vgpr_count 0
		.amdhsa_exception_fp_ieee_invalid_op 0
		.amdhsa_exception_fp_denorm_src 0
		.amdhsa_exception_fp_ieee_div_zero 0
		.amdhsa_exception_fp_ieee_overflow 0
		.amdhsa_exception_fp_ieee_underflow 0
		.amdhsa_exception_fp_ieee_inexact 0
		.amdhsa_exception_int_div_zero 0
	.end_amdhsa_kernel
	.section	.text._ZL18rocblas_dot_kernelIlLb1ELi1024ELi32ELb0E16rocblas_bfloat16PKPKS0_fEviT5_lT_lS5_lS6_liPT6_PT4_,"axG",@progbits,_ZL18rocblas_dot_kernelIlLb1ELi1024ELi32ELb0E16rocblas_bfloat16PKPKS0_fEviT5_lT_lS5_lS6_liPT6_PT4_,comdat
.Lfunc_end172:
	.size	_ZL18rocblas_dot_kernelIlLb1ELi1024ELi32ELb0E16rocblas_bfloat16PKPKS0_fEviT5_lT_lS5_lS6_liPT6_PT4_, .Lfunc_end172-_ZL18rocblas_dot_kernelIlLb1ELi1024ELi32ELb0E16rocblas_bfloat16PKPKS0_fEviT5_lT_lS5_lS6_liPT6_PT4_
                                        ; -- End function
	.section	.AMDGPU.csdata,"",@progbits
; Kernel info:
; codeLenInByte = 1080
; NumSgprs: 27
; NumVgprs: 10
; ScratchSize: 0
; MemoryBound: 0
; FloatMode: 240
; IeeeMode: 1
; LDSByteSize: 128 bytes/workgroup (compile time only)
; SGPRBlocks: 3
; VGPRBlocks: 1
; NumSGPRsForWavesPerEU: 27
; NumVGPRsForWavesPerEU: 10
; Occupancy: 16
; WaveLimiterHint : 0
; COMPUTE_PGM_RSRC2:SCRATCH_EN: 0
; COMPUTE_PGM_RSRC2:USER_SGPR: 14
; COMPUTE_PGM_RSRC2:TRAP_HANDLER: 0
; COMPUTE_PGM_RSRC2:TGID_X_EN: 1
; COMPUTE_PGM_RSRC2:TGID_Y_EN: 0
; COMPUTE_PGM_RSRC2:TGID_Z_EN: 1
; COMPUTE_PGM_RSRC2:TIDIG_COMP_CNT: 0
	.section	.text._ZL24rocblas_dot_kernel_magsqIlLb1ELi1024ELi32ELb0E16rocblas_bfloat16PKPKS0_fEviT5_lT_liPT6_PT4_,"axG",@progbits,_ZL24rocblas_dot_kernel_magsqIlLb1ELi1024ELi32ELb0E16rocblas_bfloat16PKPKS0_fEviT5_lT_liPT6_PT4_,comdat
	.globl	_ZL24rocblas_dot_kernel_magsqIlLb1ELi1024ELi32ELb0E16rocblas_bfloat16PKPKS0_fEviT5_lT_liPT6_PT4_ ; -- Begin function _ZL24rocblas_dot_kernel_magsqIlLb1ELi1024ELi32ELb0E16rocblas_bfloat16PKPKS0_fEviT5_lT_liPT6_PT4_
	.p2align	8
	.type	_ZL24rocblas_dot_kernel_magsqIlLb1ELi1024ELi32ELb0E16rocblas_bfloat16PKPKS0_fEviT5_lT_liPT6_PT4_,@function
_ZL24rocblas_dot_kernel_magsqIlLb1ELi1024ELi32ELb0E16rocblas_bfloat16PKPKS0_fEviT5_lT_liPT6_PT4_: ; @_ZL24rocblas_dot_kernel_magsqIlLb1ELi1024ELi32ELb0E16rocblas_bfloat16PKPKS0_fEviT5_lT_liPT6_PT4_
; %bb.0:
	s_clause 0x1
	s_load_b32 s8, s[0:1], 0x0
	s_load_b64 s[2:3], s[0:1], 0x38
	v_mov_b32_e32 v3, 0
	s_mov_b32 s4, s15
	s_mov_b32 s5, 0
	s_mov_b32 s9, exec_lo
	s_waitcnt lgkmcnt(0)
	v_cmpx_gt_i32_e64 s8, v0
	s_cbranch_execz .LBB173_4
; %bb.1:
	s_clause 0x1
	s_load_b64 s[6:7], s[0:1], 0x8
	s_load_b128 s[12:15], s[0:1], 0x10
	s_lshl_b64 s[10:11], s[4:5], 3
	s_load_b32 s16, s[0:1], 0x40
	s_waitcnt lgkmcnt(0)
	s_add_u32 s0, s6, s10
	v_mad_u64_u32 v[1:2], null, s14, v0, 0
	s_addc_u32 s1, s7, s11
	s_lshl_b64 s[10:11], s[12:13], 1
	s_load_b64 s[6:7], s[0:1], 0x0
	s_lshl_b32 s1, s16, 10
	s_delay_alu instid0(SALU_CYCLE_1) | instskip(NEXT) | instid1(VALU_DEP_1)
	s_mul_hi_u32 s0, s14, s1
	v_mad_u64_u32 v[3:4], null, s15, v0, v[2:3]
	v_or_b32_e32 v4, s1, v0
	s_delay_alu instid0(VALU_DEP_2) | instskip(NEXT) | instid1(VALU_DEP_1)
	v_dual_mov_b32 v2, v3 :: v_dual_mov_b32 v3, 0
	v_lshlrev_b64 v[1:2], 1, v[1:2]
	s_waitcnt lgkmcnt(0)
	s_add_u32 s10, s6, s10
	s_addc_u32 s11, s7, s11
	s_ashr_i32 s6, s1, 31
	s_delay_alu instid0(VALU_DEP_1)
	v_add_co_u32 v1, vcc_lo, s10, v1
	s_mul_i32 s6, s14, s6
	s_mul_i32 s7, s15, s1
	s_add_i32 s0, s0, s6
	v_add_co_ci_u32_e32 v2, vcc_lo, s11, v2, vcc_lo
	s_mul_i32 s6, s14, s1
	s_add_i32 s7, s0, s7
	s_mov_b32 s10, s5
	s_lshl_b64 s[6:7], s[6:7], 1
	s_mov_b32 s11, s5
	.p2align	6
.LBB173_2:                              ; =>This Inner Loop Header: Depth=1
	global_load_u16 v5, v[1:2], off
	s_add_i32 s12, s11, 1
	v_cmp_le_i32_e32 vcc_lo, s8, v4
	v_add_co_u32 v1, s0, v1, s6
	s_cmp_gt_u32 s11, 30
	v_add_co_ci_u32_e64 v2, s0, s7, v2, s0
	s_cselect_b32 s0, -1, 0
	s_mov_b32 s11, s12
	s_or_b32 s0, s0, vcc_lo
	s_delay_alu instid0(SALU_CYCLE_1) | instskip(NEXT) | instid1(SALU_CYCLE_1)
	s_and_b32 s0, exec_lo, s0
	s_or_b32 s10, s0, s10
	s_waitcnt vmcnt(0)
	v_lshlrev_b32_e32 v5, 16, v5
	s_delay_alu instid0(VALU_DEP_1)
	v_dual_fmac_f32 v3, v5, v5 :: v_dual_add_nc_u32 v4, s1, v4
	s_and_not1_b32 exec_lo, exec_lo, s10
	s_cbranch_execnz .LBB173_2
; %bb.3:
	s_or_b32 exec_lo, exec_lo, s10
.LBB173_4:
	s_delay_alu instid0(SALU_CYCLE_1) | instskip(SKIP_2) | instid1(VALU_DEP_2)
	s_or_b32 exec_lo, exec_lo, s9
	v_and_b32_e32 v5, 31, v0
	v_cmp_gt_u32_e32 vcc_lo, 32, v0
	v_lshlrev_b32_e32 v1, 2, v5
	s_and_saveexec_b32 s0, vcc_lo
	s_cbranch_execz .LBB173_6
; %bb.5:
	v_mov_b32_e32 v2, 0
	ds_store_b32 v1, v2
.LBB173_6:
	s_or_b32 exec_lo, exec_lo, s0
	v_mbcnt_lo_u32_b32 v7, -1, 0
	s_mov_b32 s1, exec_lo
	s_waitcnt lgkmcnt(0)
	s_barrier
	buffer_gl0_inv
	v_cmp_gt_u32_e64 s0, 16, v7
	s_delay_alu instid0(VALU_DEP_1) | instskip(SKIP_1) | instid1(VALU_DEP_2)
	v_cndmask_b32_e64 v2, 0, 1, s0
	v_cmp_gt_u32_e64 s0, 24, v7
	v_lshlrev_b32_e32 v2, 4, v2
	s_delay_alu instid0(VALU_DEP_2) | instskip(SKIP_1) | instid1(VALU_DEP_3)
	v_cndmask_b32_e64 v4, 0, 1, s0
	v_cmp_gt_u32_e64 s0, 28, v7
	v_add_lshl_u32 v2, v2, v7, 2
	s_delay_alu instid0(VALU_DEP_3)
	v_lshlrev_b32_e32 v4, 3, v4
	ds_bpermute_b32 v6, v2, v3
	v_add_lshl_u32 v4, v4, v7, 2
	s_waitcnt lgkmcnt(0)
	v_add_f32_e32 v6, v3, v6
	v_cndmask_b32_e64 v3, 0, 1, s0
	v_cmp_gt_u32_e64 s0, 30, v7
	s_delay_alu instid0(VALU_DEP_2)
	v_lshlrev_b32_e32 v3, 2, v3
	ds_bpermute_b32 v8, v4, v6
	v_add_lshl_u32 v3, v3, v7, 2
	s_waitcnt lgkmcnt(0)
	v_add_f32_e32 v8, v6, v8
	v_cndmask_b32_e64 v6, 0, 1, s0
	v_cmp_ne_u32_e64 s0, 31, v7
	s_delay_alu instid0(VALU_DEP_2) | instskip(NEXT) | instid1(VALU_DEP_1)
	v_lshlrev_b32_e32 v6, 1, v6
	v_add_lshl_u32 v6, v6, v7, 2
	s_delay_alu instid0(VALU_DEP_3) | instskip(NEXT) | instid1(VALU_DEP_1)
	v_add_co_ci_u32_e64 v7, s0, 0, v7, s0
	v_lshlrev_b32_e32 v7, 2, v7
	ds_bpermute_b32 v9, v3, v8
	s_waitcnt lgkmcnt(0)
	v_add_f32_e32 v8, v8, v9
	ds_bpermute_b32 v9, v6, v8
	s_waitcnt lgkmcnt(0)
	v_add_f32_e32 v8, v8, v9
	ds_bpermute_b32 v9, v7, v8
	v_cmpx_eq_u32_e32 0, v5
	s_cbranch_execz .LBB173_8
; %bb.7:
	v_lshrrev_b32_e32 v5, 3, v0
	s_waitcnt lgkmcnt(0)
	v_add_f32_e32 v8, v8, v9
	s_delay_alu instid0(VALU_DEP_2)
	v_and_b32_e32 v5, 0x7c, v5
	ds_store_b32 v5, v8
.LBB173_8:
	s_or_b32 exec_lo, exec_lo, s1
	v_mov_b32_e32 v5, 0
	s_waitcnt lgkmcnt(0)
	s_barrier
	buffer_gl0_inv
	s_and_saveexec_b32 s0, vcc_lo
	s_cbranch_execz .LBB173_10
; %bb.9:
	ds_load_b32 v5, v1
.LBB173_10:
	s_or_b32 exec_lo, exec_lo, s0
	s_and_saveexec_b32 s0, vcc_lo
	s_cbranch_execz .LBB173_12
; %bb.11:
	s_waitcnt lgkmcnt(0)
	ds_bpermute_b32 v1, v2, v5
	s_waitcnt lgkmcnt(0)
	v_add_f32_e32 v1, v5, v1
	ds_bpermute_b32 v2, v4, v1
	s_waitcnt lgkmcnt(0)
	v_add_f32_e32 v1, v1, v2
	;; [unrolled: 3-line block ×5, first 2 shown]
.LBB173_12:
	s_or_b32 exec_lo, exec_lo, s0
	s_delay_alu instid0(SALU_CYCLE_1)
	s_mov_b32 s0, exec_lo
	v_cmpx_eq_u32_e32 0, v0
	s_cbranch_execz .LBB173_18
; %bb.13:
	s_waitcnt lgkmcnt(0)
	v_and_b32_e32 v0, 0x7f800000, v5
	s_delay_alu instid0(VALU_DEP_1) | instskip(SKIP_1) | instid1(SALU_CYCLE_1)
	v_cmp_ne_u32_e32 vcc_lo, 0x7f800000, v0
                                        ; implicit-def: $vgpr0
	s_and_saveexec_b32 s0, vcc_lo
	s_xor_b32 s0, exec_lo, s0
; %bb.14:
	v_bfe_u32 v0, v5, 16, 1
	s_delay_alu instid0(VALU_DEP_1)
	v_add3_u32 v0, v5, v0, 0x7fff
                                        ; implicit-def: $vgpr5
; %bb.15:
	s_and_not1_saveexec_b32 s0, s0
; %bb.16:
	v_and_b32_e32 v0, 0xffff, v5
	v_or_b32_e32 v1, 0x10000, v5
	s_delay_alu instid0(VALU_DEP_2) | instskip(NEXT) | instid1(VALU_DEP_2)
	v_cmp_eq_u32_e32 vcc_lo, 0, v0
	v_cndmask_b32_e32 v0, v1, v5, vcc_lo
; %bb.17:
	s_or_b32 exec_lo, exec_lo, s0
	s_lshl_b64 s[0:1], s[4:5], 1
	v_mov_b32_e32 v1, 0
	s_add_u32 s0, s2, s0
	s_addc_u32 s1, s3, s1
	global_store_d16_hi_b16 v1, v0, s[0:1]
.LBB173_18:
	s_nop 0
	s_sendmsg sendmsg(MSG_DEALLOC_VGPRS)
	s_endpgm
	.section	.rodata,"a",@progbits
	.p2align	6, 0x0
	.amdhsa_kernel _ZL24rocblas_dot_kernel_magsqIlLb1ELi1024ELi32ELb0E16rocblas_bfloat16PKPKS0_fEviT5_lT_liPT6_PT4_
		.amdhsa_group_segment_fixed_size 128
		.amdhsa_private_segment_fixed_size 0
		.amdhsa_kernarg_size 320
		.amdhsa_user_sgpr_count 14
		.amdhsa_user_sgpr_dispatch_ptr 0
		.amdhsa_user_sgpr_queue_ptr 0
		.amdhsa_user_sgpr_kernarg_segment_ptr 1
		.amdhsa_user_sgpr_dispatch_id 0
		.amdhsa_user_sgpr_private_segment_size 0
		.amdhsa_wavefront_size32 1
		.amdhsa_uses_dynamic_stack 0
		.amdhsa_enable_private_segment 0
		.amdhsa_system_sgpr_workgroup_id_x 1
		.amdhsa_system_sgpr_workgroup_id_y 0
		.amdhsa_system_sgpr_workgroup_id_z 1
		.amdhsa_system_sgpr_workgroup_info 0
		.amdhsa_system_vgpr_workitem_id 0
		.amdhsa_next_free_vgpr 10
		.amdhsa_next_free_sgpr 17
		.amdhsa_reserve_vcc 1
		.amdhsa_float_round_mode_32 0
		.amdhsa_float_round_mode_16_64 0
		.amdhsa_float_denorm_mode_32 3
		.amdhsa_float_denorm_mode_16_64 3
		.amdhsa_dx10_clamp 1
		.amdhsa_ieee_mode 1
		.amdhsa_fp16_overflow 0
		.amdhsa_workgroup_processor_mode 1
		.amdhsa_memory_ordered 1
		.amdhsa_forward_progress 0
		.amdhsa_shared_vgpr_count 0
		.amdhsa_exception_fp_ieee_invalid_op 0
		.amdhsa_exception_fp_denorm_src 0
		.amdhsa_exception_fp_ieee_div_zero 0
		.amdhsa_exception_fp_ieee_overflow 0
		.amdhsa_exception_fp_ieee_underflow 0
		.amdhsa_exception_fp_ieee_inexact 0
		.amdhsa_exception_int_div_zero 0
	.end_amdhsa_kernel
	.section	.text._ZL24rocblas_dot_kernel_magsqIlLb1ELi1024ELi32ELb0E16rocblas_bfloat16PKPKS0_fEviT5_lT_liPT6_PT4_,"axG",@progbits,_ZL24rocblas_dot_kernel_magsqIlLb1ELi1024ELi32ELb0E16rocblas_bfloat16PKPKS0_fEviT5_lT_liPT6_PT4_,comdat
.Lfunc_end173:
	.size	_ZL24rocblas_dot_kernel_magsqIlLb1ELi1024ELi32ELb0E16rocblas_bfloat16PKPKS0_fEviT5_lT_liPT6_PT4_, .Lfunc_end173-_ZL24rocblas_dot_kernel_magsqIlLb1ELi1024ELi32ELb0E16rocblas_bfloat16PKPKS0_fEviT5_lT_liPT6_PT4_
                                        ; -- End function
	.section	.AMDGPU.csdata,"",@progbits
; Kernel info:
; codeLenInByte = 940
; NumSgprs: 19
; NumVgprs: 10
; ScratchSize: 0
; MemoryBound: 0
; FloatMode: 240
; IeeeMode: 1
; LDSByteSize: 128 bytes/workgroup (compile time only)
; SGPRBlocks: 2
; VGPRBlocks: 1
; NumSGPRsForWavesPerEU: 19
; NumVGPRsForWavesPerEU: 10
; Occupancy: 16
; WaveLimiterHint : 0
; COMPUTE_PGM_RSRC2:SCRATCH_EN: 0
; COMPUTE_PGM_RSRC2:USER_SGPR: 14
; COMPUTE_PGM_RSRC2:TRAP_HANDLER: 0
; COMPUTE_PGM_RSRC2:TGID_X_EN: 1
; COMPUTE_PGM_RSRC2:TGID_Y_EN: 0
; COMPUTE_PGM_RSRC2:TGID_Z_EN: 1
; COMPUTE_PGM_RSRC2:TIDIG_COMP_CNT: 0
	.section	.text._ZL38rocblas_dot_kernel_gfx942_float_doubleIlLi1024E16rocblas_bfloat16PKPKS0_fEviT2_lT_lS5_lS6_lPT3_PT1_,"axG",@progbits,_ZL38rocblas_dot_kernel_gfx942_float_doubleIlLi1024E16rocblas_bfloat16PKPKS0_fEviT2_lT_lS5_lS6_lPT3_PT1_,comdat
	.globl	_ZL38rocblas_dot_kernel_gfx942_float_doubleIlLi1024E16rocblas_bfloat16PKPKS0_fEviT2_lT_lS5_lS6_lPT3_PT1_ ; -- Begin function _ZL38rocblas_dot_kernel_gfx942_float_doubleIlLi1024E16rocblas_bfloat16PKPKS0_fEviT2_lT_lS5_lS6_lPT3_PT1_
	.p2align	8
	.type	_ZL38rocblas_dot_kernel_gfx942_float_doubleIlLi1024E16rocblas_bfloat16PKPKS0_fEviT2_lT_lS5_lS6_lPT3_PT1_,@function
_ZL38rocblas_dot_kernel_gfx942_float_doubleIlLi1024E16rocblas_bfloat16PKPKS0_fEviT2_lT_lS5_lS6_lPT3_PT1_: ; @_ZL38rocblas_dot_kernel_gfx942_float_doubleIlLi1024E16rocblas_bfloat16PKPKS0_fEviT2_lT_lS5_lS6_lPT3_PT1_
; %bb.0:
	s_endpgm
	.section	.rodata,"a",@progbits
	.p2align	6, 0x0
	.amdhsa_kernel _ZL38rocblas_dot_kernel_gfx942_float_doubleIlLi1024E16rocblas_bfloat16PKPKS0_fEviT2_lT_lS5_lS6_lPT3_PT1_
		.amdhsa_group_segment_fixed_size 0
		.amdhsa_private_segment_fixed_size 0
		.amdhsa_kernarg_size 88
		.amdhsa_user_sgpr_count 15
		.amdhsa_user_sgpr_dispatch_ptr 0
		.amdhsa_user_sgpr_queue_ptr 0
		.amdhsa_user_sgpr_kernarg_segment_ptr 1
		.amdhsa_user_sgpr_dispatch_id 0
		.amdhsa_user_sgpr_private_segment_size 0
		.amdhsa_wavefront_size32 1
		.amdhsa_uses_dynamic_stack 0
		.amdhsa_enable_private_segment 0
		.amdhsa_system_sgpr_workgroup_id_x 1
		.amdhsa_system_sgpr_workgroup_id_y 0
		.amdhsa_system_sgpr_workgroup_id_z 0
		.amdhsa_system_sgpr_workgroup_info 0
		.amdhsa_system_vgpr_workitem_id 0
		.amdhsa_next_free_vgpr 1
		.amdhsa_next_free_sgpr 1
		.amdhsa_reserve_vcc 0
		.amdhsa_float_round_mode_32 0
		.amdhsa_float_round_mode_16_64 0
		.amdhsa_float_denorm_mode_32 3
		.amdhsa_float_denorm_mode_16_64 3
		.amdhsa_dx10_clamp 1
		.amdhsa_ieee_mode 1
		.amdhsa_fp16_overflow 0
		.amdhsa_workgroup_processor_mode 1
		.amdhsa_memory_ordered 1
		.amdhsa_forward_progress 0
		.amdhsa_shared_vgpr_count 0
		.amdhsa_exception_fp_ieee_invalid_op 0
		.amdhsa_exception_fp_denorm_src 0
		.amdhsa_exception_fp_ieee_div_zero 0
		.amdhsa_exception_fp_ieee_overflow 0
		.amdhsa_exception_fp_ieee_underflow 0
		.amdhsa_exception_fp_ieee_inexact 0
		.amdhsa_exception_int_div_zero 0
	.end_amdhsa_kernel
	.section	.text._ZL38rocblas_dot_kernel_gfx942_float_doubleIlLi1024E16rocblas_bfloat16PKPKS0_fEviT2_lT_lS5_lS6_lPT3_PT1_,"axG",@progbits,_ZL38rocblas_dot_kernel_gfx942_float_doubleIlLi1024E16rocblas_bfloat16PKPKS0_fEviT2_lT_lS5_lS6_lPT3_PT1_,comdat
.Lfunc_end174:
	.size	_ZL38rocblas_dot_kernel_gfx942_float_doubleIlLi1024E16rocblas_bfloat16PKPKS0_fEviT2_lT_lS5_lS6_lPT3_PT1_, .Lfunc_end174-_ZL38rocblas_dot_kernel_gfx942_float_doubleIlLi1024E16rocblas_bfloat16PKPKS0_fEviT2_lT_lS5_lS6_lPT3_PT1_
                                        ; -- End function
	.section	.AMDGPU.csdata,"",@progbits
; Kernel info:
; codeLenInByte = 4
; NumSgprs: 0
; NumVgprs: 0
; ScratchSize: 0
; MemoryBound: 0
; FloatMode: 240
; IeeeMode: 1
; LDSByteSize: 0 bytes/workgroup (compile time only)
; SGPRBlocks: 0
; VGPRBlocks: 0
; NumSGPRsForWavesPerEU: 1
; NumVGPRsForWavesPerEU: 1
; Occupancy: 16
; WaveLimiterHint : 0
; COMPUTE_PGM_RSRC2:SCRATCH_EN: 0
; COMPUTE_PGM_RSRC2:USER_SGPR: 15
; COMPUTE_PGM_RSRC2:TRAP_HANDLER: 0
; COMPUTE_PGM_RSRC2:TGID_X_EN: 1
; COMPUTE_PGM_RSRC2:TGID_Y_EN: 0
; COMPUTE_PGM_RSRC2:TGID_Z_EN: 0
; COMPUTE_PGM_RSRC2:TIDIG_COMP_CNT: 0
	.section	.text._ZL18rocblas_dot_kernelIlLb0ELi512ELi8ELb0E16rocblas_bfloat16PKPKS0_fEviT5_lT_lS5_lS6_liPT6_PT4_,"axG",@progbits,_ZL18rocblas_dot_kernelIlLb0ELi512ELi8ELb0E16rocblas_bfloat16PKPKS0_fEviT5_lT_lS5_lS6_liPT6_PT4_,comdat
	.globl	_ZL18rocblas_dot_kernelIlLb0ELi512ELi8ELb0E16rocblas_bfloat16PKPKS0_fEviT5_lT_lS5_lS6_liPT6_PT4_ ; -- Begin function _ZL18rocblas_dot_kernelIlLb0ELi512ELi8ELb0E16rocblas_bfloat16PKPKS0_fEviT5_lT_lS5_lS6_liPT6_PT4_
	.p2align	8
	.type	_ZL18rocblas_dot_kernelIlLb0ELi512ELi8ELb0E16rocblas_bfloat16PKPKS0_fEviT5_lT_lS5_lS6_liPT6_PT4_,@function
_ZL18rocblas_dot_kernelIlLb0ELi512ELi8ELb0E16rocblas_bfloat16PKPKS0_fEviT5_lT_lS5_lS6_liPT6_PT4_: ; @_ZL18rocblas_dot_kernelIlLb0ELi512ELi8ELb0E16rocblas_bfloat16PKPKS0_fEviT5_lT_lS5_lS6_liPT6_PT4_
; %bb.0:
	s_clause 0x2
	s_load_b32 s12, s[0:1], 0x60
	s_load_b32 s13, s[0:1], 0x0
	s_load_b128 s[4:7], s[0:1], 0x50
	v_lshl_or_b32 v1, s14, 9, v0
	v_mov_b32_e32 v5, 0
	s_mov_b32 s2, s15
	s_mov_b32 s3, 0
	s_mov_b32 s15, exec_lo
	s_waitcnt lgkmcnt(0)
	v_cmpx_gt_i32_e64 s13, v1
	s_cbranch_execz .LBB175_4
; %bb.1:
	s_clause 0x3
	s_load_b64 s[20:21], s[0:1], 0x8
	s_load_b128 s[16:19], s[0:1], 0x10
	s_load_b128 s[8:11], s[0:1], 0x30
	s_load_b64 s[0:1], s[0:1], 0x28
	s_lshl_b64 s[22:23], s[2:3], 3
	v_ashrrev_i32_e32 v4, 31, v1
	s_waitcnt lgkmcnt(0)
	s_add_u32 s20, s20, s22
	s_addc_u32 s21, s21, s23
	v_mul_lo_u32 v9, s19, v1
	s_load_b64 s[20:21], s[20:21], 0x0
	s_add_u32 s22, s0, s22
	s_addc_u32 s23, s1, s23
	v_mul_lo_u32 v10, s18, v4
	v_mad_u64_u32 v[2:3], null, s18, v1, 0
	s_load_b64 s[22:23], s[22:23], 0x0
	v_mul_lo_u32 v11, s11, v1
	v_mul_lo_u32 v4, s10, v4
	v_mad_u64_u32 v[7:8], null, s10, v1, 0
	s_lshl_b64 s[16:17], s[16:17], 1
	s_delay_alu instid0(VALU_DEP_4) | instskip(SKIP_1) | instid1(SALU_CYCLE_1)
	v_add3_u32 v3, v3, v10, v9
	s_lshl_b32 s1, s12, 9
	v_dual_mov_b32 v5, 0 :: v_dual_add_nc_u32 v6, s1, v1
	s_mul_hi_u32 s0, s18, s1
	s_delay_alu instid0(VALU_DEP_3)
	v_add3_u32 v8, v8, v4, v11
	v_lshlrev_b64 v[1:2], 1, v[2:3]
	s_mul_i32 s19, s19, s1
	s_waitcnt lgkmcnt(0)
	s_add_u32 s20, s20, s16
	s_addc_u32 s21, s21, s17
	s_ashr_i32 s28, s1, 31
	v_lshlrev_b64 v[3:4], 1, v[7:8]
	s_mul_i32 s16, s18, s28
	s_mul_i32 s24, s18, s1
	s_add_i32 s0, s0, s16
	s_lshl_b64 s[16:17], s[8:9], 1
	s_add_i32 s25, s0, s19
	v_add_co_u32 v1, vcc_lo, s20, v1
	s_lshl_b64 s[8:9], s[24:25], 1
	s_mul_hi_u32 s27, s10, s1
	s_mul_i32 s26, s10, s1
	s_mul_i32 s0, s10, s28
	s_add_u32 s10, s22, s16
	v_add_co_ci_u32_e32 v2, vcc_lo, s21, v2, vcc_lo
	s_addc_u32 s16, s23, s17
	v_add_co_u32 v3, vcc_lo, s10, v3
	s_mul_i32 s11, s11, s1
	s_add_i32 s0, s27, s0
	v_add_co_ci_u32_e32 v4, vcc_lo, s16, v4, vcc_lo
	s_add_i32 s27, s0, s11
	s_mov_b32 s16, s3
	s_lshl_b64 s[10:11], s[26:27], 1
	s_mov_b32 s17, s3
	.p2align	6
.LBB175_2:                              ; =>This Inner Loop Header: Depth=1
	global_load_u16 v7, v[1:2], off
	global_load_u16 v8, v[3:4], off
	v_add_co_u32 v1, s0, v1, s8
	s_delay_alu instid0(VALU_DEP_1)
	v_add_co_ci_u32_e64 v2, s0, s9, v2, s0
	s_add_i32 s18, s17, 1
	v_cmp_le_i32_e32 vcc_lo, s13, v6
	v_add_co_u32 v3, s0, v3, s10
	s_cmp_gt_u32 s17, 6
	v_add_co_ci_u32_e64 v4, s0, s11, v4, s0
	s_cselect_b32 s0, -1, 0
	s_mov_b32 s17, s18
	s_or_b32 s0, s0, vcc_lo
	s_delay_alu instid0(SALU_CYCLE_1) | instskip(NEXT) | instid1(SALU_CYCLE_1)
	s_and_b32 s0, exec_lo, s0
	s_or_b32 s16, s0, s16
	s_waitcnt vmcnt(1)
	v_lshlrev_b32_e32 v7, 16, v7
	s_waitcnt vmcnt(0)
	v_lshlrev_b32_e32 v8, 16, v8
	s_delay_alu instid0(VALU_DEP_1)
	v_dual_fmac_f32 v5, v8, v7 :: v_dual_add_nc_u32 v6, s1, v6
	s_and_not1_b32 exec_lo, exec_lo, s16
	s_cbranch_execnz .LBB175_2
; %bb.3:
	s_or_b32 exec_lo, exec_lo, s16
.LBB175_4:
	s_delay_alu instid0(SALU_CYCLE_1) | instskip(SKIP_2) | instid1(VALU_DEP_2)
	s_or_b32 exec_lo, exec_lo, s15
	v_and_b32_e32 v1, 31, v0
	v_cmp_gt_u32_e32 vcc_lo, 32, v0
	v_lshlrev_b32_e32 v2, 2, v1
	s_and_saveexec_b32 s0, vcc_lo
	s_cbranch_execz .LBB175_6
; %bb.5:
	v_mov_b32_e32 v3, 0
	ds_store_b32 v2, v3
.LBB175_6:
	s_or_b32 exec_lo, exec_lo, s0
	v_mbcnt_lo_u32_b32 v6, -1, 0
	s_mov_b32 s1, exec_lo
	s_waitcnt lgkmcnt(0)
	s_barrier
	buffer_gl0_inv
	v_cmp_gt_u32_e64 s0, 16, v6
	s_delay_alu instid0(VALU_DEP_1) | instskip(SKIP_1) | instid1(VALU_DEP_2)
	v_cndmask_b32_e64 v3, 0, 1, s0
	v_cmp_gt_u32_e64 s0, 24, v6
	v_lshlrev_b32_e32 v3, 4, v3
	s_delay_alu instid0(VALU_DEP_1) | instskip(SKIP_3) | instid1(VALU_DEP_2)
	v_add_lshl_u32 v3, v3, v6, 2
	ds_bpermute_b32 v4, v3, v5
	v_cndmask_b32_e64 v3, 0, 1, s0
	v_cmp_gt_u32_e64 s0, 28, v6
	v_lshlrev_b32_e32 v3, 3, v3
	s_delay_alu instid0(VALU_DEP_1)
	v_add_lshl_u32 v3, v3, v6, 2
	s_waitcnt lgkmcnt(0)
	v_add_f32_e32 v5, v5, v4
	v_cndmask_b32_e64 v4, 0, 1, s0
	v_cmp_gt_u32_e64 s0, 30, v6
	ds_bpermute_b32 v7, v3, v5
	s_waitcnt lgkmcnt(0)
	v_dual_add_f32 v7, v5, v7 :: v_dual_lshlrev_b32 v4, 2, v4
	s_delay_alu instid0(VALU_DEP_1) | instskip(SKIP_4) | instid1(VALU_DEP_1)
	v_add_lshl_u32 v4, v4, v6, 2
	v_cndmask_b32_e64 v5, 0, 1, s0
	v_cmp_ne_u32_e64 s0, 31, v6
	ds_bpermute_b32 v8, v4, v7
	v_lshlrev_b32_e32 v5, 1, v5
	v_add_lshl_u32 v5, v5, v6, 2
	v_add_co_ci_u32_e64 v6, s0, 0, v6, s0
	s_waitcnt lgkmcnt(0)
	s_delay_alu instid0(VALU_DEP_1)
	v_dual_add_f32 v7, v7, v8 :: v_dual_lshlrev_b32 v6, 2, v6
	ds_bpermute_b32 v8, v5, v7
	s_waitcnt lgkmcnt(0)
	v_add_f32_e32 v7, v7, v8
	ds_bpermute_b32 v8, v6, v7
	v_cmpx_eq_u32_e32 0, v1
	s_cbranch_execz .LBB175_8
; %bb.7:
	v_lshrrev_b32_e32 v1, 3, v0
	s_waitcnt lgkmcnt(0)
	v_add_f32_e32 v7, v7, v8
	s_delay_alu instid0(VALU_DEP_2)
	v_and_b32_e32 v1, 60, v1
	ds_store_b32 v1, v7
.LBB175_8:
	s_or_b32 exec_lo, exec_lo, s1
	v_mov_b32_e32 v1, 0
	s_mov_b32 s1, exec_lo
	s_waitcnt lgkmcnt(0)
	s_barrier
	buffer_gl0_inv
	v_cmpx_gt_u32_e32 16, v0
	s_cbranch_execz .LBB175_10
; %bb.9:
	ds_load_b32 v1, v2
.LBB175_10:
	s_or_b32 exec_lo, exec_lo, s1
	s_and_saveexec_b32 s0, vcc_lo
	s_cbranch_execz .LBB175_12
; %bb.11:
	s_waitcnt lgkmcnt(0)
	ds_bpermute_b32 v2, v3, v1
	s_waitcnt lgkmcnt(0)
	v_add_f32_e32 v1, v1, v2
	ds_bpermute_b32 v2, v4, v1
	s_waitcnt lgkmcnt(0)
	v_add_f32_e32 v1, v1, v2
	;; [unrolled: 3-line block ×4, first 2 shown]
.LBB175_12:
	s_or_b32 exec_lo, exec_lo, s0
	s_delay_alu instid0(SALU_CYCLE_1)
	s_mov_b32 s0, exec_lo
	v_cmpx_eq_u32_e32 0, v0
	s_cbranch_execz .LBB175_21
; %bb.13:
	s_cmp_lg_u32 s12, 1
	s_mov_b32 s15, -1
	s_cbranch_scc0 .LBB175_15
; %bb.14:
	s_mul_hi_u32 s1, s12, s2
	s_mul_i32 s0, s12, s2
	s_mov_b32 s15, 0
	s_lshl_b64 s[0:1], s[0:1], 2
	v_mov_b32_e32 v0, 0
	s_add_u32 s4, s4, s0
	s_addc_u32 s5, s5, s1
	s_lshl_b64 s[0:1], s[14:15], 2
	s_delay_alu instid0(SALU_CYCLE_1)
	s_add_u32 s0, s4, s0
	s_addc_u32 s1, s5, s1
	s_waitcnt lgkmcnt(0)
	global_store_b32 v0, v1, s[0:1]
.LBB175_15:
	s_and_not1_b32 vcc_lo, exec_lo, s15
	s_cbranch_vccnz .LBB175_21
; %bb.16:
	s_waitcnt lgkmcnt(0)
	v_and_b32_e32 v0, 0x7f800000, v1
	s_delay_alu instid0(VALU_DEP_1) | instskip(SKIP_1) | instid1(SALU_CYCLE_1)
	v_cmp_ne_u32_e32 vcc_lo, 0x7f800000, v0
                                        ; implicit-def: $vgpr0
	s_and_saveexec_b32 s0, vcc_lo
	s_xor_b32 s0, exec_lo, s0
; %bb.17:
	v_bfe_u32 v0, v1, 16, 1
	s_delay_alu instid0(VALU_DEP_1)
	v_add3_u32 v0, v1, v0, 0x7fff
                                        ; implicit-def: $vgpr1
; %bb.18:
	s_and_not1_saveexec_b32 s0, s0
; %bb.19:
	v_and_b32_e32 v0, 0xffff, v1
	v_or_b32_e32 v2, 0x10000, v1
	s_delay_alu instid0(VALU_DEP_2) | instskip(NEXT) | instid1(VALU_DEP_2)
	v_cmp_eq_u32_e32 vcc_lo, 0, v0
	v_cndmask_b32_e32 v0, v2, v1, vcc_lo
; %bb.20:
	s_or_b32 exec_lo, exec_lo, s0
	s_lshl_b64 s[0:1], s[2:3], 1
	v_mov_b32_e32 v1, 0
	s_add_u32 s0, s6, s0
	s_addc_u32 s1, s7, s1
	global_store_d16_hi_b16 v1, v0, s[0:1]
.LBB175_21:
	s_nop 0
	s_sendmsg sendmsg(MSG_DEALLOC_VGPRS)
	s_endpgm
	.section	.rodata,"a",@progbits
	.p2align	6, 0x0
	.amdhsa_kernel _ZL18rocblas_dot_kernelIlLb0ELi512ELi8ELb0E16rocblas_bfloat16PKPKS0_fEviT5_lT_lS5_lS6_liPT6_PT4_
		.amdhsa_group_segment_fixed_size 128
		.amdhsa_private_segment_fixed_size 0
		.amdhsa_kernarg_size 352
		.amdhsa_user_sgpr_count 14
		.amdhsa_user_sgpr_dispatch_ptr 0
		.amdhsa_user_sgpr_queue_ptr 0
		.amdhsa_user_sgpr_kernarg_segment_ptr 1
		.amdhsa_user_sgpr_dispatch_id 0
		.amdhsa_user_sgpr_private_segment_size 0
		.amdhsa_wavefront_size32 1
		.amdhsa_uses_dynamic_stack 0
		.amdhsa_enable_private_segment 0
		.amdhsa_system_sgpr_workgroup_id_x 1
		.amdhsa_system_sgpr_workgroup_id_y 0
		.amdhsa_system_sgpr_workgroup_id_z 1
		.amdhsa_system_sgpr_workgroup_info 0
		.amdhsa_system_vgpr_workitem_id 0
		.amdhsa_next_free_vgpr 12
		.amdhsa_next_free_sgpr 29
		.amdhsa_reserve_vcc 1
		.amdhsa_float_round_mode_32 0
		.amdhsa_float_round_mode_16_64 0
		.amdhsa_float_denorm_mode_32 3
		.amdhsa_float_denorm_mode_16_64 3
		.amdhsa_dx10_clamp 1
		.amdhsa_ieee_mode 1
		.amdhsa_fp16_overflow 0
		.amdhsa_workgroup_processor_mode 1
		.amdhsa_memory_ordered 1
		.amdhsa_forward_progress 0
		.amdhsa_shared_vgpr_count 0
		.amdhsa_exception_fp_ieee_invalid_op 0
		.amdhsa_exception_fp_denorm_src 0
		.amdhsa_exception_fp_ieee_div_zero 0
		.amdhsa_exception_fp_ieee_overflow 0
		.amdhsa_exception_fp_ieee_underflow 0
		.amdhsa_exception_fp_ieee_inexact 0
		.amdhsa_exception_int_div_zero 0
	.end_amdhsa_kernel
	.section	.text._ZL18rocblas_dot_kernelIlLb0ELi512ELi8ELb0E16rocblas_bfloat16PKPKS0_fEviT5_lT_lS5_lS6_liPT6_PT4_,"axG",@progbits,_ZL18rocblas_dot_kernelIlLb0ELi512ELi8ELb0E16rocblas_bfloat16PKPKS0_fEviT5_lT_lS5_lS6_liPT6_PT4_,comdat
.Lfunc_end175:
	.size	_ZL18rocblas_dot_kernelIlLb0ELi512ELi8ELb0E16rocblas_bfloat16PKPKS0_fEviT5_lT_lS5_lS6_liPT6_PT4_, .Lfunc_end175-_ZL18rocblas_dot_kernelIlLb0ELi512ELi8ELb0E16rocblas_bfloat16PKPKS0_fEviT5_lT_lS5_lS6_liPT6_PT4_
                                        ; -- End function
	.section	.AMDGPU.csdata,"",@progbits
; Kernel info:
; codeLenInByte = 1176
; NumSgprs: 31
; NumVgprs: 12
; ScratchSize: 0
; MemoryBound: 0
; FloatMode: 240
; IeeeMode: 1
; LDSByteSize: 128 bytes/workgroup (compile time only)
; SGPRBlocks: 3
; VGPRBlocks: 1
; NumSGPRsForWavesPerEU: 31
; NumVGPRsForWavesPerEU: 12
; Occupancy: 16
; WaveLimiterHint : 0
; COMPUTE_PGM_RSRC2:SCRATCH_EN: 0
; COMPUTE_PGM_RSRC2:USER_SGPR: 14
; COMPUTE_PGM_RSRC2:TRAP_HANDLER: 0
; COMPUTE_PGM_RSRC2:TGID_X_EN: 1
; COMPUTE_PGM_RSRC2:TGID_Y_EN: 0
; COMPUTE_PGM_RSRC2:TGID_Z_EN: 1
; COMPUTE_PGM_RSRC2:TIDIG_COMP_CNT: 0
	.section	.text._ZL24rocblas_dot_kernel_magsqIlLb0ELi512ELi8ELb0E16rocblas_bfloat16PKPKS0_fEviT5_lT_liPT6_PT4_,"axG",@progbits,_ZL24rocblas_dot_kernel_magsqIlLb0ELi512ELi8ELb0E16rocblas_bfloat16PKPKS0_fEviT5_lT_liPT6_PT4_,comdat
	.globl	_ZL24rocblas_dot_kernel_magsqIlLb0ELi512ELi8ELb0E16rocblas_bfloat16PKPKS0_fEviT5_lT_liPT6_PT4_ ; -- Begin function _ZL24rocblas_dot_kernel_magsqIlLb0ELi512ELi8ELb0E16rocblas_bfloat16PKPKS0_fEviT5_lT_liPT6_PT4_
	.p2align	8
	.type	_ZL24rocblas_dot_kernel_magsqIlLb0ELi512ELi8ELb0E16rocblas_bfloat16PKPKS0_fEviT5_lT_liPT6_PT4_,@function
_ZL24rocblas_dot_kernel_magsqIlLb0ELi512ELi8ELb0E16rocblas_bfloat16PKPKS0_fEviT5_lT_liPT6_PT4_: ; @_ZL24rocblas_dot_kernel_magsqIlLb0ELi512ELi8ELb0E16rocblas_bfloat16PKPKS0_fEviT5_lT_liPT6_PT4_
; %bb.0:
	s_clause 0x2
	s_load_b32 s11, s[0:1], 0x0
	s_load_b128 s[4:7], s[0:1], 0x30
	s_load_b32 s10, s[0:1], 0x40
	v_lshl_or_b32 v1, s14, 9, v0
	v_mov_b32_e32 v3, 0
	s_mov_b32 s8, s15
	s_mov_b32 s9, 0
	s_mov_b32 s12, exec_lo
	s_waitcnt lgkmcnt(0)
	v_cmpx_gt_i32_e64 s11, v1
	s_cbranch_execz .LBB176_4
; %bb.1:
	s_clause 0x1
	s_load_b64 s[16:17], s[0:1], 0x8
	s_load_b128 s[0:3], s[0:1], 0x10
	s_lshl_b64 s[18:19], s[8:9], 3
	v_ashrrev_i32_e32 v2, 31, v1
	s_waitcnt lgkmcnt(0)
	s_add_u32 s16, s16, s18
	s_addc_u32 s17, s17, s19
	v_mul_lo_u32 v4, s3, v1
	s_load_b64 s[16:17], s[16:17], 0x0
	v_mul_lo_u32 v2, s2, v2
	v_mad_u64_u32 v[5:6], null, s2, v1, 0
	s_lshl_b32 s13, s10, 9
	v_mov_b32_e32 v3, 0
	s_lshl_b64 s[0:1], s[0:1], 1
	s_mul_hi_u32 s15, s2, s13
	s_mul_i32 s3, s3, s13
	s_delay_alu instid0(VALU_DEP_2) | instskip(SKIP_1) | instid1(VALU_DEP_2)
	v_add3_u32 v6, v6, v2, v4
	v_add_nc_u32_e32 v4, s13, v1
	v_lshlrev_b64 v[1:2], 1, v[5:6]
	s_waitcnt lgkmcnt(0)
	s_add_u32 s0, s16, s0
	s_addc_u32 s1, s17, s1
	s_ashr_i32 s16, s13, 31
	s_delay_alu instid0(VALU_DEP_1)
	v_add_co_u32 v1, vcc_lo, s0, v1
	s_mul_i32 s16, s2, s16
	v_add_co_ci_u32_e32 v2, vcc_lo, s1, v2, vcc_lo
	s_add_i32 s15, s15, s16
	s_mul_i32 s2, s2, s13
	s_add_i32 s3, s15, s3
	s_mov_b32 s1, s9
	s_lshl_b64 s[2:3], s[2:3], 1
	s_mov_b32 s15, s9
	.p2align	6
.LBB176_2:                              ; =>This Inner Loop Header: Depth=1
	global_load_u16 v5, v[1:2], off
	s_add_i32 s16, s15, 1
	v_cmp_le_i32_e32 vcc_lo, s11, v4
	v_add_co_u32 v1, s0, v1, s2
	s_cmp_gt_u32 s15, 6
	v_add_co_ci_u32_e64 v2, s0, s3, v2, s0
	s_cselect_b32 s0, -1, 0
	s_mov_b32 s15, s16
	s_or_b32 s0, s0, vcc_lo
	s_delay_alu instid0(SALU_CYCLE_1) | instskip(NEXT) | instid1(SALU_CYCLE_1)
	s_and_b32 s0, exec_lo, s0
	s_or_b32 s1, s0, s1
	s_waitcnt vmcnt(0)
	v_lshlrev_b32_e32 v5, 16, v5
	s_delay_alu instid0(VALU_DEP_1)
	v_dual_fmac_f32 v3, v5, v5 :: v_dual_add_nc_u32 v4, s13, v4
	s_and_not1_b32 exec_lo, exec_lo, s1
	s_cbranch_execnz .LBB176_2
; %bb.3:
	s_or_b32 exec_lo, exec_lo, s1
.LBB176_4:
	s_delay_alu instid0(SALU_CYCLE_1) | instskip(SKIP_2) | instid1(VALU_DEP_2)
	s_or_b32 exec_lo, exec_lo, s12
	v_and_b32_e32 v1, 31, v0
	v_cmp_gt_u32_e32 vcc_lo, 32, v0
	v_lshlrev_b32_e32 v2, 2, v1
	s_and_saveexec_b32 s0, vcc_lo
	s_cbranch_execz .LBB176_6
; %bb.5:
	v_mov_b32_e32 v4, 0
	ds_store_b32 v2, v4
.LBB176_6:
	s_or_b32 exec_lo, exec_lo, s0
	v_mbcnt_lo_u32_b32 v6, -1, 0
	s_mov_b32 s1, exec_lo
	s_waitcnt lgkmcnt(0)
	s_barrier
	buffer_gl0_inv
	v_cmp_gt_u32_e64 s0, 16, v6
	s_delay_alu instid0(VALU_DEP_1) | instskip(SKIP_1) | instid1(VALU_DEP_2)
	v_cndmask_b32_e64 v4, 0, 1, s0
	v_cmp_gt_u32_e64 s0, 24, v6
	v_lshlrev_b32_e32 v4, 4, v4
	s_delay_alu instid0(VALU_DEP_1) | instskip(SKIP_4) | instid1(VALU_DEP_2)
	v_add_lshl_u32 v4, v4, v6, 2
	ds_bpermute_b32 v5, v4, v3
	v_cndmask_b32_e64 v4, 0, 1, s0
	v_cmp_gt_u32_e64 s0, 28, v6
	s_waitcnt lgkmcnt(0)
	v_dual_add_f32 v5, v3, v5 :: v_dual_lshlrev_b32 v4, 3, v4
	s_delay_alu instid0(VALU_DEP_2) | instskip(SKIP_1) | instid1(VALU_DEP_3)
	v_cndmask_b32_e64 v3, 0, 1, s0
	v_cmp_gt_u32_e64 s0, 30, v6
	v_add_lshl_u32 v4, v4, v6, 2
	s_delay_alu instid0(VALU_DEP_3)
	v_lshlrev_b32_e32 v3, 2, v3
	ds_bpermute_b32 v7, v4, v5
	v_add_lshl_u32 v3, v3, v6, 2
	s_waitcnt lgkmcnt(0)
	v_add_f32_e32 v7, v5, v7
	v_cndmask_b32_e64 v5, 0, 1, s0
	v_cmp_ne_u32_e64 s0, 31, v6
	ds_bpermute_b32 v8, v3, v7
	v_lshlrev_b32_e32 v5, 1, v5
	s_delay_alu instid0(VALU_DEP_1) | instskip(SKIP_2) | instid1(VALU_DEP_1)
	v_add_lshl_u32 v5, v5, v6, 2
	v_add_co_ci_u32_e64 v6, s0, 0, v6, s0
	s_waitcnt lgkmcnt(0)
	v_dual_add_f32 v7, v7, v8 :: v_dual_lshlrev_b32 v6, 2, v6
	ds_bpermute_b32 v8, v5, v7
	s_waitcnt lgkmcnt(0)
	v_add_f32_e32 v7, v7, v8
	ds_bpermute_b32 v8, v6, v7
	v_cmpx_eq_u32_e32 0, v1
	s_cbranch_execz .LBB176_8
; %bb.7:
	v_lshrrev_b32_e32 v1, 3, v0
	s_waitcnt lgkmcnt(0)
	v_add_f32_e32 v7, v7, v8
	s_delay_alu instid0(VALU_DEP_2)
	v_and_b32_e32 v1, 60, v1
	ds_store_b32 v1, v7
.LBB176_8:
	s_or_b32 exec_lo, exec_lo, s1
	v_mov_b32_e32 v1, 0
	s_mov_b32 s1, exec_lo
	s_waitcnt lgkmcnt(0)
	s_barrier
	buffer_gl0_inv
	v_cmpx_gt_u32_e32 16, v0
	s_cbranch_execz .LBB176_10
; %bb.9:
	ds_load_b32 v1, v2
.LBB176_10:
	s_or_b32 exec_lo, exec_lo, s1
	s_and_saveexec_b32 s0, vcc_lo
	s_cbranch_execz .LBB176_12
; %bb.11:
	s_waitcnt lgkmcnt(0)
	ds_bpermute_b32 v2, v4, v1
	s_waitcnt lgkmcnt(0)
	v_add_f32_e32 v1, v1, v2
	ds_bpermute_b32 v2, v3, v1
	s_waitcnt lgkmcnt(0)
	v_add_f32_e32 v1, v1, v2
	;; [unrolled: 3-line block ×4, first 2 shown]
.LBB176_12:
	s_or_b32 exec_lo, exec_lo, s0
	s_delay_alu instid0(SALU_CYCLE_1)
	s_mov_b32 s0, exec_lo
	v_cmpx_eq_u32_e32 0, v0
	s_cbranch_execz .LBB176_21
; %bb.13:
	s_cmp_lg_u32 s10, 1
	s_mov_b32 s15, -1
	s_cbranch_scc0 .LBB176_15
; %bb.14:
	s_mul_hi_u32 s1, s10, s8
	s_mul_i32 s0, s10, s8
	s_mov_b32 s15, 0
	s_lshl_b64 s[0:1], s[0:1], 2
	v_mov_b32_e32 v0, 0
	s_add_u32 s2, s4, s0
	s_addc_u32 s3, s5, s1
	s_lshl_b64 s[0:1], s[14:15], 2
	s_delay_alu instid0(SALU_CYCLE_1)
	s_add_u32 s0, s2, s0
	s_addc_u32 s1, s3, s1
	s_waitcnt lgkmcnt(0)
	global_store_b32 v0, v1, s[0:1]
.LBB176_15:
	s_and_not1_b32 vcc_lo, exec_lo, s15
	s_cbranch_vccnz .LBB176_21
; %bb.16:
	s_waitcnt lgkmcnt(0)
	v_and_b32_e32 v0, 0x7f800000, v1
	s_delay_alu instid0(VALU_DEP_1) | instskip(SKIP_1) | instid1(SALU_CYCLE_1)
	v_cmp_ne_u32_e32 vcc_lo, 0x7f800000, v0
                                        ; implicit-def: $vgpr0
	s_and_saveexec_b32 s0, vcc_lo
	s_xor_b32 s0, exec_lo, s0
; %bb.17:
	v_bfe_u32 v0, v1, 16, 1
	s_delay_alu instid0(VALU_DEP_1)
	v_add3_u32 v0, v1, v0, 0x7fff
                                        ; implicit-def: $vgpr1
; %bb.18:
	s_and_not1_saveexec_b32 s0, s0
; %bb.19:
	v_and_b32_e32 v0, 0xffff, v1
	v_or_b32_e32 v2, 0x10000, v1
	s_delay_alu instid0(VALU_DEP_2) | instskip(NEXT) | instid1(VALU_DEP_2)
	v_cmp_eq_u32_e32 vcc_lo, 0, v0
	v_cndmask_b32_e32 v0, v2, v1, vcc_lo
; %bb.20:
	s_or_b32 exec_lo, exec_lo, s0
	s_lshl_b64 s[0:1], s[8:9], 1
	v_mov_b32_e32 v1, 0
	s_add_u32 s0, s6, s0
	s_addc_u32 s1, s7, s1
	global_store_d16_hi_b16 v1, v0, s[0:1]
.LBB176_21:
	s_nop 0
	s_sendmsg sendmsg(MSG_DEALLOC_VGPRS)
	s_endpgm
	.section	.rodata,"a",@progbits
	.p2align	6, 0x0
	.amdhsa_kernel _ZL24rocblas_dot_kernel_magsqIlLb0ELi512ELi8ELb0E16rocblas_bfloat16PKPKS0_fEviT5_lT_liPT6_PT4_
		.amdhsa_group_segment_fixed_size 128
		.amdhsa_private_segment_fixed_size 0
		.amdhsa_kernarg_size 320
		.amdhsa_user_sgpr_count 14
		.amdhsa_user_sgpr_dispatch_ptr 0
		.amdhsa_user_sgpr_queue_ptr 0
		.amdhsa_user_sgpr_kernarg_segment_ptr 1
		.amdhsa_user_sgpr_dispatch_id 0
		.amdhsa_user_sgpr_private_segment_size 0
		.amdhsa_wavefront_size32 1
		.amdhsa_uses_dynamic_stack 0
		.amdhsa_enable_private_segment 0
		.amdhsa_system_sgpr_workgroup_id_x 1
		.amdhsa_system_sgpr_workgroup_id_y 0
		.amdhsa_system_sgpr_workgroup_id_z 1
		.amdhsa_system_sgpr_workgroup_info 0
		.amdhsa_system_vgpr_workitem_id 0
		.amdhsa_next_free_vgpr 9
		.amdhsa_next_free_sgpr 20
		.amdhsa_reserve_vcc 1
		.amdhsa_float_round_mode_32 0
		.amdhsa_float_round_mode_16_64 0
		.amdhsa_float_denorm_mode_32 3
		.amdhsa_float_denorm_mode_16_64 3
		.amdhsa_dx10_clamp 1
		.amdhsa_ieee_mode 1
		.amdhsa_fp16_overflow 0
		.amdhsa_workgroup_processor_mode 1
		.amdhsa_memory_ordered 1
		.amdhsa_forward_progress 0
		.amdhsa_shared_vgpr_count 0
		.amdhsa_exception_fp_ieee_invalid_op 0
		.amdhsa_exception_fp_denorm_src 0
		.amdhsa_exception_fp_ieee_div_zero 0
		.amdhsa_exception_fp_ieee_overflow 0
		.amdhsa_exception_fp_ieee_underflow 0
		.amdhsa_exception_fp_ieee_inexact 0
		.amdhsa_exception_int_div_zero 0
	.end_amdhsa_kernel
	.section	.text._ZL24rocblas_dot_kernel_magsqIlLb0ELi512ELi8ELb0E16rocblas_bfloat16PKPKS0_fEviT5_lT_liPT6_PT4_,"axG",@progbits,_ZL24rocblas_dot_kernel_magsqIlLb0ELi512ELi8ELb0E16rocblas_bfloat16PKPKS0_fEviT5_lT_liPT6_PT4_,comdat
.Lfunc_end176:
	.size	_ZL24rocblas_dot_kernel_magsqIlLb0ELi512ELi8ELb0E16rocblas_bfloat16PKPKS0_fEviT5_lT_liPT6_PT4_, .Lfunc_end176-_ZL24rocblas_dot_kernel_magsqIlLb0ELi512ELi8ELb0E16rocblas_bfloat16PKPKS0_fEviT5_lT_liPT6_PT4_
                                        ; -- End function
	.section	.AMDGPU.csdata,"",@progbits
; Kernel info:
; codeLenInByte = 1016
; NumSgprs: 22
; NumVgprs: 9
; ScratchSize: 0
; MemoryBound: 0
; FloatMode: 240
; IeeeMode: 1
; LDSByteSize: 128 bytes/workgroup (compile time only)
; SGPRBlocks: 2
; VGPRBlocks: 1
; NumSGPRsForWavesPerEU: 22
; NumVGPRsForWavesPerEU: 9
; Occupancy: 16
; WaveLimiterHint : 0
; COMPUTE_PGM_RSRC2:SCRATCH_EN: 0
; COMPUTE_PGM_RSRC2:USER_SGPR: 14
; COMPUTE_PGM_RSRC2:TRAP_HANDLER: 0
; COMPUTE_PGM_RSRC2:TGID_X_EN: 1
; COMPUTE_PGM_RSRC2:TGID_Y_EN: 0
; COMPUTE_PGM_RSRC2:TGID_Z_EN: 1
; COMPUTE_PGM_RSRC2:TIDIG_COMP_CNT: 0
	.section	.text._ZL28rocblas_dot_batched_4_kernelIiLi32ELi4ELb0EffPKPKfEviT5_lT_lS4_lS5_liPT4_,"axG",@progbits,_ZL28rocblas_dot_batched_4_kernelIiLi32ELi4ELb0EffPKPKfEviT5_lT_lS4_lS5_liPT4_,comdat
	.globl	_ZL28rocblas_dot_batched_4_kernelIiLi32ELi4ELb0EffPKPKfEviT5_lT_lS4_lS5_liPT4_ ; -- Begin function _ZL28rocblas_dot_batched_4_kernelIiLi32ELi4ELb0EffPKPKfEviT5_lT_lS4_lS5_liPT4_
	.p2align	8
	.type	_ZL28rocblas_dot_batched_4_kernelIiLi32ELi4ELb0EffPKPKfEviT5_lT_lS4_lS5_liPT4_,@function
_ZL28rocblas_dot_batched_4_kernelIiLi32ELi4ELb0EffPKPKfEviT5_lT_lS4_lS5_liPT4_: ; @_ZL28rocblas_dot_batched_4_kernelIiLi32ELi4ELb0EffPKPKfEviT5_lT_lS4_lS5_liPT4_
; %bb.0:
	s_load_b32 s2, s[0:1], 0x48
	v_bfe_u32 v1, v0, 10, 10
	s_delay_alu instid0(VALU_DEP_1) | instskip(SKIP_1) | instid1(VALU_DEP_1)
	v_lshl_add_u32 v1, s15, 2, v1
	s_waitcnt lgkmcnt(0)
	v_cmp_gt_u32_e32 vcc_lo, s2, v1
	s_and_saveexec_b32 s2, vcc_lo
	s_cbranch_execz .LBB177_7
; %bb.1:
	s_clause 0x1
	s_load_b32 s12, s[0:1], 0x0
	s_load_b64 s[2:3], s[0:1], 0x50
	v_mov_b32_e32 v2, 0
	v_and_b32_e32 v0, 0x3ff, v0
	s_mov_b32 s13, exec_lo
	s_delay_alu instid0(VALU_DEP_2) | instskip(SKIP_1) | instid1(VALU_DEP_2)
	v_mov_b32_e32 v7, v2
	s_waitcnt lgkmcnt(0)
	v_cmpx_gt_i32_e64 s12, v0
	s_cbranch_execz .LBB177_5
; %bb.2:
	s_clause 0x1
	s_load_b128 s[4:7], s[0:1], 0x8
	s_load_b128 s[8:11], s[0:1], 0x28
	v_lshlrev_b64 v[3:4], 3, v[1:2]
	s_clause 0x1
	s_load_b32 s14, s[0:1], 0x18
	s_load_b32 s0, s[0:1], 0x38
	v_mov_b32_e32 v7, 0
	s_waitcnt lgkmcnt(0)
	v_add_co_u32 v5, vcc_lo, s4, v3
	v_add_co_ci_u32_e32 v6, vcc_lo, s5, v4, vcc_lo
	v_add_co_u32 v3, vcc_lo, s8, v3
	v_add_co_ci_u32_e32 v4, vcc_lo, s9, v4, vcc_lo
	v_mad_i64_i32 v[10:11], null, s0, v0, 0
	global_load_b64 v[5:6], v[5:6], off
	global_load_b64 v[8:9], v[3:4], off
	v_mad_i64_i32 v[3:4], null, s14, v0, 0
	s_lshl_b64 s[4:5], s[6:7], 2
	s_lshl_b64 s[6:7], s[10:11], 2
	s_ashr_i32 s15, s14, 31
	v_lshlrev_b64 v[10:11], 2, v[10:11]
	s_ashr_i32 s1, s0, 31
	s_delay_alu instid0(VALU_DEP_2) | instskip(NEXT) | instid1(VALU_DEP_1)
	v_lshlrev_b64 v[3:4], 2, v[3:4]
	v_add_co_u32 v3, vcc_lo, v3, s4
	s_delay_alu instid0(VALU_DEP_2) | instskip(NEXT) | instid1(VALU_DEP_4)
	v_add_co_ci_u32_e32 v4, vcc_lo, s5, v4, vcc_lo
	v_add_co_u32 v10, vcc_lo, v10, s6
	v_add_co_ci_u32_e32 v11, vcc_lo, s7, v11, vcc_lo
	s_lshl_b64 s[4:5], s[14:15], 7
	s_lshl_b64 s[6:7], s[0:1], 7
	s_mov_b32 s1, 0
	s_waitcnt vmcnt(1)
	v_add_co_u32 v3, vcc_lo, v5, v3
	v_add_co_ci_u32_e32 v4, vcc_lo, v6, v4, vcc_lo
	s_waitcnt vmcnt(0)
	v_add_co_u32 v5, vcc_lo, v8, v10
	v_mov_b32_e32 v8, v0
	v_add_co_ci_u32_e32 v6, vcc_lo, v9, v11, vcc_lo
	.p2align	6
.LBB177_3:                              ; =>This Inner Loop Header: Depth=1
	global_load_b32 v9, v[3:4], off
	global_load_b32 v10, v[5:6], off
	v_add_nc_u32_e32 v8, 32, v8
	v_add_co_u32 v3, vcc_lo, v3, s4
	v_add_co_ci_u32_e32 v4, vcc_lo, s5, v4, vcc_lo
	v_add_co_u32 v5, vcc_lo, v5, s6
	v_add_co_ci_u32_e32 v6, vcc_lo, s7, v6, vcc_lo
	s_waitcnt vmcnt(0)
	v_fmac_f32_e32 v7, v9, v10
	v_cmp_le_i32_e64 s0, s12, v8
	s_delay_alu instid0(VALU_DEP_1) | instskip(NEXT) | instid1(SALU_CYCLE_1)
	s_or_b32 s1, s0, s1
	s_and_not1_b32 exec_lo, exec_lo, s1
	s_cbranch_execnz .LBB177_3
; %bb.4:
	s_or_b32 exec_lo, exec_lo, s1
.LBB177_5:
	s_delay_alu instid0(SALU_CYCLE_1)
	s_or_b32 exec_lo, exec_lo, s13
	v_mbcnt_lo_u32_b32 v3, -1, 0
	s_barrier
	buffer_gl0_inv
	v_cmp_gt_u32_e32 vcc_lo, 16, v3
	v_cndmask_b32_e64 v4, 0, 1, vcc_lo
	v_cmp_gt_u32_e32 vcc_lo, 24, v3
	s_delay_alu instid0(VALU_DEP_2) | instskip(SKIP_2) | instid1(VALU_DEP_3)
	v_lshlrev_b32_e32 v4, 4, v4
	v_cndmask_b32_e64 v5, 0, 1, vcc_lo
	v_cmp_gt_u32_e32 vcc_lo, 28, v3
	v_add_lshl_u32 v4, v4, v3, 2
	v_cndmask_b32_e64 v6, 0, 1, vcc_lo
	v_cmp_gt_u32_e32 vcc_lo, 30, v3
	ds_bpermute_b32 v4, v4, v7
	v_lshlrev_b32_e32 v5, 3, v5
	v_lshlrev_b32_e32 v6, 2, v6
	s_delay_alu instid0(VALU_DEP_1)
	v_add_lshl_u32 v6, v6, v3, 2
	s_waitcnt lgkmcnt(0)
	v_add_f32_e32 v4, v7, v4
	v_add_lshl_u32 v5, v5, v3, 2
	ds_bpermute_b32 v5, v5, v4
	s_waitcnt lgkmcnt(0)
	v_add_f32_e32 v4, v4, v5
	ds_bpermute_b32 v5, v6, v4
	v_cndmask_b32_e64 v6, 0, 1, vcc_lo
	v_cmp_ne_u32_e32 vcc_lo, 31, v3
	s_delay_alu instid0(VALU_DEP_2) | instskip(NEXT) | instid1(VALU_DEP_1)
	v_lshlrev_b32_e32 v6, 1, v6
	v_add_lshl_u32 v6, v6, v3, 2
	s_waitcnt lgkmcnt(0)
	v_add_f32_e32 v4, v4, v5
	ds_bpermute_b32 v5, v6, v4
	v_add_co_ci_u32_e32 v6, vcc_lo, 0, v3, vcc_lo
	v_cmp_eq_u32_e32 vcc_lo, 0, v0
	s_waitcnt lgkmcnt(0)
	s_delay_alu instid0(VALU_DEP_2)
	v_dual_add_f32 v3, v4, v5 :: v_dual_lshlrev_b32 v4, 2, v6
	ds_bpermute_b32 v4, v4, v3
	s_and_b32 exec_lo, exec_lo, vcc_lo
	s_cbranch_execz .LBB177_7
; %bb.6:
	v_lshlrev_b64 v[0:1], 2, v[1:2]
	s_waitcnt lgkmcnt(0)
	v_add_f32_e32 v2, v3, v4
	s_delay_alu instid0(VALU_DEP_2) | instskip(NEXT) | instid1(VALU_DEP_3)
	v_add_co_u32 v0, vcc_lo, s2, v0
	v_add_co_ci_u32_e32 v1, vcc_lo, s3, v1, vcc_lo
	global_store_b32 v[0:1], v2, off
.LBB177_7:
	s_nop 0
	s_sendmsg sendmsg(MSG_DEALLOC_VGPRS)
	s_endpgm
	.section	.rodata,"a",@progbits
	.p2align	6, 0x0
	.amdhsa_kernel _ZL28rocblas_dot_batched_4_kernelIiLi32ELi4ELb0EffPKPKfEviT5_lT_lS4_lS5_liPT4_
		.amdhsa_group_segment_fixed_size 0
		.amdhsa_private_segment_fixed_size 0
		.amdhsa_kernarg_size 88
		.amdhsa_user_sgpr_count 15
		.amdhsa_user_sgpr_dispatch_ptr 0
		.amdhsa_user_sgpr_queue_ptr 0
		.amdhsa_user_sgpr_kernarg_segment_ptr 1
		.amdhsa_user_sgpr_dispatch_id 0
		.amdhsa_user_sgpr_private_segment_size 0
		.amdhsa_wavefront_size32 1
		.amdhsa_uses_dynamic_stack 0
		.amdhsa_enable_private_segment 0
		.amdhsa_system_sgpr_workgroup_id_x 1
		.amdhsa_system_sgpr_workgroup_id_y 0
		.amdhsa_system_sgpr_workgroup_id_z 0
		.amdhsa_system_sgpr_workgroup_info 0
		.amdhsa_system_vgpr_workitem_id 1
		.amdhsa_next_free_vgpr 12
		.amdhsa_next_free_sgpr 16
		.amdhsa_reserve_vcc 1
		.amdhsa_float_round_mode_32 0
		.amdhsa_float_round_mode_16_64 0
		.amdhsa_float_denorm_mode_32 3
		.amdhsa_float_denorm_mode_16_64 3
		.amdhsa_dx10_clamp 1
		.amdhsa_ieee_mode 1
		.amdhsa_fp16_overflow 0
		.amdhsa_workgroup_processor_mode 1
		.amdhsa_memory_ordered 1
		.amdhsa_forward_progress 0
		.amdhsa_shared_vgpr_count 0
		.amdhsa_exception_fp_ieee_invalid_op 0
		.amdhsa_exception_fp_denorm_src 0
		.amdhsa_exception_fp_ieee_div_zero 0
		.amdhsa_exception_fp_ieee_overflow 0
		.amdhsa_exception_fp_ieee_underflow 0
		.amdhsa_exception_fp_ieee_inexact 0
		.amdhsa_exception_int_div_zero 0
	.end_amdhsa_kernel
	.section	.text._ZL28rocblas_dot_batched_4_kernelIiLi32ELi4ELb0EffPKPKfEviT5_lT_lS4_lS5_liPT4_,"axG",@progbits,_ZL28rocblas_dot_batched_4_kernelIiLi32ELi4ELb0EffPKPKfEviT5_lT_lS4_lS5_liPT4_,comdat
.Lfunc_end177:
	.size	_ZL28rocblas_dot_batched_4_kernelIiLi32ELi4ELb0EffPKPKfEviT5_lT_lS4_lS5_liPT4_, .Lfunc_end177-_ZL28rocblas_dot_batched_4_kernelIiLi32ELi4ELb0EffPKPKfEviT5_lT_lS4_lS5_liPT4_
                                        ; -- End function
	.section	.AMDGPU.csdata,"",@progbits
; Kernel info:
; codeLenInByte = 696
; NumSgprs: 18
; NumVgprs: 12
; ScratchSize: 0
; MemoryBound: 0
; FloatMode: 240
; IeeeMode: 1
; LDSByteSize: 0 bytes/workgroup (compile time only)
; SGPRBlocks: 2
; VGPRBlocks: 1
; NumSGPRsForWavesPerEU: 18
; NumVGPRsForWavesPerEU: 12
; Occupancy: 16
; WaveLimiterHint : 0
; COMPUTE_PGM_RSRC2:SCRATCH_EN: 0
; COMPUTE_PGM_RSRC2:USER_SGPR: 15
; COMPUTE_PGM_RSRC2:TRAP_HANDLER: 0
; COMPUTE_PGM_RSRC2:TGID_X_EN: 1
; COMPUTE_PGM_RSRC2:TGID_Y_EN: 0
; COMPUTE_PGM_RSRC2:TGID_Z_EN: 0
; COMPUTE_PGM_RSRC2:TIDIG_COMP_CNT: 1
	.section	.text._ZL28rocblas_dot_batched_4_kernelIiLi64ELi4ELb0EffPKPKfEviT5_lT_lS4_lS5_liPT4_,"axG",@progbits,_ZL28rocblas_dot_batched_4_kernelIiLi64ELi4ELb0EffPKPKfEviT5_lT_lS4_lS5_liPT4_,comdat
	.globl	_ZL28rocblas_dot_batched_4_kernelIiLi64ELi4ELb0EffPKPKfEviT5_lT_lS4_lS5_liPT4_ ; -- Begin function _ZL28rocblas_dot_batched_4_kernelIiLi64ELi4ELb0EffPKPKfEviT5_lT_lS4_lS5_liPT4_
	.p2align	8
	.type	_ZL28rocblas_dot_batched_4_kernelIiLi64ELi4ELb0EffPKPKfEviT5_lT_lS4_lS5_liPT4_,@function
_ZL28rocblas_dot_batched_4_kernelIiLi64ELi4ELb0EffPKPKfEviT5_lT_lS4_lS5_liPT4_: ; @_ZL28rocblas_dot_batched_4_kernelIiLi64ELi4ELb0EffPKPKfEviT5_lT_lS4_lS5_liPT4_
; %bb.0:
	s_load_b32 s2, s[0:1], 0x48
	v_bfe_u32 v1, v0, 10, 10
	s_delay_alu instid0(VALU_DEP_1) | instskip(SKIP_1) | instid1(VALU_DEP_1)
	v_lshl_add_u32 v1, s15, 2, v1
	s_waitcnt lgkmcnt(0)
	v_cmp_gt_u32_e32 vcc_lo, s2, v1
	s_and_saveexec_b32 s2, vcc_lo
	s_cbranch_execz .LBB178_7
; %bb.1:
	s_clause 0x1
	s_load_b32 s12, s[0:1], 0x0
	s_load_b64 s[2:3], s[0:1], 0x50
	v_mov_b32_e32 v2, 0
	v_and_b32_e32 v0, 0x3ff, v0
	s_mov_b32 s13, exec_lo
	s_delay_alu instid0(VALU_DEP_2) | instskip(SKIP_1) | instid1(VALU_DEP_2)
	v_mov_b32_e32 v7, v2
	s_waitcnt lgkmcnt(0)
	v_cmpx_gt_i32_e64 s12, v0
	s_cbranch_execz .LBB178_5
; %bb.2:
	s_clause 0x1
	s_load_b128 s[4:7], s[0:1], 0x8
	s_load_b128 s[8:11], s[0:1], 0x28
	v_lshlrev_b64 v[3:4], 3, v[1:2]
	s_clause 0x1
	s_load_b32 s14, s[0:1], 0x18
	s_load_b32 s0, s[0:1], 0x38
	v_mov_b32_e32 v7, 0
	s_waitcnt lgkmcnt(0)
	v_add_co_u32 v5, vcc_lo, s4, v3
	v_add_co_ci_u32_e32 v6, vcc_lo, s5, v4, vcc_lo
	v_add_co_u32 v3, vcc_lo, s8, v3
	v_add_co_ci_u32_e32 v4, vcc_lo, s9, v4, vcc_lo
	v_mad_i64_i32 v[10:11], null, s0, v0, 0
	global_load_b64 v[5:6], v[5:6], off
	global_load_b64 v[8:9], v[3:4], off
	v_mad_i64_i32 v[3:4], null, s14, v0, 0
	s_lshl_b64 s[4:5], s[6:7], 2
	s_lshl_b64 s[6:7], s[10:11], 2
	s_ashr_i32 s15, s14, 31
	v_lshlrev_b64 v[10:11], 2, v[10:11]
	s_ashr_i32 s1, s0, 31
	s_delay_alu instid0(VALU_DEP_2) | instskip(NEXT) | instid1(VALU_DEP_1)
	v_lshlrev_b64 v[3:4], 2, v[3:4]
	v_add_co_u32 v3, vcc_lo, v3, s4
	s_delay_alu instid0(VALU_DEP_2) | instskip(NEXT) | instid1(VALU_DEP_4)
	v_add_co_ci_u32_e32 v4, vcc_lo, s5, v4, vcc_lo
	v_add_co_u32 v10, vcc_lo, v10, s6
	v_add_co_ci_u32_e32 v11, vcc_lo, s7, v11, vcc_lo
	s_lshl_b64 s[4:5], s[14:15], 8
	s_lshl_b64 s[6:7], s[0:1], 8
	s_mov_b32 s1, 0
	s_waitcnt vmcnt(1)
	v_add_co_u32 v3, vcc_lo, v5, v3
	v_add_co_ci_u32_e32 v4, vcc_lo, v6, v4, vcc_lo
	s_waitcnt vmcnt(0)
	v_add_co_u32 v5, vcc_lo, v8, v10
	v_mov_b32_e32 v8, v0
	v_add_co_ci_u32_e32 v6, vcc_lo, v9, v11, vcc_lo
	.p2align	6
.LBB178_3:                              ; =>This Inner Loop Header: Depth=1
	global_load_b32 v9, v[3:4], off
	global_load_b32 v10, v[5:6], off
	v_add_nc_u32_e32 v8, 64, v8
	v_add_co_u32 v3, vcc_lo, v3, s4
	v_add_co_ci_u32_e32 v4, vcc_lo, s5, v4, vcc_lo
	v_add_co_u32 v5, vcc_lo, v5, s6
	v_add_co_ci_u32_e32 v6, vcc_lo, s7, v6, vcc_lo
	s_waitcnt vmcnt(0)
	v_fmac_f32_e32 v7, v9, v10
	v_cmp_le_i32_e64 s0, s12, v8
	s_delay_alu instid0(VALU_DEP_1) | instskip(NEXT) | instid1(SALU_CYCLE_1)
	s_or_b32 s1, s0, s1
	s_and_not1_b32 exec_lo, exec_lo, s1
	s_cbranch_execnz .LBB178_3
; %bb.4:
	s_or_b32 exec_lo, exec_lo, s1
.LBB178_5:
	s_delay_alu instid0(SALU_CYCLE_1)
	s_or_b32 exec_lo, exec_lo, s13
	v_mbcnt_lo_u32_b32 v3, -1, 0
	s_barrier
	buffer_gl0_inv
	v_lshlrev_b32_e32 v4, 2, v3
	v_cmp_gt_u32_e32 vcc_lo, 16, v3
	ds_bpermute_b32 v4, v4, v7
	v_cndmask_b32_e64 v5, 0, 1, vcc_lo
	v_cmp_gt_u32_e32 vcc_lo, 24, v3
	s_delay_alu instid0(VALU_DEP_2) | instskip(SKIP_2) | instid1(VALU_DEP_2)
	v_lshlrev_b32_e32 v5, 4, v5
	v_cndmask_b32_e64 v6, 0, 1, vcc_lo
	v_cmp_gt_u32_e32 vcc_lo, 28, v3
	v_lshlrev_b32_e32 v6, 3, v6
	s_delay_alu instid0(VALU_DEP_1)
	v_add_lshl_u32 v6, v6, v3, 2
	s_waitcnt lgkmcnt(0)
	v_add_f32_e32 v4, v7, v4
	v_add_lshl_u32 v5, v5, v3, 2
	ds_bpermute_b32 v5, v5, v4
	s_waitcnt lgkmcnt(0)
	v_add_f32_e32 v4, v4, v5
	ds_bpermute_b32 v5, v6, v4
	v_cndmask_b32_e64 v6, 0, 1, vcc_lo
	v_cmp_gt_u32_e32 vcc_lo, 30, v3
	s_delay_alu instid0(VALU_DEP_2) | instskip(NEXT) | instid1(VALU_DEP_1)
	v_lshlrev_b32_e32 v6, 2, v6
	v_add_lshl_u32 v6, v6, v3, 2
	s_waitcnt lgkmcnt(0)
	v_add_f32_e32 v4, v4, v5
	ds_bpermute_b32 v5, v6, v4
	v_cndmask_b32_e64 v6, 0, 1, vcc_lo
	v_cmp_ne_u32_e32 vcc_lo, 31, v3
	s_delay_alu instid0(VALU_DEP_2) | instskip(NEXT) | instid1(VALU_DEP_1)
	v_lshlrev_b32_e32 v6, 1, v6
	v_add_lshl_u32 v6, v6, v3, 2
	s_waitcnt lgkmcnt(0)
	v_add_f32_e32 v4, v4, v5
	ds_bpermute_b32 v5, v6, v4
	v_add_co_ci_u32_e32 v6, vcc_lo, 0, v3, vcc_lo
	v_cmp_eq_u32_e32 vcc_lo, 0, v0
	s_waitcnt lgkmcnt(0)
	s_delay_alu instid0(VALU_DEP_2)
	v_dual_add_f32 v3, v4, v5 :: v_dual_lshlrev_b32 v4, 2, v6
	ds_bpermute_b32 v4, v4, v3
	s_and_b32 exec_lo, exec_lo, vcc_lo
	s_cbranch_execz .LBB178_7
; %bb.6:
	v_lshlrev_b64 v[0:1], 2, v[1:2]
	s_waitcnt lgkmcnt(0)
	v_add_f32_e32 v2, v3, v4
	s_delay_alu instid0(VALU_DEP_2) | instskip(NEXT) | instid1(VALU_DEP_3)
	v_add_co_u32 v0, vcc_lo, s2, v0
	v_add_co_ci_u32_e32 v1, vcc_lo, s3, v1, vcc_lo
	global_store_b32 v[0:1], v2, off
.LBB178_7:
	s_nop 0
	s_sendmsg sendmsg(MSG_DEALLOC_VGPRS)
	s_endpgm
	.section	.rodata,"a",@progbits
	.p2align	6, 0x0
	.amdhsa_kernel _ZL28rocblas_dot_batched_4_kernelIiLi64ELi4ELb0EffPKPKfEviT5_lT_lS4_lS5_liPT4_
		.amdhsa_group_segment_fixed_size 0
		.amdhsa_private_segment_fixed_size 0
		.amdhsa_kernarg_size 88
		.amdhsa_user_sgpr_count 15
		.amdhsa_user_sgpr_dispatch_ptr 0
		.amdhsa_user_sgpr_queue_ptr 0
		.amdhsa_user_sgpr_kernarg_segment_ptr 1
		.amdhsa_user_sgpr_dispatch_id 0
		.amdhsa_user_sgpr_private_segment_size 0
		.amdhsa_wavefront_size32 1
		.amdhsa_uses_dynamic_stack 0
		.amdhsa_enable_private_segment 0
		.amdhsa_system_sgpr_workgroup_id_x 1
		.amdhsa_system_sgpr_workgroup_id_y 0
		.amdhsa_system_sgpr_workgroup_id_z 0
		.amdhsa_system_sgpr_workgroup_info 0
		.amdhsa_system_vgpr_workitem_id 1
		.amdhsa_next_free_vgpr 12
		.amdhsa_next_free_sgpr 16
		.amdhsa_reserve_vcc 1
		.amdhsa_float_round_mode_32 0
		.amdhsa_float_round_mode_16_64 0
		.amdhsa_float_denorm_mode_32 3
		.amdhsa_float_denorm_mode_16_64 3
		.amdhsa_dx10_clamp 1
		.amdhsa_ieee_mode 1
		.amdhsa_fp16_overflow 0
		.amdhsa_workgroup_processor_mode 1
		.amdhsa_memory_ordered 1
		.amdhsa_forward_progress 0
		.amdhsa_shared_vgpr_count 0
		.amdhsa_exception_fp_ieee_invalid_op 0
		.amdhsa_exception_fp_denorm_src 0
		.amdhsa_exception_fp_ieee_div_zero 0
		.amdhsa_exception_fp_ieee_overflow 0
		.amdhsa_exception_fp_ieee_underflow 0
		.amdhsa_exception_fp_ieee_inexact 0
		.amdhsa_exception_int_div_zero 0
	.end_amdhsa_kernel
	.section	.text._ZL28rocblas_dot_batched_4_kernelIiLi64ELi4ELb0EffPKPKfEviT5_lT_lS4_lS5_liPT4_,"axG",@progbits,_ZL28rocblas_dot_batched_4_kernelIiLi64ELi4ELb0EffPKPKfEviT5_lT_lS4_lS5_liPT4_,comdat
.Lfunc_end178:
	.size	_ZL28rocblas_dot_batched_4_kernelIiLi64ELi4ELb0EffPKPKfEviT5_lT_lS4_lS5_liPT4_, .Lfunc_end178-_ZL28rocblas_dot_batched_4_kernelIiLi64ELi4ELb0EffPKPKfEviT5_lT_lS4_lS5_liPT4_
                                        ; -- End function
	.section	.AMDGPU.csdata,"",@progbits
; Kernel info:
; codeLenInByte = 720
; NumSgprs: 18
; NumVgprs: 12
; ScratchSize: 0
; MemoryBound: 0
; FloatMode: 240
; IeeeMode: 1
; LDSByteSize: 0 bytes/workgroup (compile time only)
; SGPRBlocks: 2
; VGPRBlocks: 1
; NumSGPRsForWavesPerEU: 18
; NumVGPRsForWavesPerEU: 12
; Occupancy: 16
; WaveLimiterHint : 0
; COMPUTE_PGM_RSRC2:SCRATCH_EN: 0
; COMPUTE_PGM_RSRC2:USER_SGPR: 15
; COMPUTE_PGM_RSRC2:TRAP_HANDLER: 0
; COMPUTE_PGM_RSRC2:TGID_X_EN: 1
; COMPUTE_PGM_RSRC2:TGID_Y_EN: 0
; COMPUTE_PGM_RSRC2:TGID_Z_EN: 0
; COMPUTE_PGM_RSRC2:TIDIG_COMP_CNT: 1
	.section	.text._ZL26rocblas_dot_kernel_inc1by2ILb1ELi1024ELi32ELb0EfPKPKffEviT4_llS4_lliPT5_PT3_,"axG",@progbits,_ZL26rocblas_dot_kernel_inc1by2ILb1ELi1024ELi32ELb0EfPKPKffEviT4_llS4_lliPT5_PT3_,comdat
	.globl	_ZL26rocblas_dot_kernel_inc1by2ILb1ELi1024ELi32ELb0EfPKPKffEviT4_llS4_lliPT5_PT3_ ; -- Begin function _ZL26rocblas_dot_kernel_inc1by2ILb1ELi1024ELi32ELb0EfPKPKffEviT4_llS4_lliPT5_PT3_
	.p2align	8
	.type	_ZL26rocblas_dot_kernel_inc1by2ILb1ELi1024ELi32ELb0EfPKPKffEviT4_llS4_lliPT5_PT3_,@function
_ZL26rocblas_dot_kernel_inc1by2ILb1ELi1024ELi32ELb0EfPKPKffEviT4_llS4_lliPT5_PT3_: ; @_ZL26rocblas_dot_kernel_inc1by2ILb1ELi1024ELi32ELb0EfPKPKffEviT4_llS4_lliPT5_PT3_
; %bb.0:
	s_clause 0x1
	s_load_b128 s[8:11], s[0:1], 0x8
	s_load_b128 s[4:7], s[0:1], 0x20
	s_mov_b32 s2, s15
	s_mov_b32 s3, 0
	s_clause 0x1
	s_load_b32 s14, s[0:1], 0x0
	s_load_b64 s[12:13], s[0:1], 0x48
	s_lshl_b64 s[16:17], s[2:3], 3
	v_dual_mov_b32 v5, 0 :: v_dual_lshlrev_b32 v6, 1, v0
	s_waitcnt lgkmcnt(0)
	s_add_u32 s0, s8, s16
	s_addc_u32 s1, s9, s17
	s_add_u32 s4, s4, s16
	s_addc_u32 s5, s5, s17
	s_load_b64 s[8:9], s[0:1], 0x0
	s_load_b64 s[4:5], s[4:5], 0x0
	s_add_i32 s0, s14, -1
	s_mov_b32 s1, exec_lo
	v_cmpx_gt_i32_e64 s0, v6
	s_cbranch_execz .LBB179_4
; %bb.1:
	v_lshlrev_b32_e32 v1, 3, v0
	s_lshl_b64 s[16:17], s[6:7], 2
	v_mov_b32_e32 v5, 0
	s_waitcnt lgkmcnt(0)
	s_add_u32 s15, s4, s16
	s_addc_u32 s18, s5, s17
	s_lshl_b64 s[16:17], s[10:11], 2
	v_add_co_u32 v2, s15, s15, v1
	s_delay_alu instid0(VALU_DEP_1) | instskip(SKIP_3) | instid1(VALU_DEP_1)
	v_add_co_ci_u32_e64 v3, null, s18, 0, s15
	s_add_u32 s15, s8, s16
	s_addc_u32 s16, s9, s17
	v_add_co_u32 v4, s15, s15, v1
	v_add_co_ci_u32_e64 v7, null, s16, 0, s15
	v_add_co_u32 v1, vcc_lo, v2, 4
	v_add_co_ci_u32_e32 v2, vcc_lo, 0, v3, vcc_lo
	s_delay_alu instid0(VALU_DEP_4) | instskip(NEXT) | instid1(VALU_DEP_4)
	v_add_co_u32 v3, vcc_lo, v4, 4
	v_add_co_ci_u32_e32 v4, vcc_lo, 0, v7, vcc_lo
	s_mov_b32 s15, s3
	s_mov_b32 s16, s3
	.p2align	6
.LBB179_2:                              ; =>This Inner Loop Header: Depth=1
	global_load_b64 v[7:8], v[1:2], off offset:-4
	global_load_b64 v[9:10], v[3:4], off offset:-4
	v_add_co_u32 v1, vcc_lo, 0x2000, v1
	v_add_nc_u32_e32 v6, 0x800, v6
	v_add_co_ci_u32_e32 v2, vcc_lo, 0, v2, vcc_lo
	v_add_co_u32 v3, vcc_lo, 0x2000, v3
	v_add_co_ci_u32_e32 v4, vcc_lo, 0, v4, vcc_lo
	s_add_i32 s17, s16, 1
	s_cmp_gt_u32 s16, 30
	s_cselect_b32 s16, -1, 0
	s_waitcnt vmcnt(0)
	v_fmac_f32_e32 v5, v7, v9
	v_cmp_le_i32_e32 vcc_lo, s0, v6
	s_delay_alu instid0(VALU_DEP_2) | instskip(SKIP_1) | instid1(SALU_CYCLE_1)
	v_fmac_f32_e32 v5, v8, v10
	s_or_b32 s16, s16, vcc_lo
	s_and_b32 s16, exec_lo, s16
	s_delay_alu instid0(SALU_CYCLE_1)
	s_or_b32 s15, s16, s15
	s_mov_b32 s16, s17
	s_and_not1_b32 exec_lo, exec_lo, s15
	s_cbranch_execnz .LBB179_2
; %bb.3:
	s_or_b32 exec_lo, exec_lo, s15
.LBB179_4:
	s_delay_alu instid0(SALU_CYCLE_1) | instskip(SKIP_3) | instid1(SALU_CYCLE_1)
	s_or_b32 exec_lo, exec_lo, s1
	v_cmp_eq_u32_e32 vcc_lo, s0, v6
	s_bitcmp1_b32 s14, 0
	s_cselect_b32 s1, -1, 0
	s_and_b32 s1, s1, vcc_lo
	s_delay_alu instid0(SALU_CYCLE_1)
	s_and_saveexec_b32 s14, s1
	s_cbranch_execz .LBB179_6
; %bb.5:
	s_lshl_b64 s[10:11], s[10:11], 2
	s_mov_b32 s1, 0
	s_waitcnt lgkmcnt(0)
	s_add_u32 s8, s8, s10
	s_addc_u32 s9, s9, s11
	s_lshl_b64 s[6:7], s[6:7], 2
	s_delay_alu instid0(SALU_CYCLE_1) | instskip(SKIP_2) | instid1(SALU_CYCLE_1)
	s_add_u32 s6, s4, s6
	s_addc_u32 s7, s5, s7
	s_lshl_b64 s[0:1], s[0:1], 2
	s_add_u32 s4, s8, s0
	s_addc_u32 s5, s9, s1
	s_add_u32 s0, s6, s0
	s_addc_u32 s1, s7, s1
	s_load_b32 s0, s[0:1], 0x0
	s_load_b32 s1, s[4:5], 0x0
	s_waitcnt lgkmcnt(0)
	v_fmac_f32_e64 v5, s0, s1
.LBB179_6:
	s_or_b32 exec_lo, exec_lo, s14
	v_and_b32_e32 v7, 31, v0
	v_cmp_gt_u32_e32 vcc_lo, 32, v0
	s_delay_alu instid0(VALU_DEP_2)
	v_lshlrev_b32_e32 v1, 2, v7
	s_and_saveexec_b32 s0, vcc_lo
	s_cbranch_execz .LBB179_8
; %bb.7:
	v_mov_b32_e32 v2, 0
	ds_store_b32 v1, v2
.LBB179_8:
	s_or_b32 exec_lo, exec_lo, s0
	v_mbcnt_lo_u32_b32 v6, -1, 0
	s_mov_b32 s1, exec_lo
	s_waitcnt lgkmcnt(0)
	s_barrier
	buffer_gl0_inv
	v_cmp_gt_u32_e64 s0, 16, v6
	s_delay_alu instid0(VALU_DEP_1) | instskip(SKIP_1) | instid1(VALU_DEP_2)
	v_cndmask_b32_e64 v2, 0, 1, s0
	v_cmp_gt_u32_e64 s0, 24, v6
	v_lshlrev_b32_e32 v2, 4, v2
	s_delay_alu instid0(VALU_DEP_2) | instskip(SKIP_1) | instid1(VALU_DEP_3)
	v_cndmask_b32_e64 v3, 0, 1, s0
	v_cmp_gt_u32_e64 s0, 28, v6
	v_add_lshl_u32 v2, v2, v6, 2
	ds_bpermute_b32 v4, v2, v5
	s_waitcnt lgkmcnt(0)
	v_add_f32_e32 v5, v5, v4
	v_lshlrev_b32_e32 v3, 3, v3
	v_cndmask_b32_e64 v4, 0, 1, s0
	v_cmp_gt_u32_e64 s0, 30, v6
	s_delay_alu instid0(VALU_DEP_3) | instskip(NEXT) | instid1(VALU_DEP_3)
	v_add_lshl_u32 v3, v3, v6, 2
	v_lshlrev_b32_e32 v4, 2, v4
	ds_bpermute_b32 v8, v3, v5
	v_add_lshl_u32 v4, v4, v6, 2
	s_waitcnt lgkmcnt(0)
	v_add_f32_e32 v8, v5, v8
	v_cndmask_b32_e64 v5, 0, 1, s0
	v_cmp_ne_u32_e64 s0, 31, v6
	ds_bpermute_b32 v9, v4, v8
	v_lshlrev_b32_e32 v5, 1, v5
	s_delay_alu instid0(VALU_DEP_1) | instskip(SKIP_1) | instid1(VALU_DEP_1)
	v_add_lshl_u32 v5, v5, v6, 2
	v_add_co_ci_u32_e64 v6, s0, 0, v6, s0
	v_lshlrev_b32_e32 v6, 2, v6
	s_waitcnt lgkmcnt(0)
	v_add_f32_e32 v8, v8, v9
	ds_bpermute_b32 v9, v5, v8
	s_waitcnt lgkmcnt(0)
	v_add_f32_e32 v8, v8, v9
	ds_bpermute_b32 v9, v6, v8
	v_cmpx_eq_u32_e32 0, v7
	s_cbranch_execz .LBB179_10
; %bb.9:
	v_lshrrev_b32_e32 v7, 3, v0
	s_waitcnt lgkmcnt(0)
	s_delay_alu instid0(VALU_DEP_1)
	v_dual_add_f32 v8, v8, v9 :: v_dual_and_b32 v7, 0x7c, v7
	ds_store_b32 v7, v8
.LBB179_10:
	s_or_b32 exec_lo, exec_lo, s1
	v_mov_b32_e32 v7, 0
	s_waitcnt lgkmcnt(0)
	s_barrier
	buffer_gl0_inv
	s_and_saveexec_b32 s0, vcc_lo
	s_cbranch_execz .LBB179_12
; %bb.11:
	ds_load_b32 v7, v1
.LBB179_12:
	s_or_b32 exec_lo, exec_lo, s0
	s_and_saveexec_b32 s0, vcc_lo
	s_cbranch_execz .LBB179_14
; %bb.13:
	s_waitcnt lgkmcnt(0)
	ds_bpermute_b32 v1, v2, v7
	s_waitcnt lgkmcnt(0)
	v_add_f32_e32 v1, v7, v1
	ds_bpermute_b32 v2, v3, v1
	s_waitcnt lgkmcnt(0)
	v_add_f32_e32 v1, v1, v2
	ds_bpermute_b32 v2, v4, v1
	s_waitcnt lgkmcnt(0)
	v_add_f32_e32 v1, v1, v2
	ds_bpermute_b32 v2, v5, v1
	s_waitcnt lgkmcnt(0)
	v_add_f32_e32 v1, v1, v2
	ds_bpermute_b32 v2, v6, v1
	s_waitcnt lgkmcnt(0)
	v_add_f32_e32 v7, v1, v2
.LBB179_14:
	s_or_b32 exec_lo, exec_lo, s0
	s_delay_alu instid0(SALU_CYCLE_1)
	s_mov_b32 s0, exec_lo
	v_cmpx_eq_u32_e32 0, v0
	s_cbranch_execz .LBB179_16
; %bb.15:
	s_lshl_b64 s[0:1], s[2:3], 2
	v_mov_b32_e32 v0, 0
	s_add_u32 s0, s12, s0
	s_addc_u32 s1, s13, s1
	s_waitcnt lgkmcnt(0)
	global_store_b32 v0, v7, s[0:1]
.LBB179_16:
	s_nop 0
	s_sendmsg sendmsg(MSG_DEALLOC_VGPRS)
	s_endpgm
	.section	.rodata,"a",@progbits
	.p2align	6, 0x0
	.amdhsa_kernel _ZL26rocblas_dot_kernel_inc1by2ILb1ELi1024ELi32ELb0EfPKPKffEviT4_llS4_lliPT5_PT3_
		.amdhsa_group_segment_fixed_size 128
		.amdhsa_private_segment_fixed_size 0
		.amdhsa_kernarg_size 80
		.amdhsa_user_sgpr_count 14
		.amdhsa_user_sgpr_dispatch_ptr 0
		.amdhsa_user_sgpr_queue_ptr 0
		.amdhsa_user_sgpr_kernarg_segment_ptr 1
		.amdhsa_user_sgpr_dispatch_id 0
		.amdhsa_user_sgpr_private_segment_size 0
		.amdhsa_wavefront_size32 1
		.amdhsa_uses_dynamic_stack 0
		.amdhsa_enable_private_segment 0
		.amdhsa_system_sgpr_workgroup_id_x 1
		.amdhsa_system_sgpr_workgroup_id_y 0
		.amdhsa_system_sgpr_workgroup_id_z 1
		.amdhsa_system_sgpr_workgroup_info 0
		.amdhsa_system_vgpr_workitem_id 0
		.amdhsa_next_free_vgpr 11
		.amdhsa_next_free_sgpr 19
		.amdhsa_reserve_vcc 1
		.amdhsa_float_round_mode_32 0
		.amdhsa_float_round_mode_16_64 0
		.amdhsa_float_denorm_mode_32 3
		.amdhsa_float_denorm_mode_16_64 3
		.amdhsa_dx10_clamp 1
		.amdhsa_ieee_mode 1
		.amdhsa_fp16_overflow 0
		.amdhsa_workgroup_processor_mode 1
		.amdhsa_memory_ordered 1
		.amdhsa_forward_progress 0
		.amdhsa_shared_vgpr_count 0
		.amdhsa_exception_fp_ieee_invalid_op 0
		.amdhsa_exception_fp_denorm_src 0
		.amdhsa_exception_fp_ieee_div_zero 0
		.amdhsa_exception_fp_ieee_overflow 0
		.amdhsa_exception_fp_ieee_underflow 0
		.amdhsa_exception_fp_ieee_inexact 0
		.amdhsa_exception_int_div_zero 0
	.end_amdhsa_kernel
	.section	.text._ZL26rocblas_dot_kernel_inc1by2ILb1ELi1024ELi32ELb0EfPKPKffEviT4_llS4_lliPT5_PT3_,"axG",@progbits,_ZL26rocblas_dot_kernel_inc1by2ILb1ELi1024ELi32ELb0EfPKPKffEviT4_llS4_lliPT5_PT3_,comdat
.Lfunc_end179:
	.size	_ZL26rocblas_dot_kernel_inc1by2ILb1ELi1024ELi32ELb0EfPKPKffEviT4_llS4_lliPT5_PT3_, .Lfunc_end179-_ZL26rocblas_dot_kernel_inc1by2ILb1ELi1024ELi32ELb0EfPKPKffEviT4_llS4_lliPT5_PT3_
                                        ; -- End function
	.section	.AMDGPU.csdata,"",@progbits
; Kernel info:
; codeLenInByte = 992
; NumSgprs: 21
; NumVgprs: 11
; ScratchSize: 0
; MemoryBound: 0
; FloatMode: 240
; IeeeMode: 1
; LDSByteSize: 128 bytes/workgroup (compile time only)
; SGPRBlocks: 2
; VGPRBlocks: 1
; NumSGPRsForWavesPerEU: 21
; NumVGPRsForWavesPerEU: 11
; Occupancy: 16
; WaveLimiterHint : 1
; COMPUTE_PGM_RSRC2:SCRATCH_EN: 0
; COMPUTE_PGM_RSRC2:USER_SGPR: 14
; COMPUTE_PGM_RSRC2:TRAP_HANDLER: 0
; COMPUTE_PGM_RSRC2:TGID_X_EN: 1
; COMPUTE_PGM_RSRC2:TGID_Y_EN: 0
; COMPUTE_PGM_RSRC2:TGID_Z_EN: 1
; COMPUTE_PGM_RSRC2:TIDIG_COMP_CNT: 0
	.section	.text._ZL18rocblas_dot_kernelIiLb1ELi1024ELi32ELb0EfPKPKffEviT5_lT_lS4_lS5_liPT6_PT4_,"axG",@progbits,_ZL18rocblas_dot_kernelIiLb1ELi1024ELi32ELb0EfPKPKffEviT5_lT_lS4_lS5_liPT6_PT4_,comdat
	.globl	_ZL18rocblas_dot_kernelIiLb1ELi1024ELi32ELb0EfPKPKffEviT5_lT_lS4_lS5_liPT6_PT4_ ; -- Begin function _ZL18rocblas_dot_kernelIiLb1ELi1024ELi32ELb0EfPKPKffEviT5_lT_lS4_lS5_liPT6_PT4_
	.p2align	8
	.type	_ZL18rocblas_dot_kernelIiLb1ELi1024ELi32ELb0EfPKPKffEviT5_lT_lS4_lS5_liPT6_PT4_,@function
_ZL18rocblas_dot_kernelIiLb1ELi1024ELi32ELb0EfPKPKffEviT5_lT_lS4_lS5_liPT6_PT4_: ; @_ZL18rocblas_dot_kernelIiLb1ELi1024ELi32ELb0EfPKPKffEviT5_lT_lS4_lS5_liPT6_PT4_
; %bb.0:
	s_clause 0x1
	s_load_b32 s10, s[0:1], 0x0
	s_load_b64 s[2:3], s[0:1], 0x58
	v_mov_b32_e32 v5, 0
	s_mov_b32 s8, s15
	s_mov_b32 s9, 0
	s_mov_b32 s11, exec_lo
	s_waitcnt lgkmcnt(0)
	v_cmpx_gt_i32_e64 s10, v0
	s_cbranch_execz .LBB180_4
; %bb.1:
	s_clause 0x4
	s_load_b128 s[12:15], s[0:1], 0x8
	s_load_b128 s[4:7], s[0:1], 0x28
	s_load_b32 s18, s[0:1], 0x18
	s_load_b32 s20, s[0:1], 0x38
	;; [unrolled: 1-line block ×3, first 2 shown]
	s_lshl_b64 s[0:1], s[8:9], 3
	v_mov_b32_e32 v5, 0
	s_waitcnt lgkmcnt(0)
	s_add_u32 s12, s12, s0
	s_addc_u32 s13, s13, s1
	s_add_u32 s0, s4, s0
	s_load_b64 s[12:13], s[12:13], 0x0
	s_addc_u32 s1, s5, s1
	v_mad_i64_i32 v[1:2], null, s18, v0, 0
	s_load_b64 s[16:17], s[0:1], 0x0
	v_mad_i64_i32 v[3:4], null, s20, v0, 0
	s_lshl_b32 s1, s19, 10
	s_lshl_b64 s[4:5], s[14:15], 2
	s_mul_hi_i32 s15, s18, s1
	s_delay_alu instid0(VALU_DEP_2) | instskip(SKIP_2) | instid1(VALU_DEP_3)
	v_lshlrev_b64 v[1:2], 2, v[1:2]
	s_mul_i32 s14, s18, s1
	v_or_b32_e32 v6, s1, v0
	v_lshlrev_b64 v[3:4], 2, v[3:4]
	s_mul_hi_i32 s19, s20, s1
	s_mul_i32 s18, s20, s1
	s_waitcnt lgkmcnt(0)
	s_add_u32 s0, s12, s4
	s_addc_u32 s12, s13, s5
	s_lshl_b64 s[6:7], s[6:7], 2
	s_lshl_b64 s[4:5], s[14:15], 2
	v_add_co_u32 v1, vcc_lo, s0, v1
	s_add_u32 s0, s16, s6
	v_add_co_ci_u32_e32 v2, vcc_lo, s12, v2, vcc_lo
	s_addc_u32 s6, s17, s7
	v_add_co_u32 v3, vcc_lo, s0, v3
	v_add_co_ci_u32_e32 v4, vcc_lo, s6, v4, vcc_lo
	s_lshl_b64 s[6:7], s[18:19], 2
	s_mov_b32 s12, s9
	s_mov_b32 s13, s9
	.p2align	6
.LBB180_2:                              ; =>This Inner Loop Header: Depth=1
	global_load_b32 v7, v[3:4], off
	global_load_b32 v8, v[1:2], off
	v_add_co_u32 v1, s0, v1, s4
	s_delay_alu instid0(VALU_DEP_1)
	v_add_co_ci_u32_e64 v2, s0, s5, v2, s0
	s_add_i32 s14, s13, 1
	v_cmp_le_i32_e32 vcc_lo, s10, v6
	v_add_co_u32 v3, s0, v3, s6
	s_cmp_gt_u32 s13, 30
	v_add_co_ci_u32_e64 v4, s0, s7, v4, s0
	s_cselect_b32 s0, -1, 0
	v_add_nc_u32_e32 v6, s1, v6
	s_or_b32 s0, s0, vcc_lo
	s_mov_b32 s13, s14
	s_and_b32 s0, exec_lo, s0
	s_delay_alu instid0(SALU_CYCLE_1)
	s_or_b32 s12, s0, s12
	s_waitcnt vmcnt(0)
	v_fmac_f32_e32 v5, v7, v8
	s_and_not1_b32 exec_lo, exec_lo, s12
	s_cbranch_execnz .LBB180_2
; %bb.3:
	s_or_b32 exec_lo, exec_lo, s12
.LBB180_4:
	s_delay_alu instid0(SALU_CYCLE_1) | instskip(SKIP_2) | instid1(VALU_DEP_2)
	s_or_b32 exec_lo, exec_lo, s11
	v_and_b32_e32 v7, 31, v0
	v_cmp_gt_u32_e32 vcc_lo, 32, v0
	v_lshlrev_b32_e32 v1, 2, v7
	s_and_saveexec_b32 s0, vcc_lo
	s_cbranch_execz .LBB180_6
; %bb.5:
	v_mov_b32_e32 v2, 0
	ds_store_b32 v1, v2
.LBB180_6:
	s_or_b32 exec_lo, exec_lo, s0
	v_mbcnt_lo_u32_b32 v6, -1, 0
	s_mov_b32 s1, exec_lo
	s_waitcnt lgkmcnt(0)
	s_barrier
	buffer_gl0_inv
	v_cmp_gt_u32_e64 s0, 16, v6
	s_delay_alu instid0(VALU_DEP_1) | instskip(SKIP_1) | instid1(VALU_DEP_2)
	v_cndmask_b32_e64 v2, 0, 1, s0
	v_cmp_gt_u32_e64 s0, 24, v6
	v_lshlrev_b32_e32 v2, 4, v2
	s_delay_alu instid0(VALU_DEP_2) | instskip(SKIP_1) | instid1(VALU_DEP_3)
	v_cndmask_b32_e64 v3, 0, 1, s0
	v_cmp_gt_u32_e64 s0, 28, v6
	v_add_lshl_u32 v2, v2, v6, 2
	ds_bpermute_b32 v4, v2, v5
	s_waitcnt lgkmcnt(0)
	v_add_f32_e32 v5, v5, v4
	v_lshlrev_b32_e32 v3, 3, v3
	v_cndmask_b32_e64 v4, 0, 1, s0
	v_cmp_gt_u32_e64 s0, 30, v6
	s_delay_alu instid0(VALU_DEP_3) | instskip(NEXT) | instid1(VALU_DEP_3)
	v_add_lshl_u32 v3, v3, v6, 2
	v_lshlrev_b32_e32 v4, 2, v4
	ds_bpermute_b32 v8, v3, v5
	v_add_lshl_u32 v4, v4, v6, 2
	s_waitcnt lgkmcnt(0)
	v_add_f32_e32 v8, v5, v8
	v_cndmask_b32_e64 v5, 0, 1, s0
	v_cmp_ne_u32_e64 s0, 31, v6
	ds_bpermute_b32 v9, v4, v8
	v_lshlrev_b32_e32 v5, 1, v5
	s_delay_alu instid0(VALU_DEP_1) | instskip(SKIP_1) | instid1(VALU_DEP_1)
	v_add_lshl_u32 v5, v5, v6, 2
	v_add_co_ci_u32_e64 v6, s0, 0, v6, s0
	v_lshlrev_b32_e32 v6, 2, v6
	s_waitcnt lgkmcnt(0)
	v_add_f32_e32 v8, v8, v9
	ds_bpermute_b32 v9, v5, v8
	s_waitcnt lgkmcnt(0)
	v_add_f32_e32 v8, v8, v9
	ds_bpermute_b32 v9, v6, v8
	v_cmpx_eq_u32_e32 0, v7
	s_cbranch_execz .LBB180_8
; %bb.7:
	v_lshrrev_b32_e32 v7, 3, v0
	s_waitcnt lgkmcnt(0)
	s_delay_alu instid0(VALU_DEP_1)
	v_dual_add_f32 v8, v8, v9 :: v_dual_and_b32 v7, 0x7c, v7
	ds_store_b32 v7, v8
.LBB180_8:
	s_or_b32 exec_lo, exec_lo, s1
	v_mov_b32_e32 v7, 0
	s_waitcnt lgkmcnt(0)
	s_barrier
	buffer_gl0_inv
	s_and_saveexec_b32 s0, vcc_lo
	s_cbranch_execz .LBB180_10
; %bb.9:
	ds_load_b32 v7, v1
.LBB180_10:
	s_or_b32 exec_lo, exec_lo, s0
	s_and_saveexec_b32 s0, vcc_lo
	s_cbranch_execz .LBB180_12
; %bb.11:
	s_waitcnt lgkmcnt(0)
	ds_bpermute_b32 v1, v2, v7
	s_waitcnt lgkmcnt(0)
	v_add_f32_e32 v1, v7, v1
	ds_bpermute_b32 v2, v3, v1
	s_waitcnt lgkmcnt(0)
	v_add_f32_e32 v1, v1, v2
	;; [unrolled: 3-line block ×5, first 2 shown]
.LBB180_12:
	s_or_b32 exec_lo, exec_lo, s0
	s_delay_alu instid0(SALU_CYCLE_1)
	s_mov_b32 s0, exec_lo
	v_cmpx_eq_u32_e32 0, v0
	s_cbranch_execz .LBB180_14
; %bb.13:
	s_lshl_b64 s[0:1], s[8:9], 2
	v_mov_b32_e32 v0, 0
	s_add_u32 s0, s2, s0
	s_addc_u32 s1, s3, s1
	s_waitcnt lgkmcnt(0)
	global_store_b32 v0, v7, s[0:1]
.LBB180_14:
	s_nop 0
	s_sendmsg sendmsg(MSG_DEALLOC_VGPRS)
	s_endpgm
	.section	.rodata,"a",@progbits
	.p2align	6, 0x0
	.amdhsa_kernel _ZL18rocblas_dot_kernelIiLb1ELi1024ELi32ELb0EfPKPKffEviT5_lT_lS4_lS5_liPT6_PT4_
		.amdhsa_group_segment_fixed_size 128
		.amdhsa_private_segment_fixed_size 0
		.amdhsa_kernarg_size 352
		.amdhsa_user_sgpr_count 14
		.amdhsa_user_sgpr_dispatch_ptr 0
		.amdhsa_user_sgpr_queue_ptr 0
		.amdhsa_user_sgpr_kernarg_segment_ptr 1
		.amdhsa_user_sgpr_dispatch_id 0
		.amdhsa_user_sgpr_private_segment_size 0
		.amdhsa_wavefront_size32 1
		.amdhsa_uses_dynamic_stack 0
		.amdhsa_enable_private_segment 0
		.amdhsa_system_sgpr_workgroup_id_x 1
		.amdhsa_system_sgpr_workgroup_id_y 0
		.amdhsa_system_sgpr_workgroup_id_z 1
		.amdhsa_system_sgpr_workgroup_info 0
		.amdhsa_system_vgpr_workitem_id 0
		.amdhsa_next_free_vgpr 10
		.amdhsa_next_free_sgpr 21
		.amdhsa_reserve_vcc 1
		.amdhsa_float_round_mode_32 0
		.amdhsa_float_round_mode_16_64 0
		.amdhsa_float_denorm_mode_32 3
		.amdhsa_float_denorm_mode_16_64 3
		.amdhsa_dx10_clamp 1
		.amdhsa_ieee_mode 1
		.amdhsa_fp16_overflow 0
		.amdhsa_workgroup_processor_mode 1
		.amdhsa_memory_ordered 1
		.amdhsa_forward_progress 0
		.amdhsa_shared_vgpr_count 0
		.amdhsa_exception_fp_ieee_invalid_op 0
		.amdhsa_exception_fp_denorm_src 0
		.amdhsa_exception_fp_ieee_div_zero 0
		.amdhsa_exception_fp_ieee_overflow 0
		.amdhsa_exception_fp_ieee_underflow 0
		.amdhsa_exception_fp_ieee_inexact 0
		.amdhsa_exception_int_div_zero 0
	.end_amdhsa_kernel
	.section	.text._ZL18rocblas_dot_kernelIiLb1ELi1024ELi32ELb0EfPKPKffEviT5_lT_lS4_lS5_liPT6_PT4_,"axG",@progbits,_ZL18rocblas_dot_kernelIiLb1ELi1024ELi32ELb0EfPKPKffEviT5_lT_lS4_lS5_liPT6_PT4_,comdat
.Lfunc_end180:
	.size	_ZL18rocblas_dot_kernelIiLb1ELi1024ELi32ELb0EfPKPKffEviT5_lT_lS4_lS5_liPT6_PT4_, .Lfunc_end180-_ZL18rocblas_dot_kernelIiLb1ELi1024ELi32ELb0EfPKPKffEviT5_lT_lS4_lS5_liPT6_PT4_
                                        ; -- End function
	.section	.AMDGPU.csdata,"",@progbits
; Kernel info:
; codeLenInByte = 908
; NumSgprs: 23
; NumVgprs: 10
; ScratchSize: 0
; MemoryBound: 0
; FloatMode: 240
; IeeeMode: 1
; LDSByteSize: 128 bytes/workgroup (compile time only)
; SGPRBlocks: 2
; VGPRBlocks: 1
; NumSGPRsForWavesPerEU: 23
; NumVGPRsForWavesPerEU: 10
; Occupancy: 16
; WaveLimiterHint : 0
; COMPUTE_PGM_RSRC2:SCRATCH_EN: 0
; COMPUTE_PGM_RSRC2:USER_SGPR: 14
; COMPUTE_PGM_RSRC2:TRAP_HANDLER: 0
; COMPUTE_PGM_RSRC2:TGID_X_EN: 1
; COMPUTE_PGM_RSRC2:TGID_Y_EN: 0
; COMPUTE_PGM_RSRC2:TGID_Z_EN: 1
; COMPUTE_PGM_RSRC2:TIDIG_COMP_CNT: 0
	.section	.text._ZL24rocblas_dot_kernel_magsqIiLb1ELi1024ELi32ELb0EfPKPKffEviT5_lT_liPT6_PT4_,"axG",@progbits,_ZL24rocblas_dot_kernel_magsqIiLb1ELi1024ELi32ELb0EfPKPKffEviT5_lT_liPT6_PT4_,comdat
	.globl	_ZL24rocblas_dot_kernel_magsqIiLb1ELi1024ELi32ELb0EfPKPKffEviT5_lT_liPT6_PT4_ ; -- Begin function _ZL24rocblas_dot_kernel_magsqIiLb1ELi1024ELi32ELb0EfPKPKffEviT5_lT_liPT6_PT4_
	.p2align	8
	.type	_ZL24rocblas_dot_kernel_magsqIiLb1ELi1024ELi32ELb0EfPKPKffEviT5_lT_liPT6_PT4_,@function
_ZL24rocblas_dot_kernel_magsqIiLb1ELi1024ELi32ELb0EfPKPKffEviT5_lT_liPT6_PT4_: ; @_ZL24rocblas_dot_kernel_magsqIiLb1ELi1024ELi32ELb0EfPKPKffEviT5_lT_liPT6_PT4_
; %bb.0:
	s_clause 0x1
	s_load_b32 s8, s[0:1], 0x0
	s_load_b64 s[2:3], s[0:1], 0x38
	v_mov_b32_e32 v3, 0
	s_mov_b32 s4, s15
	s_mov_b32 s5, 0
	s_mov_b32 s9, exec_lo
	s_waitcnt lgkmcnt(0)
	v_cmpx_gt_i32_e64 s8, v0
	s_cbranch_execz .LBB181_4
; %bb.1:
	s_clause 0x2
	s_load_b128 s[12:15], s[0:1], 0x8
	s_load_b32 s16, s[0:1], 0x18
	s_load_b32 s10, s[0:1], 0x40
	s_lshl_b64 s[0:1], s[4:5], 3
	v_mov_b32_e32 v3, 0
	s_waitcnt lgkmcnt(0)
	s_add_u32 s0, s12, s0
	s_addc_u32 s1, s13, s1
	v_mad_i64_i32 v[1:2], null, s16, v0, 0
	s_load_b64 s[6:7], s[0:1], 0x0
	s_lshl_b32 s1, s10, 10
	s_lshl_b64 s[10:11], s[14:15], 2
	v_or_b32_e32 v4, s1, v0
	s_mul_hi_i32 s13, s16, s1
	s_mul_i32 s12, s16, s1
	s_delay_alu instid0(VALU_DEP_2) | instskip(SKIP_3) | instid1(VALU_DEP_1)
	v_lshlrev_b64 v[1:2], 2, v[1:2]
	s_waitcnt lgkmcnt(0)
	s_add_u32 s0, s6, s10
	s_addc_u32 s6, s7, s11
	v_add_co_u32 v1, vcc_lo, s0, v1
	s_delay_alu instid0(VALU_DEP_2)
	v_add_co_ci_u32_e32 v2, vcc_lo, s6, v2, vcc_lo
	s_lshl_b64 s[6:7], s[12:13], 2
	s_mov_b32 s10, s5
	s_mov_b32 s11, s5
	.p2align	6
.LBB181_2:                              ; =>This Inner Loop Header: Depth=1
	global_load_b32 v5, v[1:2], off
	s_add_i32 s12, s11, 1
	v_cmp_le_i32_e32 vcc_lo, s8, v4
	v_add_co_u32 v1, s0, v1, s6
	s_cmp_gt_u32 s11, 30
	v_add_co_ci_u32_e64 v2, s0, s7, v2, s0
	s_cselect_b32 s0, -1, 0
	v_add_nc_u32_e32 v4, s1, v4
	s_or_b32 s0, s0, vcc_lo
	s_mov_b32 s11, s12
	s_and_b32 s0, exec_lo, s0
	s_delay_alu instid0(SALU_CYCLE_1)
	s_or_b32 s10, s0, s10
	s_waitcnt vmcnt(0)
	v_fmac_f32_e32 v3, v5, v5
	s_and_not1_b32 exec_lo, exec_lo, s10
	s_cbranch_execnz .LBB181_2
; %bb.3:
	s_or_b32 exec_lo, exec_lo, s10
.LBB181_4:
	s_delay_alu instid0(SALU_CYCLE_1) | instskip(SKIP_2) | instid1(VALU_DEP_2)
	s_or_b32 exec_lo, exec_lo, s9
	v_and_b32_e32 v7, 31, v0
	v_cmp_gt_u32_e32 vcc_lo, 32, v0
	v_lshlrev_b32_e32 v1, 2, v7
	s_and_saveexec_b32 s0, vcc_lo
	s_cbranch_execz .LBB181_6
; %bb.5:
	v_mov_b32_e32 v2, 0
	ds_store_b32 v1, v2
.LBB181_6:
	s_or_b32 exec_lo, exec_lo, s0
	v_mbcnt_lo_u32_b32 v6, -1, 0
	s_mov_b32 s1, exec_lo
	s_waitcnt lgkmcnt(0)
	s_barrier
	buffer_gl0_inv
	v_cmp_gt_u32_e64 s0, 16, v6
	s_delay_alu instid0(VALU_DEP_1) | instskip(SKIP_1) | instid1(VALU_DEP_2)
	v_cndmask_b32_e64 v2, 0, 1, s0
	v_cmp_gt_u32_e64 s0, 24, v6
	v_lshlrev_b32_e32 v2, 4, v2
	s_delay_alu instid0(VALU_DEP_2) | instskip(SKIP_1) | instid1(VALU_DEP_3)
	v_cndmask_b32_e64 v4, 0, 1, s0
	v_cmp_gt_u32_e64 s0, 28, v6
	v_add_lshl_u32 v2, v2, v6, 2
	s_delay_alu instid0(VALU_DEP_3)
	v_lshlrev_b32_e32 v4, 3, v4
	ds_bpermute_b32 v5, v2, v3
	v_add_lshl_u32 v4, v4, v6, 2
	s_waitcnt lgkmcnt(0)
	v_add_f32_e32 v5, v3, v5
	v_cndmask_b32_e64 v3, 0, 1, s0
	v_cmp_gt_u32_e64 s0, 30, v6
	ds_bpermute_b32 v8, v4, v5
	s_waitcnt lgkmcnt(0)
	v_dual_add_f32 v8, v5, v8 :: v_dual_lshlrev_b32 v3, 2, v3
	s_delay_alu instid0(VALU_DEP_1) | instskip(SKIP_4) | instid1(VALU_DEP_1)
	v_add_lshl_u32 v3, v3, v6, 2
	v_cndmask_b32_e64 v5, 0, 1, s0
	v_cmp_ne_u32_e64 s0, 31, v6
	ds_bpermute_b32 v9, v3, v8
	v_lshlrev_b32_e32 v5, 1, v5
	v_add_lshl_u32 v5, v5, v6, 2
	v_add_co_ci_u32_e64 v6, s0, 0, v6, s0
	s_delay_alu instid0(VALU_DEP_1)
	v_lshlrev_b32_e32 v6, 2, v6
	s_waitcnt lgkmcnt(0)
	v_add_f32_e32 v8, v8, v9
	ds_bpermute_b32 v9, v5, v8
	s_waitcnt lgkmcnt(0)
	v_add_f32_e32 v8, v8, v9
	ds_bpermute_b32 v9, v6, v8
	v_cmpx_eq_u32_e32 0, v7
	s_cbranch_execz .LBB181_8
; %bb.7:
	v_lshrrev_b32_e32 v7, 3, v0
	s_waitcnt lgkmcnt(0)
	s_delay_alu instid0(VALU_DEP_1)
	v_dual_add_f32 v8, v8, v9 :: v_dual_and_b32 v7, 0x7c, v7
	ds_store_b32 v7, v8
.LBB181_8:
	s_or_b32 exec_lo, exec_lo, s1
	v_mov_b32_e32 v7, 0
	s_waitcnt lgkmcnt(0)
	s_barrier
	buffer_gl0_inv
	s_and_saveexec_b32 s0, vcc_lo
	s_cbranch_execz .LBB181_10
; %bb.9:
	ds_load_b32 v7, v1
.LBB181_10:
	s_or_b32 exec_lo, exec_lo, s0
	s_and_saveexec_b32 s0, vcc_lo
	s_cbranch_execz .LBB181_12
; %bb.11:
	s_waitcnt lgkmcnt(0)
	ds_bpermute_b32 v1, v2, v7
	s_waitcnt lgkmcnt(0)
	v_add_f32_e32 v1, v7, v1
	ds_bpermute_b32 v2, v4, v1
	s_waitcnt lgkmcnt(0)
	v_add_f32_e32 v1, v1, v2
	;; [unrolled: 3-line block ×5, first 2 shown]
.LBB181_12:
	s_or_b32 exec_lo, exec_lo, s0
	s_delay_alu instid0(SALU_CYCLE_1)
	s_mov_b32 s0, exec_lo
	v_cmpx_eq_u32_e32 0, v0
	s_cbranch_execz .LBB181_14
; %bb.13:
	s_lshl_b64 s[0:1], s[4:5], 2
	v_mov_b32_e32 v0, 0
	s_add_u32 s0, s2, s0
	s_addc_u32 s1, s3, s1
	s_waitcnt lgkmcnt(0)
	global_store_b32 v0, v7, s[0:1]
.LBB181_14:
	s_nop 0
	s_sendmsg sendmsg(MSG_DEALLOC_VGPRS)
	s_endpgm
	.section	.rodata,"a",@progbits
	.p2align	6, 0x0
	.amdhsa_kernel _ZL24rocblas_dot_kernel_magsqIiLb1ELi1024ELi32ELb0EfPKPKffEviT5_lT_liPT6_PT4_
		.amdhsa_group_segment_fixed_size 128
		.amdhsa_private_segment_fixed_size 0
		.amdhsa_kernarg_size 320
		.amdhsa_user_sgpr_count 14
		.amdhsa_user_sgpr_dispatch_ptr 0
		.amdhsa_user_sgpr_queue_ptr 0
		.amdhsa_user_sgpr_kernarg_segment_ptr 1
		.amdhsa_user_sgpr_dispatch_id 0
		.amdhsa_user_sgpr_private_segment_size 0
		.amdhsa_wavefront_size32 1
		.amdhsa_uses_dynamic_stack 0
		.amdhsa_enable_private_segment 0
		.amdhsa_system_sgpr_workgroup_id_x 1
		.amdhsa_system_sgpr_workgroup_id_y 0
		.amdhsa_system_sgpr_workgroup_id_z 1
		.amdhsa_system_sgpr_workgroup_info 0
		.amdhsa_system_vgpr_workitem_id 0
		.amdhsa_next_free_vgpr 10
		.amdhsa_next_free_sgpr 17
		.amdhsa_reserve_vcc 1
		.amdhsa_float_round_mode_32 0
		.amdhsa_float_round_mode_16_64 0
		.amdhsa_float_denorm_mode_32 3
		.amdhsa_float_denorm_mode_16_64 3
		.amdhsa_dx10_clamp 1
		.amdhsa_ieee_mode 1
		.amdhsa_fp16_overflow 0
		.amdhsa_workgroup_processor_mode 1
		.amdhsa_memory_ordered 1
		.amdhsa_forward_progress 0
		.amdhsa_shared_vgpr_count 0
		.amdhsa_exception_fp_ieee_invalid_op 0
		.amdhsa_exception_fp_denorm_src 0
		.amdhsa_exception_fp_ieee_div_zero 0
		.amdhsa_exception_fp_ieee_overflow 0
		.amdhsa_exception_fp_ieee_underflow 0
		.amdhsa_exception_fp_ieee_inexact 0
		.amdhsa_exception_int_div_zero 0
	.end_amdhsa_kernel
	.section	.text._ZL24rocblas_dot_kernel_magsqIiLb1ELi1024ELi32ELb0EfPKPKffEviT5_lT_liPT6_PT4_,"axG",@progbits,_ZL24rocblas_dot_kernel_magsqIiLb1ELi1024ELi32ELb0EfPKPKffEviT5_lT_liPT6_PT4_,comdat
.Lfunc_end181:
	.size	_ZL24rocblas_dot_kernel_magsqIiLb1ELi1024ELi32ELb0EfPKPKffEviT5_lT_liPT6_PT4_, .Lfunc_end181-_ZL24rocblas_dot_kernel_magsqIiLb1ELi1024ELi32ELb0EfPKPKffEviT5_lT_liPT6_PT4_
                                        ; -- End function
	.section	.AMDGPU.csdata,"",@progbits
; Kernel info:
; codeLenInByte = 804
; NumSgprs: 19
; NumVgprs: 10
; ScratchSize: 0
; MemoryBound: 0
; FloatMode: 240
; IeeeMode: 1
; LDSByteSize: 128 bytes/workgroup (compile time only)
; SGPRBlocks: 2
; VGPRBlocks: 1
; NumSGPRsForWavesPerEU: 19
; NumVGPRsForWavesPerEU: 10
; Occupancy: 16
; WaveLimiterHint : 0
; COMPUTE_PGM_RSRC2:SCRATCH_EN: 0
; COMPUTE_PGM_RSRC2:USER_SGPR: 14
; COMPUTE_PGM_RSRC2:TRAP_HANDLER: 0
; COMPUTE_PGM_RSRC2:TGID_X_EN: 1
; COMPUTE_PGM_RSRC2:TGID_Y_EN: 0
; COMPUTE_PGM_RSRC2:TGID_Z_EN: 1
; COMPUTE_PGM_RSRC2:TIDIG_COMP_CNT: 0
	.section	.text._ZL38rocblas_dot_kernel_gfx942_float_doubleIiLi1024EfPKPKffEviT2_lT_lS4_lS5_lPT3_PT1_,"axG",@progbits,_ZL38rocblas_dot_kernel_gfx942_float_doubleIiLi1024EfPKPKffEviT2_lT_lS4_lS5_lPT3_PT1_,comdat
	.globl	_ZL38rocblas_dot_kernel_gfx942_float_doubleIiLi1024EfPKPKffEviT2_lT_lS4_lS5_lPT3_PT1_ ; -- Begin function _ZL38rocblas_dot_kernel_gfx942_float_doubleIiLi1024EfPKPKffEviT2_lT_lS4_lS5_lPT3_PT1_
	.p2align	8
	.type	_ZL38rocblas_dot_kernel_gfx942_float_doubleIiLi1024EfPKPKffEviT2_lT_lS4_lS5_lPT3_PT1_,@function
_ZL38rocblas_dot_kernel_gfx942_float_doubleIiLi1024EfPKPKffEviT2_lT_lS4_lS5_lPT3_PT1_: ; @_ZL38rocblas_dot_kernel_gfx942_float_doubleIiLi1024EfPKPKffEviT2_lT_lS4_lS5_lPT3_PT1_
; %bb.0:
	s_endpgm
	.section	.rodata,"a",@progbits
	.p2align	6, 0x0
	.amdhsa_kernel _ZL38rocblas_dot_kernel_gfx942_float_doubleIiLi1024EfPKPKffEviT2_lT_lS4_lS5_lPT3_PT1_
		.amdhsa_group_segment_fixed_size 0
		.amdhsa_private_segment_fixed_size 0
		.amdhsa_kernarg_size 88
		.amdhsa_user_sgpr_count 15
		.amdhsa_user_sgpr_dispatch_ptr 0
		.amdhsa_user_sgpr_queue_ptr 0
		.amdhsa_user_sgpr_kernarg_segment_ptr 1
		.amdhsa_user_sgpr_dispatch_id 0
		.amdhsa_user_sgpr_private_segment_size 0
		.amdhsa_wavefront_size32 1
		.amdhsa_uses_dynamic_stack 0
		.amdhsa_enable_private_segment 0
		.amdhsa_system_sgpr_workgroup_id_x 1
		.amdhsa_system_sgpr_workgroup_id_y 0
		.amdhsa_system_sgpr_workgroup_id_z 0
		.amdhsa_system_sgpr_workgroup_info 0
		.amdhsa_system_vgpr_workitem_id 0
		.amdhsa_next_free_vgpr 1
		.amdhsa_next_free_sgpr 1
		.amdhsa_reserve_vcc 0
		.amdhsa_float_round_mode_32 0
		.amdhsa_float_round_mode_16_64 0
		.amdhsa_float_denorm_mode_32 3
		.amdhsa_float_denorm_mode_16_64 3
		.amdhsa_dx10_clamp 1
		.amdhsa_ieee_mode 1
		.amdhsa_fp16_overflow 0
		.amdhsa_workgroup_processor_mode 1
		.amdhsa_memory_ordered 1
		.amdhsa_forward_progress 0
		.amdhsa_shared_vgpr_count 0
		.amdhsa_exception_fp_ieee_invalid_op 0
		.amdhsa_exception_fp_denorm_src 0
		.amdhsa_exception_fp_ieee_div_zero 0
		.amdhsa_exception_fp_ieee_overflow 0
		.amdhsa_exception_fp_ieee_underflow 0
		.amdhsa_exception_fp_ieee_inexact 0
		.amdhsa_exception_int_div_zero 0
	.end_amdhsa_kernel
	.section	.text._ZL38rocblas_dot_kernel_gfx942_float_doubleIiLi1024EfPKPKffEviT2_lT_lS4_lS5_lPT3_PT1_,"axG",@progbits,_ZL38rocblas_dot_kernel_gfx942_float_doubleIiLi1024EfPKPKffEviT2_lT_lS4_lS5_lPT3_PT1_,comdat
.Lfunc_end182:
	.size	_ZL38rocblas_dot_kernel_gfx942_float_doubleIiLi1024EfPKPKffEviT2_lT_lS4_lS5_lPT3_PT1_, .Lfunc_end182-_ZL38rocblas_dot_kernel_gfx942_float_doubleIiLi1024EfPKPKffEviT2_lT_lS4_lS5_lPT3_PT1_
                                        ; -- End function
	.section	.AMDGPU.csdata,"",@progbits
; Kernel info:
; codeLenInByte = 4
; NumSgprs: 0
; NumVgprs: 0
; ScratchSize: 0
; MemoryBound: 0
; FloatMode: 240
; IeeeMode: 1
; LDSByteSize: 0 bytes/workgroup (compile time only)
; SGPRBlocks: 0
; VGPRBlocks: 0
; NumSGPRsForWavesPerEU: 1
; NumVGPRsForWavesPerEU: 1
; Occupancy: 16
; WaveLimiterHint : 0
; COMPUTE_PGM_RSRC2:SCRATCH_EN: 0
; COMPUTE_PGM_RSRC2:USER_SGPR: 15
; COMPUTE_PGM_RSRC2:TRAP_HANDLER: 0
; COMPUTE_PGM_RSRC2:TGID_X_EN: 1
; COMPUTE_PGM_RSRC2:TGID_Y_EN: 0
; COMPUTE_PGM_RSRC2:TGID_Z_EN: 0
; COMPUTE_PGM_RSRC2:TIDIG_COMP_CNT: 0
	.section	.text._ZL23rocblas_dot_kernel_inc1ILb0ELi512ELi4ELb0EfPKPKffEviT4_llS4_lliPT5_PT3_,"axG",@progbits,_ZL23rocblas_dot_kernel_inc1ILb0ELi512ELi4ELb0EfPKPKffEviT4_llS4_lliPT5_PT3_,comdat
	.globl	_ZL23rocblas_dot_kernel_inc1ILb0ELi512ELi4ELb0EfPKPKffEviT4_llS4_lliPT5_PT3_ ; -- Begin function _ZL23rocblas_dot_kernel_inc1ILb0ELi512ELi4ELb0EfPKPKffEviT4_llS4_lliPT5_PT3_
	.p2align	8
	.type	_ZL23rocblas_dot_kernel_inc1ILb0ELi512ELi4ELb0EfPKPKffEviT4_llS4_lliPT5_PT3_,@function
_ZL23rocblas_dot_kernel_inc1ILb0ELi512ELi4ELb0EfPKPKffEviT4_llS4_lliPT5_PT3_: ; @_ZL23rocblas_dot_kernel_inc1ILb0ELi512ELi4ELb0EfPKPKffEviT4_llS4_lliPT5_PT3_
; %bb.0:
	s_clause 0x2
	s_load_b32 s12, s[0:1], 0x50
	s_load_b32 s13, s[0:1], 0x0
	s_load_b128 s[4:7], s[0:1], 0x40
	v_lshl_or_b32 v3, s14, 9, v0
	v_mov_b32_e32 v5, 0
	s_mov_b32 s2, s15
	s_mov_b32 s3, 0
	s_mov_b32 s15, exec_lo
	s_waitcnt lgkmcnt(0)
	v_cmpx_gt_i32_e64 s13, v3
	s_cbranch_execz .LBB183_4
; %bb.1:
	s_clause 0x1
	s_load_b128 s[8:11], s[0:1], 0x8
	s_load_b128 s[20:23], s[0:1], 0x20
	s_lshl_b64 s[18:19], s[2:3], 3
	v_ashrrev_i32_e32 v4, 31, v3
	v_mov_b32_e32 v5, 0
	s_delay_alu instid0(VALU_DEP_2)
	v_lshlrev_b64 v[1:2], 2, v[3:4]
	s_waitcnt lgkmcnt(0)
	s_add_u32 s0, s8, s18
	s_addc_u32 s1, s9, s19
	s_lshl_b64 s[10:11], s[10:11], 2
	s_load_b64 s[8:9], s[0:1], 0x0
	s_waitcnt lgkmcnt(0)
	s_add_u32 s1, s8, s10
	s_addc_u32 s16, s9, s11
	s_add_u32 s8, s20, s18
	s_addc_u32 s9, s21, s19
	s_lshl_b64 s[10:11], s[22:23], 2
	s_load_b64 s[8:9], s[8:9], 0x0
	s_mov_b32 s19, s3
	s_waitcnt lgkmcnt(0)
	s_add_u32 s17, s8, s10
	s_addc_u32 s18, s9, s11
	s_lshl_b32 s8, s12, 9
	s_delay_alu instid0(SALU_CYCLE_1) | instskip(SKIP_1) | instid1(SALU_CYCLE_1)
	v_add_nc_u32_e32 v3, s8, v3
	s_ashr_i32 s9, s8, 31
	s_lshl_b64 s[10:11], s[8:9], 2
	s_mov_b32 s9, s3
	.p2align	6
.LBB183_2:                              ; =>This Inner Loop Header: Depth=1
	v_add_co_u32 v6, vcc_lo, s17, v1
	v_add_co_ci_u32_e32 v7, vcc_lo, s18, v2, vcc_lo
	v_add_co_u32 v8, vcc_lo, s1, v1
	v_add_co_ci_u32_e32 v9, vcc_lo, s16, v2, vcc_lo
	s_add_i32 s20, s19, 1
	global_load_b32 v4, v[6:7], off
	global_load_b32 v6, v[8:9], off
	v_cmp_le_i32_e32 vcc_lo, s13, v3
	v_add_co_u32 v1, s0, v1, s10
	s_cmp_gt_u32 s19, 2
	v_add_co_ci_u32_e64 v2, s0, s11, v2, s0
	s_cselect_b32 s0, -1, 0
	v_add_nc_u32_e32 v3, s8, v3
	s_or_b32 s0, s0, vcc_lo
	s_mov_b32 s19, s20
	s_and_b32 s0, exec_lo, s0
	s_delay_alu instid0(SALU_CYCLE_1)
	s_or_b32 s9, s0, s9
	s_waitcnt vmcnt(0)
	v_fmac_f32_e32 v5, v4, v6
	s_and_not1_b32 exec_lo, exec_lo, s9
	s_cbranch_execnz .LBB183_2
; %bb.3:
	s_or_b32 exec_lo, exec_lo, s9
.LBB183_4:
	s_delay_alu instid0(SALU_CYCLE_1) | instskip(SKIP_2) | instid1(VALU_DEP_2)
	s_or_b32 exec_lo, exec_lo, s15
	v_and_b32_e32 v2, 31, v0
	v_cmp_gt_u32_e32 vcc_lo, 32, v0
	v_lshlrev_b32_e32 v1, 2, v2
	s_and_saveexec_b32 s0, vcc_lo
	s_cbranch_execz .LBB183_6
; %bb.5:
	v_mov_b32_e32 v3, 0
	ds_store_b32 v1, v3
.LBB183_6:
	s_or_b32 exec_lo, exec_lo, s0
	v_mbcnt_lo_u32_b32 v6, -1, 0
	s_mov_b32 s1, exec_lo
	s_waitcnt lgkmcnt(0)
	s_barrier
	buffer_gl0_inv
	v_cmp_gt_u32_e64 s0, 16, v6
	s_delay_alu instid0(VALU_DEP_1) | instskip(SKIP_1) | instid1(VALU_DEP_2)
	v_cndmask_b32_e64 v3, 0, 1, s0
	v_cmp_gt_u32_e64 s0, 24, v6
	v_lshlrev_b32_e32 v3, 4, v3
	s_delay_alu instid0(VALU_DEP_1) | instskip(SKIP_3) | instid1(VALU_DEP_2)
	v_add_lshl_u32 v3, v3, v6, 2
	ds_bpermute_b32 v4, v3, v5
	v_cndmask_b32_e64 v3, 0, 1, s0
	v_cmp_gt_u32_e64 s0, 28, v6
	v_lshlrev_b32_e32 v3, 3, v3
	s_delay_alu instid0(VALU_DEP_1)
	v_add_lshl_u32 v3, v3, v6, 2
	s_waitcnt lgkmcnt(0)
	v_add_f32_e32 v5, v5, v4
	v_cndmask_b32_e64 v4, 0, 1, s0
	v_cmp_gt_u32_e64 s0, 30, v6
	ds_bpermute_b32 v7, v3, v5
	s_waitcnt lgkmcnt(0)
	v_dual_add_f32 v7, v5, v7 :: v_dual_lshlrev_b32 v4, 2, v4
	s_delay_alu instid0(VALU_DEP_1) | instskip(SKIP_4) | instid1(VALU_DEP_1)
	v_add_lshl_u32 v4, v4, v6, 2
	v_cndmask_b32_e64 v5, 0, 1, s0
	v_cmp_ne_u32_e64 s0, 31, v6
	ds_bpermute_b32 v8, v4, v7
	v_lshlrev_b32_e32 v5, 1, v5
	v_add_lshl_u32 v5, v5, v6, 2
	v_add_co_ci_u32_e64 v6, s0, 0, v6, s0
	s_waitcnt lgkmcnt(0)
	s_delay_alu instid0(VALU_DEP_1)
	v_dual_add_f32 v7, v7, v8 :: v_dual_lshlrev_b32 v6, 2, v6
	ds_bpermute_b32 v8, v5, v7
	s_waitcnt lgkmcnt(0)
	v_add_f32_e32 v7, v7, v8
	ds_bpermute_b32 v8, v6, v7
	v_cmpx_eq_u32_e32 0, v2
	s_cbranch_execz .LBB183_8
; %bb.7:
	v_lshrrev_b32_e32 v2, 3, v0
	s_waitcnt lgkmcnt(0)
	s_delay_alu instid0(VALU_DEP_1)
	v_dual_add_f32 v7, v7, v8 :: v_dual_and_b32 v2, 60, v2
	ds_store_b32 v2, v7
.LBB183_8:
	s_or_b32 exec_lo, exec_lo, s1
	v_mov_b32_e32 v2, 0
	s_mov_b32 s1, exec_lo
	s_waitcnt lgkmcnt(0)
	s_barrier
	buffer_gl0_inv
	v_cmpx_gt_u32_e32 16, v0
	s_cbranch_execz .LBB183_10
; %bb.9:
	ds_load_b32 v2, v1
.LBB183_10:
	s_or_b32 exec_lo, exec_lo, s1
	s_and_saveexec_b32 s0, vcc_lo
	s_cbranch_execz .LBB183_12
; %bb.11:
	s_waitcnt lgkmcnt(0)
	ds_bpermute_b32 v1, v3, v2
	s_waitcnt lgkmcnt(0)
	v_add_f32_e32 v1, v2, v1
	ds_bpermute_b32 v2, v4, v1
	s_waitcnt lgkmcnt(0)
	v_add_f32_e32 v1, v1, v2
	;; [unrolled: 3-line block ×4, first 2 shown]
.LBB183_12:
	s_or_b32 exec_lo, exec_lo, s0
	s_delay_alu instid0(SALU_CYCLE_1)
	s_mov_b32 s0, exec_lo
	v_cmpx_eq_u32_e32 0, v0
	s_cbranch_execz .LBB183_18
; %bb.13:
	s_cmp_lg_u32 s12, 1
	s_cbranch_scc0 .LBB183_15
; %bb.14:
	s_mul_hi_u32 s1, s12, s2
	s_mul_i32 s0, s12, s2
	s_mov_b32 s15, 0
	s_lshl_b64 s[0:1], s[0:1], 2
	s_delay_alu instid0(SALU_CYCLE_1) | instskip(SKIP_2) | instid1(SALU_CYCLE_1)
	s_add_u32 s4, s4, s0
	s_addc_u32 s5, s5, s1
	s_lshl_b64 s[0:1], s[14:15], 2
	s_add_u32 s0, s4, s0
	s_addc_u32 s1, s5, s1
	s_cbranch_execz .LBB183_16
	s_branch .LBB183_17
.LBB183_15:
                                        ; implicit-def: $sgpr0_sgpr1
.LBB183_16:
	s_lshl_b64 s[0:1], s[2:3], 2
	s_delay_alu instid0(SALU_CYCLE_1)
	s_add_u32 s0, s6, s0
	s_addc_u32 s1, s7, s1
.LBB183_17:
	v_mov_b32_e32 v0, 0
	s_waitcnt lgkmcnt(0)
	global_store_b32 v0, v2, s[0:1]
.LBB183_18:
	s_nop 0
	s_sendmsg sendmsg(MSG_DEALLOC_VGPRS)
	s_endpgm
	.section	.rodata,"a",@progbits
	.p2align	6, 0x0
	.amdhsa_kernel _ZL23rocblas_dot_kernel_inc1ILb0ELi512ELi4ELb0EfPKPKffEviT4_llS4_lliPT5_PT3_
		.amdhsa_group_segment_fixed_size 128
		.amdhsa_private_segment_fixed_size 0
		.amdhsa_kernarg_size 336
		.amdhsa_user_sgpr_count 14
		.amdhsa_user_sgpr_dispatch_ptr 0
		.amdhsa_user_sgpr_queue_ptr 0
		.amdhsa_user_sgpr_kernarg_segment_ptr 1
		.amdhsa_user_sgpr_dispatch_id 0
		.amdhsa_user_sgpr_private_segment_size 0
		.amdhsa_wavefront_size32 1
		.amdhsa_uses_dynamic_stack 0
		.amdhsa_enable_private_segment 0
		.amdhsa_system_sgpr_workgroup_id_x 1
		.amdhsa_system_sgpr_workgroup_id_y 0
		.amdhsa_system_sgpr_workgroup_id_z 1
		.amdhsa_system_sgpr_workgroup_info 0
		.amdhsa_system_vgpr_workitem_id 0
		.amdhsa_next_free_vgpr 10
		.amdhsa_next_free_sgpr 24
		.amdhsa_reserve_vcc 1
		.amdhsa_float_round_mode_32 0
		.amdhsa_float_round_mode_16_64 0
		.amdhsa_float_denorm_mode_32 3
		.amdhsa_float_denorm_mode_16_64 3
		.amdhsa_dx10_clamp 1
		.amdhsa_ieee_mode 1
		.amdhsa_fp16_overflow 0
		.amdhsa_workgroup_processor_mode 1
		.amdhsa_memory_ordered 1
		.amdhsa_forward_progress 0
		.amdhsa_shared_vgpr_count 0
		.amdhsa_exception_fp_ieee_invalid_op 0
		.amdhsa_exception_fp_denorm_src 0
		.amdhsa_exception_fp_ieee_div_zero 0
		.amdhsa_exception_fp_ieee_overflow 0
		.amdhsa_exception_fp_ieee_underflow 0
		.amdhsa_exception_fp_ieee_inexact 0
		.amdhsa_exception_int_div_zero 0
	.end_amdhsa_kernel
	.section	.text._ZL23rocblas_dot_kernel_inc1ILb0ELi512ELi4ELb0EfPKPKffEviT4_llS4_lliPT5_PT3_,"axG",@progbits,_ZL23rocblas_dot_kernel_inc1ILb0ELi512ELi4ELb0EfPKPKffEviT4_llS4_lliPT5_PT3_,comdat
.Lfunc_end183:
	.size	_ZL23rocblas_dot_kernel_inc1ILb0ELi512ELi4ELb0EfPKPKffEviT4_llS4_lliPT5_PT3_, .Lfunc_end183-_ZL23rocblas_dot_kernel_inc1ILb0ELi512ELi4ELb0EfPKPKffEviT4_llS4_lliPT5_PT3_
                                        ; -- End function
	.section	.AMDGPU.csdata,"",@progbits
; Kernel info:
; codeLenInByte = 900
; NumSgprs: 26
; NumVgprs: 10
; ScratchSize: 0
; MemoryBound: 0
; FloatMode: 240
; IeeeMode: 1
; LDSByteSize: 128 bytes/workgroup (compile time only)
; SGPRBlocks: 3
; VGPRBlocks: 1
; NumSGPRsForWavesPerEU: 26
; NumVGPRsForWavesPerEU: 10
; Occupancy: 16
; WaveLimiterHint : 1
; COMPUTE_PGM_RSRC2:SCRATCH_EN: 0
; COMPUTE_PGM_RSRC2:USER_SGPR: 14
; COMPUTE_PGM_RSRC2:TRAP_HANDLER: 0
; COMPUTE_PGM_RSRC2:TGID_X_EN: 1
; COMPUTE_PGM_RSRC2:TGID_Y_EN: 0
; COMPUTE_PGM_RSRC2:TGID_Z_EN: 1
; COMPUTE_PGM_RSRC2:TIDIG_COMP_CNT: 0
	.section	.text._ZL18rocblas_dot_kernelIiLb0ELi512ELi4ELb0EfPKPKffEviT5_lT_lS4_lS5_liPT6_PT4_,"axG",@progbits,_ZL18rocblas_dot_kernelIiLb0ELi512ELi4ELb0EfPKPKffEviT5_lT_lS4_lS5_liPT6_PT4_,comdat
	.globl	_ZL18rocblas_dot_kernelIiLb0ELi512ELi4ELb0EfPKPKffEviT5_lT_lS4_lS5_liPT6_PT4_ ; -- Begin function _ZL18rocblas_dot_kernelIiLb0ELi512ELi4ELb0EfPKPKffEviT5_lT_lS4_lS5_liPT6_PT4_
	.p2align	8
	.type	_ZL18rocblas_dot_kernelIiLb0ELi512ELi4ELb0EfPKPKffEviT5_lT_lS4_lS5_liPT6_PT4_,@function
_ZL18rocblas_dot_kernelIiLb0ELi512ELi4ELb0EfPKPKffEviT5_lT_lS4_lS5_liPT6_PT4_: ; @_ZL18rocblas_dot_kernelIiLb0ELi512ELi4ELb0EfPKPKffEviT5_lT_lS4_lS5_liPT6_PT4_
; %bb.0:
	s_clause 0x2
	s_load_b32 s12, s[0:1], 0x60
	s_load_b32 s13, s[0:1], 0x0
	s_load_b128 s[4:7], s[0:1], 0x50
	v_lshl_or_b32 v1, s14, 9, v0
	v_mov_b32_e32 v5, 0
	s_mov_b32 s2, s15
	s_mov_b32 s3, 0
	s_mov_b32 s15, exec_lo
	s_waitcnt lgkmcnt(0)
	v_cmpx_gt_i32_e64 s13, v1
	s_cbranch_execz .LBB184_4
; %bb.1:
	s_clause 0x3
	s_load_b128 s[16:19], s[0:1], 0x8
	s_load_b128 s[8:11], s[0:1], 0x28
	s_load_b32 s22, s[0:1], 0x18
	s_load_b32 s24, s[0:1], 0x38
	s_lshl_b64 s[0:1], s[2:3], 3
	s_waitcnt lgkmcnt(0)
	s_add_u32 s16, s16, s0
	s_addc_u32 s17, s17, s1
	s_add_u32 s0, s8, s0
	s_load_b64 s[16:17], s[16:17], 0x0
	s_addc_u32 s1, s9, s1
	v_mad_i64_i32 v[2:3], null, s22, v1, 0
	s_load_b64 s[20:21], s[0:1], 0x0
	v_mad_i64_i32 v[4:5], null, s24, v1, 0
	s_lshl_b32 s1, s12, 9
	s_lshl_b64 s[8:9], s[18:19], 2
	v_add_nc_u32_e32 v6, s1, v1
	s_delay_alu instid0(VALU_DEP_3) | instskip(SKIP_2) | instid1(VALU_DEP_3)
	v_lshlrev_b64 v[1:2], 2, v[2:3]
	s_mul_hi_i32 s19, s22, s1
	s_mul_i32 s18, s22, s1
	v_lshlrev_b64 v[3:4], 2, v[4:5]
	v_mov_b32_e32 v5, 0
	s_mul_hi_i32 s23, s24, s1
	s_mul_i32 s22, s24, s1
	s_waitcnt lgkmcnt(0)
	s_add_u32 s0, s16, s8
	s_addc_u32 s16, s17, s9
	s_lshl_b64 s[10:11], s[10:11], 2
	s_lshl_b64 s[8:9], s[18:19], 2
	v_add_co_u32 v1, vcc_lo, s0, v1
	s_add_u32 s0, s20, s10
	v_add_co_ci_u32_e32 v2, vcc_lo, s16, v2, vcc_lo
	s_addc_u32 s10, s21, s11
	v_add_co_u32 v3, vcc_lo, s0, v3
	v_add_co_ci_u32_e32 v4, vcc_lo, s10, v4, vcc_lo
	s_lshl_b64 s[10:11], s[22:23], 2
	s_mov_b32 s16, s3
	s_mov_b32 s17, s3
	.p2align	6
.LBB184_2:                              ; =>This Inner Loop Header: Depth=1
	global_load_b32 v7, v[3:4], off
	global_load_b32 v8, v[1:2], off
	v_add_co_u32 v1, s0, v1, s8
	s_delay_alu instid0(VALU_DEP_1)
	v_add_co_ci_u32_e64 v2, s0, s9, v2, s0
	s_add_i32 s18, s17, 1
	v_cmp_le_i32_e32 vcc_lo, s13, v6
	v_add_co_u32 v3, s0, v3, s10
	s_cmp_gt_u32 s17, 2
	v_add_co_ci_u32_e64 v4, s0, s11, v4, s0
	s_cselect_b32 s0, -1, 0
	v_add_nc_u32_e32 v6, s1, v6
	s_or_b32 s0, s0, vcc_lo
	s_mov_b32 s17, s18
	s_and_b32 s0, exec_lo, s0
	s_delay_alu instid0(SALU_CYCLE_1)
	s_or_b32 s16, s0, s16
	s_waitcnt vmcnt(0)
	v_fmac_f32_e32 v5, v7, v8
	s_and_not1_b32 exec_lo, exec_lo, s16
	s_cbranch_execnz .LBB184_2
; %bb.3:
	s_or_b32 exec_lo, exec_lo, s16
.LBB184_4:
	s_delay_alu instid0(SALU_CYCLE_1) | instskip(SKIP_2) | instid1(VALU_DEP_2)
	s_or_b32 exec_lo, exec_lo, s15
	v_and_b32_e32 v2, 31, v0
	v_cmp_gt_u32_e32 vcc_lo, 32, v0
	v_lshlrev_b32_e32 v1, 2, v2
	s_and_saveexec_b32 s0, vcc_lo
	s_cbranch_execz .LBB184_6
; %bb.5:
	v_mov_b32_e32 v3, 0
	ds_store_b32 v1, v3
.LBB184_6:
	s_or_b32 exec_lo, exec_lo, s0
	v_mbcnt_lo_u32_b32 v6, -1, 0
	s_mov_b32 s1, exec_lo
	s_waitcnt lgkmcnt(0)
	s_barrier
	buffer_gl0_inv
	v_cmp_gt_u32_e64 s0, 16, v6
	s_delay_alu instid0(VALU_DEP_1) | instskip(SKIP_1) | instid1(VALU_DEP_2)
	v_cndmask_b32_e64 v3, 0, 1, s0
	v_cmp_gt_u32_e64 s0, 24, v6
	v_lshlrev_b32_e32 v3, 4, v3
	s_delay_alu instid0(VALU_DEP_1) | instskip(SKIP_3) | instid1(VALU_DEP_2)
	v_add_lshl_u32 v3, v3, v6, 2
	ds_bpermute_b32 v4, v3, v5
	v_cndmask_b32_e64 v3, 0, 1, s0
	v_cmp_gt_u32_e64 s0, 28, v6
	v_lshlrev_b32_e32 v3, 3, v3
	s_delay_alu instid0(VALU_DEP_1)
	v_add_lshl_u32 v3, v3, v6, 2
	s_waitcnt lgkmcnt(0)
	v_add_f32_e32 v5, v5, v4
	v_cndmask_b32_e64 v4, 0, 1, s0
	v_cmp_gt_u32_e64 s0, 30, v6
	ds_bpermute_b32 v7, v3, v5
	s_waitcnt lgkmcnt(0)
	v_dual_add_f32 v7, v5, v7 :: v_dual_lshlrev_b32 v4, 2, v4
	s_delay_alu instid0(VALU_DEP_1) | instskip(SKIP_4) | instid1(VALU_DEP_1)
	v_add_lshl_u32 v4, v4, v6, 2
	v_cndmask_b32_e64 v5, 0, 1, s0
	v_cmp_ne_u32_e64 s0, 31, v6
	ds_bpermute_b32 v8, v4, v7
	v_lshlrev_b32_e32 v5, 1, v5
	v_add_lshl_u32 v5, v5, v6, 2
	v_add_co_ci_u32_e64 v6, s0, 0, v6, s0
	s_waitcnt lgkmcnt(0)
	s_delay_alu instid0(VALU_DEP_1)
	v_dual_add_f32 v7, v7, v8 :: v_dual_lshlrev_b32 v6, 2, v6
	ds_bpermute_b32 v8, v5, v7
	s_waitcnt lgkmcnt(0)
	v_add_f32_e32 v7, v7, v8
	ds_bpermute_b32 v8, v6, v7
	v_cmpx_eq_u32_e32 0, v2
	s_cbranch_execz .LBB184_8
; %bb.7:
	v_lshrrev_b32_e32 v2, 3, v0
	s_waitcnt lgkmcnt(0)
	s_delay_alu instid0(VALU_DEP_1)
	v_dual_add_f32 v7, v7, v8 :: v_dual_and_b32 v2, 60, v2
	ds_store_b32 v2, v7
.LBB184_8:
	s_or_b32 exec_lo, exec_lo, s1
	v_mov_b32_e32 v2, 0
	s_mov_b32 s1, exec_lo
	s_waitcnt lgkmcnt(0)
	s_barrier
	buffer_gl0_inv
	v_cmpx_gt_u32_e32 16, v0
	s_cbranch_execz .LBB184_10
; %bb.9:
	ds_load_b32 v2, v1
.LBB184_10:
	s_or_b32 exec_lo, exec_lo, s1
	s_and_saveexec_b32 s0, vcc_lo
	s_cbranch_execz .LBB184_12
; %bb.11:
	s_waitcnt lgkmcnt(0)
	ds_bpermute_b32 v1, v3, v2
	s_waitcnt lgkmcnt(0)
	v_add_f32_e32 v1, v2, v1
	ds_bpermute_b32 v2, v4, v1
	s_waitcnt lgkmcnt(0)
	v_add_f32_e32 v1, v1, v2
	;; [unrolled: 3-line block ×4, first 2 shown]
.LBB184_12:
	s_or_b32 exec_lo, exec_lo, s0
	s_delay_alu instid0(SALU_CYCLE_1)
	s_mov_b32 s0, exec_lo
	v_cmpx_eq_u32_e32 0, v0
	s_cbranch_execz .LBB184_18
; %bb.13:
	s_cmp_lg_u32 s12, 1
	s_cbranch_scc0 .LBB184_15
; %bb.14:
	s_mul_hi_u32 s1, s12, s2
	s_mul_i32 s0, s12, s2
	s_mov_b32 s15, 0
	s_lshl_b64 s[0:1], s[0:1], 2
	s_delay_alu instid0(SALU_CYCLE_1) | instskip(SKIP_2) | instid1(SALU_CYCLE_1)
	s_add_u32 s4, s4, s0
	s_addc_u32 s5, s5, s1
	s_lshl_b64 s[0:1], s[14:15], 2
	s_add_u32 s0, s4, s0
	s_addc_u32 s1, s5, s1
	s_cbranch_execz .LBB184_16
	s_branch .LBB184_17
.LBB184_15:
                                        ; implicit-def: $sgpr0_sgpr1
.LBB184_16:
	s_lshl_b64 s[0:1], s[2:3], 2
	s_delay_alu instid0(SALU_CYCLE_1)
	s_add_u32 s0, s6, s0
	s_addc_u32 s1, s7, s1
.LBB184_17:
	v_mov_b32_e32 v0, 0
	s_waitcnt lgkmcnt(0)
	global_store_b32 v0, v2, s[0:1]
.LBB184_18:
	s_nop 0
	s_sendmsg sendmsg(MSG_DEALLOC_VGPRS)
	s_endpgm
	.section	.rodata,"a",@progbits
	.p2align	6, 0x0
	.amdhsa_kernel _ZL18rocblas_dot_kernelIiLb0ELi512ELi4ELb0EfPKPKffEviT5_lT_lS4_lS5_liPT6_PT4_
		.amdhsa_group_segment_fixed_size 128
		.amdhsa_private_segment_fixed_size 0
		.amdhsa_kernarg_size 352
		.amdhsa_user_sgpr_count 14
		.amdhsa_user_sgpr_dispatch_ptr 0
		.amdhsa_user_sgpr_queue_ptr 0
		.amdhsa_user_sgpr_kernarg_segment_ptr 1
		.amdhsa_user_sgpr_dispatch_id 0
		.amdhsa_user_sgpr_private_segment_size 0
		.amdhsa_wavefront_size32 1
		.amdhsa_uses_dynamic_stack 0
		.amdhsa_enable_private_segment 0
		.amdhsa_system_sgpr_workgroup_id_x 1
		.amdhsa_system_sgpr_workgroup_id_y 0
		.amdhsa_system_sgpr_workgroup_id_z 1
		.amdhsa_system_sgpr_workgroup_info 0
		.amdhsa_system_vgpr_workitem_id 0
		.amdhsa_next_free_vgpr 9
		.amdhsa_next_free_sgpr 25
		.amdhsa_reserve_vcc 1
		.amdhsa_float_round_mode_32 0
		.amdhsa_float_round_mode_16_64 0
		.amdhsa_float_denorm_mode_32 3
		.amdhsa_float_denorm_mode_16_64 3
		.amdhsa_dx10_clamp 1
		.amdhsa_ieee_mode 1
		.amdhsa_fp16_overflow 0
		.amdhsa_workgroup_processor_mode 1
		.amdhsa_memory_ordered 1
		.amdhsa_forward_progress 0
		.amdhsa_shared_vgpr_count 0
		.amdhsa_exception_fp_ieee_invalid_op 0
		.amdhsa_exception_fp_denorm_src 0
		.amdhsa_exception_fp_ieee_div_zero 0
		.amdhsa_exception_fp_ieee_overflow 0
		.amdhsa_exception_fp_ieee_underflow 0
		.amdhsa_exception_fp_ieee_inexact 0
		.amdhsa_exception_int_div_zero 0
	.end_amdhsa_kernel
	.section	.text._ZL18rocblas_dot_kernelIiLb0ELi512ELi4ELb0EfPKPKffEviT5_lT_lS4_lS5_liPT6_PT4_,"axG",@progbits,_ZL18rocblas_dot_kernelIiLb0ELi512ELi4ELb0EfPKPKffEviT5_lT_lS4_lS5_liPT6_PT4_,comdat
.Lfunc_end184:
	.size	_ZL18rocblas_dot_kernelIiLb0ELi512ELi4ELb0EfPKPKffEviT5_lT_lS4_lS5_liPT6_PT4_, .Lfunc_end184-_ZL18rocblas_dot_kernelIiLb0ELi512ELi4ELb0EfPKPKffEviT5_lT_lS4_lS5_liPT6_PT4_
                                        ; -- End function
	.section	.AMDGPU.csdata,"",@progbits
; Kernel info:
; codeLenInByte = 964
; NumSgprs: 27
; NumVgprs: 9
; ScratchSize: 0
; MemoryBound: 0
; FloatMode: 240
; IeeeMode: 1
; LDSByteSize: 128 bytes/workgroup (compile time only)
; SGPRBlocks: 3
; VGPRBlocks: 1
; NumSGPRsForWavesPerEU: 27
; NumVGPRsForWavesPerEU: 9
; Occupancy: 16
; WaveLimiterHint : 0
; COMPUTE_PGM_RSRC2:SCRATCH_EN: 0
; COMPUTE_PGM_RSRC2:USER_SGPR: 14
; COMPUTE_PGM_RSRC2:TRAP_HANDLER: 0
; COMPUTE_PGM_RSRC2:TGID_X_EN: 1
; COMPUTE_PGM_RSRC2:TGID_Y_EN: 0
; COMPUTE_PGM_RSRC2:TGID_Z_EN: 1
; COMPUTE_PGM_RSRC2:TIDIG_COMP_CNT: 0
	.section	.text._ZL24rocblas_dot_kernel_magsqIiLb0ELi512ELi4ELb0EfPKPKffEviT5_lT_liPT6_PT4_,"axG",@progbits,_ZL24rocblas_dot_kernel_magsqIiLb0ELi512ELi4ELb0EfPKPKffEviT5_lT_liPT6_PT4_,comdat
	.globl	_ZL24rocblas_dot_kernel_magsqIiLb0ELi512ELi4ELb0EfPKPKffEviT5_lT_liPT6_PT4_ ; -- Begin function _ZL24rocblas_dot_kernel_magsqIiLb0ELi512ELi4ELb0EfPKPKffEviT5_lT_liPT6_PT4_
	.p2align	8
	.type	_ZL24rocblas_dot_kernel_magsqIiLb0ELi512ELi4ELb0EfPKPKffEviT5_lT_liPT6_PT4_,@function
_ZL24rocblas_dot_kernel_magsqIiLb0ELi512ELi4ELb0EfPKPKffEviT5_lT_liPT6_PT4_: ; @_ZL24rocblas_dot_kernel_magsqIiLb0ELi512ELi4ELb0EfPKPKffEviT5_lT_liPT6_PT4_
; %bb.0:
	s_clause 0x2
	s_load_b32 s11, s[0:1], 0x0
	s_load_b128 s[4:7], s[0:1], 0x30
	s_load_b32 s10, s[0:1], 0x40
	v_lshl_or_b32 v1, s14, 9, v0
	v_mov_b32_e32 v3, 0
	s_mov_b32 s2, s15
	s_mov_b32 s3, 0
	s_mov_b32 s12, exec_lo
	s_waitcnt lgkmcnt(0)
	v_cmpx_gt_i32_e64 s11, v1
	s_cbranch_execz .LBB185_4
; %bb.1:
	s_clause 0x1
	s_load_b128 s[16:19], s[0:1], 0x8
	s_load_b32 s13, s[0:1], 0x18
	s_lshl_b64 s[0:1], s[2:3], 3
	s_mov_b32 s15, s3
	s_waitcnt lgkmcnt(0)
	s_add_u32 s0, s16, s0
	s_addc_u32 s1, s17, s1
	v_mad_i64_i32 v[2:3], null, s13, v1, 0
	s_load_b64 s[8:9], s[0:1], 0x0
	s_lshl_b32 s1, s10, 9
	s_lshl_b64 s[16:17], s[18:19], 2
	v_add_nc_u32_e32 v4, s1, v1
	s_mul_hi_i32 s19, s13, s1
	s_mul_i32 s18, s13, s1
	s_delay_alu instid0(VALU_DEP_2)
	v_lshlrev_b64 v[1:2], 2, v[2:3]
	v_mov_b32_e32 v3, 0
	s_mov_b32 s13, s3
	s_waitcnt lgkmcnt(0)
	s_add_u32 s0, s8, s16
	s_addc_u32 s8, s9, s17
	v_add_co_u32 v1, vcc_lo, s0, v1
	v_add_co_ci_u32_e32 v2, vcc_lo, s8, v2, vcc_lo
	s_lshl_b64 s[8:9], s[18:19], 2
	.p2align	6
.LBB185_2:                              ; =>This Inner Loop Header: Depth=1
	global_load_b32 v5, v[1:2], off
	s_add_i32 s16, s15, 1
	v_cmp_le_i32_e32 vcc_lo, s11, v4
	v_add_co_u32 v1, s0, v1, s8
	s_cmp_gt_u32 s15, 2
	v_add_co_ci_u32_e64 v2, s0, s9, v2, s0
	s_cselect_b32 s0, -1, 0
	v_add_nc_u32_e32 v4, s1, v4
	s_or_b32 s0, s0, vcc_lo
	s_mov_b32 s15, s16
	s_and_b32 s0, exec_lo, s0
	s_delay_alu instid0(SALU_CYCLE_1)
	s_or_b32 s13, s0, s13
	s_waitcnt vmcnt(0)
	v_fmac_f32_e32 v3, v5, v5
	s_and_not1_b32 exec_lo, exec_lo, s13
	s_cbranch_execnz .LBB185_2
; %bb.3:
	s_or_b32 exec_lo, exec_lo, s13
.LBB185_4:
	s_delay_alu instid0(SALU_CYCLE_1) | instskip(SKIP_2) | instid1(VALU_DEP_2)
	s_or_b32 exec_lo, exec_lo, s12
	v_and_b32_e32 v2, 31, v0
	v_cmp_gt_u32_e32 vcc_lo, 32, v0
	v_lshlrev_b32_e32 v1, 2, v2
	s_and_saveexec_b32 s0, vcc_lo
	s_cbranch_execz .LBB185_6
; %bb.5:
	v_mov_b32_e32 v4, 0
	ds_store_b32 v1, v4
.LBB185_6:
	s_or_b32 exec_lo, exec_lo, s0
	v_mbcnt_lo_u32_b32 v6, -1, 0
	s_mov_b32 s1, exec_lo
	s_waitcnt lgkmcnt(0)
	s_barrier
	buffer_gl0_inv
	v_cmp_gt_u32_e64 s0, 16, v6
	s_delay_alu instid0(VALU_DEP_1) | instskip(SKIP_1) | instid1(VALU_DEP_2)
	v_cndmask_b32_e64 v4, 0, 1, s0
	v_cmp_gt_u32_e64 s0, 24, v6
	v_lshlrev_b32_e32 v4, 4, v4
	s_delay_alu instid0(VALU_DEP_1) | instskip(SKIP_4) | instid1(VALU_DEP_2)
	v_add_lshl_u32 v4, v4, v6, 2
	ds_bpermute_b32 v5, v4, v3
	v_cndmask_b32_e64 v4, 0, 1, s0
	v_cmp_gt_u32_e64 s0, 28, v6
	s_waitcnt lgkmcnt(0)
	v_dual_add_f32 v5, v3, v5 :: v_dual_lshlrev_b32 v4, 3, v4
	s_delay_alu instid0(VALU_DEP_2) | instskip(SKIP_1) | instid1(VALU_DEP_3)
	v_cndmask_b32_e64 v3, 0, 1, s0
	v_cmp_gt_u32_e64 s0, 30, v6
	v_add_lshl_u32 v4, v4, v6, 2
	s_delay_alu instid0(VALU_DEP_3)
	v_lshlrev_b32_e32 v3, 2, v3
	ds_bpermute_b32 v7, v4, v5
	v_add_lshl_u32 v3, v3, v6, 2
	s_waitcnt lgkmcnt(0)
	v_add_f32_e32 v7, v5, v7
	v_cndmask_b32_e64 v5, 0, 1, s0
	v_cmp_ne_u32_e64 s0, 31, v6
	ds_bpermute_b32 v8, v3, v7
	v_lshlrev_b32_e32 v5, 1, v5
	s_delay_alu instid0(VALU_DEP_1) | instskip(SKIP_2) | instid1(VALU_DEP_1)
	v_add_lshl_u32 v5, v5, v6, 2
	v_add_co_ci_u32_e64 v6, s0, 0, v6, s0
	s_waitcnt lgkmcnt(0)
	v_dual_add_f32 v7, v7, v8 :: v_dual_lshlrev_b32 v6, 2, v6
	ds_bpermute_b32 v8, v5, v7
	s_waitcnt lgkmcnt(0)
	v_add_f32_e32 v7, v7, v8
	ds_bpermute_b32 v8, v6, v7
	v_cmpx_eq_u32_e32 0, v2
	s_cbranch_execz .LBB185_8
; %bb.7:
	v_lshrrev_b32_e32 v2, 3, v0
	s_waitcnt lgkmcnt(0)
	s_delay_alu instid0(VALU_DEP_1)
	v_dual_add_f32 v7, v7, v8 :: v_dual_and_b32 v2, 60, v2
	ds_store_b32 v2, v7
.LBB185_8:
	s_or_b32 exec_lo, exec_lo, s1
	v_mov_b32_e32 v2, 0
	s_mov_b32 s1, exec_lo
	s_waitcnt lgkmcnt(0)
	s_barrier
	buffer_gl0_inv
	v_cmpx_gt_u32_e32 16, v0
	s_cbranch_execz .LBB185_10
; %bb.9:
	ds_load_b32 v2, v1
.LBB185_10:
	s_or_b32 exec_lo, exec_lo, s1
	s_and_saveexec_b32 s0, vcc_lo
	s_cbranch_execz .LBB185_12
; %bb.11:
	s_waitcnt lgkmcnt(0)
	ds_bpermute_b32 v1, v4, v2
	s_waitcnt lgkmcnt(0)
	v_add_f32_e32 v1, v2, v1
	ds_bpermute_b32 v2, v3, v1
	s_waitcnt lgkmcnt(0)
	v_add_f32_e32 v1, v1, v2
	;; [unrolled: 3-line block ×4, first 2 shown]
.LBB185_12:
	s_or_b32 exec_lo, exec_lo, s0
	s_delay_alu instid0(SALU_CYCLE_1)
	s_mov_b32 s0, exec_lo
	v_cmpx_eq_u32_e32 0, v0
	s_cbranch_execz .LBB185_18
; %bb.13:
	s_cmp_lg_u32 s10, 1
	s_cbranch_scc0 .LBB185_15
; %bb.14:
	s_mul_hi_u32 s1, s10, s2
	s_mul_i32 s0, s10, s2
	s_mov_b32 s15, 0
	s_lshl_b64 s[0:1], s[0:1], 2
	s_delay_alu instid0(SALU_CYCLE_1) | instskip(SKIP_2) | instid1(SALU_CYCLE_1)
	s_add_u32 s4, s4, s0
	s_addc_u32 s5, s5, s1
	s_lshl_b64 s[0:1], s[14:15], 2
	s_add_u32 s0, s4, s0
	s_addc_u32 s1, s5, s1
	s_cbranch_execz .LBB185_16
	s_branch .LBB185_17
.LBB185_15:
                                        ; implicit-def: $sgpr0_sgpr1
.LBB185_16:
	s_lshl_b64 s[0:1], s[2:3], 2
	s_delay_alu instid0(SALU_CYCLE_1)
	s_add_u32 s0, s6, s0
	s_addc_u32 s1, s7, s1
.LBB185_17:
	v_mov_b32_e32 v0, 0
	s_waitcnt lgkmcnt(0)
	global_store_b32 v0, v2, s[0:1]
.LBB185_18:
	s_nop 0
	s_sendmsg sendmsg(MSG_DEALLOC_VGPRS)
	s_endpgm
	.section	.rodata,"a",@progbits
	.p2align	6, 0x0
	.amdhsa_kernel _ZL24rocblas_dot_kernel_magsqIiLb0ELi512ELi4ELb0EfPKPKffEviT5_lT_liPT6_PT4_
		.amdhsa_group_segment_fixed_size 128
		.amdhsa_private_segment_fixed_size 0
		.amdhsa_kernarg_size 320
		.amdhsa_user_sgpr_count 14
		.amdhsa_user_sgpr_dispatch_ptr 0
		.amdhsa_user_sgpr_queue_ptr 0
		.amdhsa_user_sgpr_kernarg_segment_ptr 1
		.amdhsa_user_sgpr_dispatch_id 0
		.amdhsa_user_sgpr_private_segment_size 0
		.amdhsa_wavefront_size32 1
		.amdhsa_uses_dynamic_stack 0
		.amdhsa_enable_private_segment 0
		.amdhsa_system_sgpr_workgroup_id_x 1
		.amdhsa_system_sgpr_workgroup_id_y 0
		.amdhsa_system_sgpr_workgroup_id_z 1
		.amdhsa_system_sgpr_workgroup_info 0
		.amdhsa_system_vgpr_workitem_id 0
		.amdhsa_next_free_vgpr 9
		.amdhsa_next_free_sgpr 20
		.amdhsa_reserve_vcc 1
		.amdhsa_float_round_mode_32 0
		.amdhsa_float_round_mode_16_64 0
		.amdhsa_float_denorm_mode_32 3
		.amdhsa_float_denorm_mode_16_64 3
		.amdhsa_dx10_clamp 1
		.amdhsa_ieee_mode 1
		.amdhsa_fp16_overflow 0
		.amdhsa_workgroup_processor_mode 1
		.amdhsa_memory_ordered 1
		.amdhsa_forward_progress 0
		.amdhsa_shared_vgpr_count 0
		.amdhsa_exception_fp_ieee_invalid_op 0
		.amdhsa_exception_fp_denorm_src 0
		.amdhsa_exception_fp_ieee_div_zero 0
		.amdhsa_exception_fp_ieee_overflow 0
		.amdhsa_exception_fp_ieee_underflow 0
		.amdhsa_exception_fp_ieee_inexact 0
		.amdhsa_exception_int_div_zero 0
	.end_amdhsa_kernel
	.section	.text._ZL24rocblas_dot_kernel_magsqIiLb0ELi512ELi4ELb0EfPKPKffEviT5_lT_liPT6_PT4_,"axG",@progbits,_ZL24rocblas_dot_kernel_magsqIiLb0ELi512ELi4ELb0EfPKPKffEviT5_lT_liPT6_PT4_,comdat
.Lfunc_end185:
	.size	_ZL24rocblas_dot_kernel_magsqIiLb0ELi512ELi4ELb0EfPKPKffEviT5_lT_liPT6_PT4_, .Lfunc_end185-_ZL24rocblas_dot_kernel_magsqIiLb0ELi512ELi4ELb0EfPKPKffEviT5_lT_liPT6_PT4_
                                        ; -- End function
	.section	.AMDGPU.csdata,"",@progbits
; Kernel info:
; codeLenInByte = 852
; NumSgprs: 22
; NumVgprs: 9
; ScratchSize: 0
; MemoryBound: 0
; FloatMode: 240
; IeeeMode: 1
; LDSByteSize: 128 bytes/workgroup (compile time only)
; SGPRBlocks: 2
; VGPRBlocks: 1
; NumSGPRsForWavesPerEU: 22
; NumVGPRsForWavesPerEU: 9
; Occupancy: 16
; WaveLimiterHint : 0
; COMPUTE_PGM_RSRC2:SCRATCH_EN: 0
; COMPUTE_PGM_RSRC2:USER_SGPR: 14
; COMPUTE_PGM_RSRC2:TRAP_HANDLER: 0
; COMPUTE_PGM_RSRC2:TGID_X_EN: 1
; COMPUTE_PGM_RSRC2:TGID_Y_EN: 0
; COMPUTE_PGM_RSRC2:TGID_Z_EN: 1
; COMPUTE_PGM_RSRC2:TIDIG_COMP_CNT: 0
	.section	.text._ZL28rocblas_dot_batched_4_kernelIlLi32ELi4ELb0EffPKPKfEviT5_lT_lS4_lS5_liPT4_,"axG",@progbits,_ZL28rocblas_dot_batched_4_kernelIlLi32ELi4ELb0EffPKPKfEviT5_lT_lS4_lS5_liPT4_,comdat
	.globl	_ZL28rocblas_dot_batched_4_kernelIlLi32ELi4ELb0EffPKPKfEviT5_lT_lS4_lS5_liPT4_ ; -- Begin function _ZL28rocblas_dot_batched_4_kernelIlLi32ELi4ELb0EffPKPKfEviT5_lT_lS4_lS5_liPT4_
	.p2align	8
	.type	_ZL28rocblas_dot_batched_4_kernelIlLi32ELi4ELb0EffPKPKfEviT5_lT_lS4_lS5_liPT4_,@function
_ZL28rocblas_dot_batched_4_kernelIlLi32ELi4ELb0EffPKPKfEviT5_lT_lS4_lS5_liPT4_: ; @_ZL28rocblas_dot_batched_4_kernelIlLi32ELi4ELb0EffPKPKfEviT5_lT_lS4_lS5_liPT4_
; %bb.0:
	s_load_b32 s2, s[0:1], 0x48
	v_bfe_u32 v1, v0, 10, 10
	s_delay_alu instid0(VALU_DEP_1) | instskip(SKIP_1) | instid1(VALU_DEP_1)
	v_lshl_add_u32 v1, s15, 2, v1
	s_waitcnt lgkmcnt(0)
	v_cmp_gt_u32_e32 vcc_lo, s2, v1
	s_and_saveexec_b32 s2, vcc_lo
	s_cbranch_execz .LBB186_7
; %bb.1:
	s_clause 0x1
	s_load_b32 s10, s[0:1], 0x0
	s_load_b64 s[8:9], s[0:1], 0x50
	v_mov_b32_e32 v2, 0
	v_and_b32_e32 v0, 0x3ff, v0
	s_mov_b32 s11, exec_lo
	s_delay_alu instid0(VALU_DEP_2) | instskip(SKIP_1) | instid1(VALU_DEP_2)
	v_mov_b32_e32 v7, v2
	s_waitcnt lgkmcnt(0)
	v_cmpx_gt_i32_e64 s10, v0
	s_cbranch_execz .LBB186_5
; %bb.2:
	s_clause 0x1
	s_load_b64 s[12:13], s[0:1], 0x8
	s_load_b64 s[14:15], s[0:1], 0x28
	v_lshlrev_b64 v[3:4], 3, v[1:2]
	s_clause 0x1
	s_load_b128 s[4:7], s[0:1], 0x10
	s_load_b128 s[0:3], s[0:1], 0x30
	s_waitcnt lgkmcnt(0)
	s_delay_alu instid0(VALU_DEP_1)
	v_add_co_u32 v5, vcc_lo, s12, v3
	v_add_co_ci_u32_e32 v6, vcc_lo, s13, v4, vcc_lo
	v_add_co_u32 v3, vcc_lo, s14, v3
	v_add_co_ci_u32_e32 v4, vcc_lo, s15, v4, vcc_lo
	v_mad_u64_u32 v[10:11], null, s2, v0, 0
	global_load_b64 v[5:6], v[5:6], off
	global_load_b64 v[8:9], v[3:4], off
	v_mad_u64_u32 v[3:4], null, s6, v0, 0
	s_lshl_b64 s[4:5], s[4:5], 2
	s_lshl_b64 s[0:1], s[0:1], 2
	v_mov_b32_e32 v7, v11
	s_waitcnt vmcnt(1)
	s_delay_alu instid0(VALU_DEP_2) | instskip(SKIP_1) | instid1(VALU_DEP_2)
	v_mad_u64_u32 v[11:12], null, s7, v0, v[4:5]
	s_waitcnt vmcnt(0)
	v_mad_u64_u32 v[12:13], null, s3, v0, v[7:8]
	v_mov_b32_e32 v7, 0
	s_lshl_b64 s[2:3], s[2:3], 7
	s_delay_alu instid0(VALU_DEP_2) | instskip(NEXT) | instid1(VALU_DEP_1)
	v_dual_mov_b32 v4, v11 :: v_dual_mov_b32 v11, v12
	v_lshlrev_b64 v[3:4], 2, v[3:4]
	s_delay_alu instid0(VALU_DEP_2) | instskip(NEXT) | instid1(VALU_DEP_2)
	v_lshlrev_b64 v[10:11], 2, v[10:11]
	v_add_co_u32 v3, vcc_lo, v3, s4
	s_delay_alu instid0(VALU_DEP_3) | instskip(NEXT) | instid1(VALU_DEP_3)
	v_add_co_ci_u32_e32 v4, vcc_lo, s5, v4, vcc_lo
	v_add_co_u32 v10, vcc_lo, v10, s0
	s_delay_alu instid0(VALU_DEP_4) | instskip(NEXT) | instid1(VALU_DEP_4)
	v_add_co_ci_u32_e32 v11, vcc_lo, s1, v11, vcc_lo
	v_add_co_u32 v3, vcc_lo, v5, v3
	s_delay_alu instid0(VALU_DEP_4) | instskip(NEXT) | instid1(VALU_DEP_4)
	v_add_co_ci_u32_e32 v4, vcc_lo, v6, v4, vcc_lo
	v_add_co_u32 v5, vcc_lo, v8, v10
	s_delay_alu instid0(VALU_DEP_4)
	v_add_co_ci_u32_e32 v6, vcc_lo, v9, v11, vcc_lo
	v_mov_b32_e32 v8, v0
	s_lshl_b64 s[4:5], s[6:7], 7
	s_mov_b32 s1, 0
	.p2align	6
.LBB186_3:                              ; =>This Inner Loop Header: Depth=1
	global_load_b32 v9, v[3:4], off
	global_load_b32 v10, v[5:6], off
	v_add_nc_u32_e32 v8, 32, v8
	v_add_co_u32 v3, vcc_lo, v3, s4
	v_add_co_ci_u32_e32 v4, vcc_lo, s5, v4, vcc_lo
	v_add_co_u32 v5, vcc_lo, v5, s2
	v_add_co_ci_u32_e32 v6, vcc_lo, s3, v6, vcc_lo
	s_waitcnt vmcnt(0)
	v_fmac_f32_e32 v7, v9, v10
	v_cmp_le_i32_e64 s0, s10, v8
	s_delay_alu instid0(VALU_DEP_1) | instskip(NEXT) | instid1(SALU_CYCLE_1)
	s_or_b32 s1, s0, s1
	s_and_not1_b32 exec_lo, exec_lo, s1
	s_cbranch_execnz .LBB186_3
; %bb.4:
	s_or_b32 exec_lo, exec_lo, s1
.LBB186_5:
	s_delay_alu instid0(SALU_CYCLE_1)
	s_or_b32 exec_lo, exec_lo, s11
	v_mbcnt_lo_u32_b32 v3, -1, 0
	s_barrier
	buffer_gl0_inv
	v_cmp_gt_u32_e32 vcc_lo, 16, v3
	v_cndmask_b32_e64 v4, 0, 1, vcc_lo
	v_cmp_gt_u32_e32 vcc_lo, 24, v3
	s_delay_alu instid0(VALU_DEP_2) | instskip(SKIP_2) | instid1(VALU_DEP_3)
	v_lshlrev_b32_e32 v4, 4, v4
	v_cndmask_b32_e64 v5, 0, 1, vcc_lo
	v_cmp_gt_u32_e32 vcc_lo, 28, v3
	v_add_lshl_u32 v4, v4, v3, 2
	v_cndmask_b32_e64 v6, 0, 1, vcc_lo
	v_cmp_gt_u32_e32 vcc_lo, 30, v3
	ds_bpermute_b32 v4, v4, v7
	v_lshlrev_b32_e32 v5, 3, v5
	v_lshlrev_b32_e32 v6, 2, v6
	s_delay_alu instid0(VALU_DEP_1)
	v_add_lshl_u32 v6, v6, v3, 2
	s_waitcnt lgkmcnt(0)
	v_add_f32_e32 v4, v7, v4
	v_add_lshl_u32 v5, v5, v3, 2
	ds_bpermute_b32 v5, v5, v4
	s_waitcnt lgkmcnt(0)
	v_add_f32_e32 v4, v4, v5
	ds_bpermute_b32 v5, v6, v4
	v_cndmask_b32_e64 v6, 0, 1, vcc_lo
	v_cmp_ne_u32_e32 vcc_lo, 31, v3
	s_delay_alu instid0(VALU_DEP_2) | instskip(NEXT) | instid1(VALU_DEP_1)
	v_lshlrev_b32_e32 v6, 1, v6
	v_add_lshl_u32 v6, v6, v3, 2
	s_waitcnt lgkmcnt(0)
	v_add_f32_e32 v4, v4, v5
	ds_bpermute_b32 v5, v6, v4
	v_add_co_ci_u32_e32 v6, vcc_lo, 0, v3, vcc_lo
	v_cmp_eq_u32_e32 vcc_lo, 0, v0
	s_waitcnt lgkmcnt(0)
	s_delay_alu instid0(VALU_DEP_2)
	v_dual_add_f32 v3, v4, v5 :: v_dual_lshlrev_b32 v4, 2, v6
	ds_bpermute_b32 v4, v4, v3
	s_and_b32 exec_lo, exec_lo, vcc_lo
	s_cbranch_execz .LBB186_7
; %bb.6:
	v_lshlrev_b64 v[0:1], 2, v[1:2]
	s_waitcnt lgkmcnt(0)
	v_add_f32_e32 v2, v3, v4
	s_delay_alu instid0(VALU_DEP_2) | instskip(NEXT) | instid1(VALU_DEP_3)
	v_add_co_u32 v0, vcc_lo, s8, v0
	v_add_co_ci_u32_e32 v1, vcc_lo, s9, v1, vcc_lo
	global_store_b32 v[0:1], v2, off
.LBB186_7:
	s_nop 0
	s_sendmsg sendmsg(MSG_DEALLOC_VGPRS)
	s_endpgm
	.section	.rodata,"a",@progbits
	.p2align	6, 0x0
	.amdhsa_kernel _ZL28rocblas_dot_batched_4_kernelIlLi32ELi4ELb0EffPKPKfEviT5_lT_lS4_lS5_liPT4_
		.amdhsa_group_segment_fixed_size 0
		.amdhsa_private_segment_fixed_size 0
		.amdhsa_kernarg_size 88
		.amdhsa_user_sgpr_count 15
		.amdhsa_user_sgpr_dispatch_ptr 0
		.amdhsa_user_sgpr_queue_ptr 0
		.amdhsa_user_sgpr_kernarg_segment_ptr 1
		.amdhsa_user_sgpr_dispatch_id 0
		.amdhsa_user_sgpr_private_segment_size 0
		.amdhsa_wavefront_size32 1
		.amdhsa_uses_dynamic_stack 0
		.amdhsa_enable_private_segment 0
		.amdhsa_system_sgpr_workgroup_id_x 1
		.amdhsa_system_sgpr_workgroup_id_y 0
		.amdhsa_system_sgpr_workgroup_id_z 0
		.amdhsa_system_sgpr_workgroup_info 0
		.amdhsa_system_vgpr_workitem_id 1
		.amdhsa_next_free_vgpr 14
		.amdhsa_next_free_sgpr 16
		.amdhsa_reserve_vcc 1
		.amdhsa_float_round_mode_32 0
		.amdhsa_float_round_mode_16_64 0
		.amdhsa_float_denorm_mode_32 3
		.amdhsa_float_denorm_mode_16_64 3
		.amdhsa_dx10_clamp 1
		.amdhsa_ieee_mode 1
		.amdhsa_fp16_overflow 0
		.amdhsa_workgroup_processor_mode 1
		.amdhsa_memory_ordered 1
		.amdhsa_forward_progress 0
		.amdhsa_shared_vgpr_count 0
		.amdhsa_exception_fp_ieee_invalid_op 0
		.amdhsa_exception_fp_denorm_src 0
		.amdhsa_exception_fp_ieee_div_zero 0
		.amdhsa_exception_fp_ieee_overflow 0
		.amdhsa_exception_fp_ieee_underflow 0
		.amdhsa_exception_fp_ieee_inexact 0
		.amdhsa_exception_int_div_zero 0
	.end_amdhsa_kernel
	.section	.text._ZL28rocblas_dot_batched_4_kernelIlLi32ELi4ELb0EffPKPKfEviT5_lT_lS4_lS5_liPT4_,"axG",@progbits,_ZL28rocblas_dot_batched_4_kernelIlLi32ELi4ELb0EffPKPKfEviT5_lT_lS4_lS5_liPT4_,comdat
.Lfunc_end186:
	.size	_ZL28rocblas_dot_batched_4_kernelIlLi32ELi4ELb0EffPKPKfEviT5_lT_lS4_lS5_liPT4_, .Lfunc_end186-_ZL28rocblas_dot_batched_4_kernelIlLi32ELi4ELb0EffPKPKfEviT5_lT_lS4_lS5_liPT4_
                                        ; -- End function
	.section	.AMDGPU.csdata,"",@progbits
; Kernel info:
; codeLenInByte = 740
; NumSgprs: 18
; NumVgprs: 14
; ScratchSize: 0
; MemoryBound: 0
; FloatMode: 240
; IeeeMode: 1
; LDSByteSize: 0 bytes/workgroup (compile time only)
; SGPRBlocks: 2
; VGPRBlocks: 1
; NumSGPRsForWavesPerEU: 18
; NumVGPRsForWavesPerEU: 14
; Occupancy: 16
; WaveLimiterHint : 0
; COMPUTE_PGM_RSRC2:SCRATCH_EN: 0
; COMPUTE_PGM_RSRC2:USER_SGPR: 15
; COMPUTE_PGM_RSRC2:TRAP_HANDLER: 0
; COMPUTE_PGM_RSRC2:TGID_X_EN: 1
; COMPUTE_PGM_RSRC2:TGID_Y_EN: 0
; COMPUTE_PGM_RSRC2:TGID_Z_EN: 0
; COMPUTE_PGM_RSRC2:TIDIG_COMP_CNT: 1
	.section	.text._ZL28rocblas_dot_batched_4_kernelIlLi64ELi4ELb0EffPKPKfEviT5_lT_lS4_lS5_liPT4_,"axG",@progbits,_ZL28rocblas_dot_batched_4_kernelIlLi64ELi4ELb0EffPKPKfEviT5_lT_lS4_lS5_liPT4_,comdat
	.globl	_ZL28rocblas_dot_batched_4_kernelIlLi64ELi4ELb0EffPKPKfEviT5_lT_lS4_lS5_liPT4_ ; -- Begin function _ZL28rocblas_dot_batched_4_kernelIlLi64ELi4ELb0EffPKPKfEviT5_lT_lS4_lS5_liPT4_
	.p2align	8
	.type	_ZL28rocblas_dot_batched_4_kernelIlLi64ELi4ELb0EffPKPKfEviT5_lT_lS4_lS5_liPT4_,@function
_ZL28rocblas_dot_batched_4_kernelIlLi64ELi4ELb0EffPKPKfEviT5_lT_lS4_lS5_liPT4_: ; @_ZL28rocblas_dot_batched_4_kernelIlLi64ELi4ELb0EffPKPKfEviT5_lT_lS4_lS5_liPT4_
; %bb.0:
	s_load_b32 s2, s[0:1], 0x48
	v_bfe_u32 v1, v0, 10, 10
	s_delay_alu instid0(VALU_DEP_1) | instskip(SKIP_1) | instid1(VALU_DEP_1)
	v_lshl_add_u32 v1, s15, 2, v1
	s_waitcnt lgkmcnt(0)
	v_cmp_gt_u32_e32 vcc_lo, s2, v1
	s_and_saveexec_b32 s2, vcc_lo
	s_cbranch_execz .LBB187_7
; %bb.1:
	s_clause 0x1
	s_load_b32 s10, s[0:1], 0x0
	s_load_b64 s[8:9], s[0:1], 0x50
	v_mov_b32_e32 v2, 0
	v_and_b32_e32 v0, 0x3ff, v0
	s_mov_b32 s11, exec_lo
	s_delay_alu instid0(VALU_DEP_2) | instskip(SKIP_1) | instid1(VALU_DEP_2)
	v_mov_b32_e32 v7, v2
	s_waitcnt lgkmcnt(0)
	v_cmpx_gt_i32_e64 s10, v0
	s_cbranch_execz .LBB187_5
; %bb.2:
	s_clause 0x1
	s_load_b64 s[12:13], s[0:1], 0x8
	s_load_b64 s[14:15], s[0:1], 0x28
	v_lshlrev_b64 v[3:4], 3, v[1:2]
	s_clause 0x1
	s_load_b128 s[4:7], s[0:1], 0x10
	s_load_b128 s[0:3], s[0:1], 0x30
	s_waitcnt lgkmcnt(0)
	s_delay_alu instid0(VALU_DEP_1)
	v_add_co_u32 v5, vcc_lo, s12, v3
	v_add_co_ci_u32_e32 v6, vcc_lo, s13, v4, vcc_lo
	v_add_co_u32 v3, vcc_lo, s14, v3
	v_add_co_ci_u32_e32 v4, vcc_lo, s15, v4, vcc_lo
	v_mad_u64_u32 v[10:11], null, s2, v0, 0
	global_load_b64 v[5:6], v[5:6], off
	global_load_b64 v[8:9], v[3:4], off
	v_mad_u64_u32 v[3:4], null, s6, v0, 0
	s_lshl_b64 s[4:5], s[4:5], 2
	s_lshl_b64 s[0:1], s[0:1], 2
	v_mov_b32_e32 v7, v11
	s_waitcnt vmcnt(1)
	s_delay_alu instid0(VALU_DEP_2) | instskip(SKIP_1) | instid1(VALU_DEP_2)
	v_mad_u64_u32 v[11:12], null, s7, v0, v[4:5]
	s_waitcnt vmcnt(0)
	v_mad_u64_u32 v[12:13], null, s3, v0, v[7:8]
	v_mov_b32_e32 v7, 0
	s_lshl_b64 s[2:3], s[2:3], 8
	s_delay_alu instid0(VALU_DEP_2) | instskip(NEXT) | instid1(VALU_DEP_1)
	v_dual_mov_b32 v4, v11 :: v_dual_mov_b32 v11, v12
	v_lshlrev_b64 v[3:4], 2, v[3:4]
	s_delay_alu instid0(VALU_DEP_2) | instskip(NEXT) | instid1(VALU_DEP_2)
	v_lshlrev_b64 v[10:11], 2, v[10:11]
	v_add_co_u32 v3, vcc_lo, v3, s4
	s_delay_alu instid0(VALU_DEP_3) | instskip(NEXT) | instid1(VALU_DEP_3)
	v_add_co_ci_u32_e32 v4, vcc_lo, s5, v4, vcc_lo
	v_add_co_u32 v10, vcc_lo, v10, s0
	s_delay_alu instid0(VALU_DEP_4) | instskip(NEXT) | instid1(VALU_DEP_4)
	v_add_co_ci_u32_e32 v11, vcc_lo, s1, v11, vcc_lo
	v_add_co_u32 v3, vcc_lo, v5, v3
	s_delay_alu instid0(VALU_DEP_4) | instskip(NEXT) | instid1(VALU_DEP_4)
	v_add_co_ci_u32_e32 v4, vcc_lo, v6, v4, vcc_lo
	v_add_co_u32 v5, vcc_lo, v8, v10
	s_delay_alu instid0(VALU_DEP_4)
	v_add_co_ci_u32_e32 v6, vcc_lo, v9, v11, vcc_lo
	v_mov_b32_e32 v8, v0
	s_lshl_b64 s[4:5], s[6:7], 8
	s_mov_b32 s1, 0
	.p2align	6
.LBB187_3:                              ; =>This Inner Loop Header: Depth=1
	global_load_b32 v9, v[3:4], off
	global_load_b32 v10, v[5:6], off
	v_add_nc_u32_e32 v8, 64, v8
	v_add_co_u32 v3, vcc_lo, v3, s4
	v_add_co_ci_u32_e32 v4, vcc_lo, s5, v4, vcc_lo
	v_add_co_u32 v5, vcc_lo, v5, s2
	v_add_co_ci_u32_e32 v6, vcc_lo, s3, v6, vcc_lo
	s_waitcnt vmcnt(0)
	v_fmac_f32_e32 v7, v9, v10
	v_cmp_le_i32_e64 s0, s10, v8
	s_delay_alu instid0(VALU_DEP_1) | instskip(NEXT) | instid1(SALU_CYCLE_1)
	s_or_b32 s1, s0, s1
	s_and_not1_b32 exec_lo, exec_lo, s1
	s_cbranch_execnz .LBB187_3
; %bb.4:
	s_or_b32 exec_lo, exec_lo, s1
.LBB187_5:
	s_delay_alu instid0(SALU_CYCLE_1)
	s_or_b32 exec_lo, exec_lo, s11
	v_mbcnt_lo_u32_b32 v3, -1, 0
	s_barrier
	buffer_gl0_inv
	v_lshlrev_b32_e32 v4, 2, v3
	v_cmp_gt_u32_e32 vcc_lo, 16, v3
	ds_bpermute_b32 v4, v4, v7
	v_cndmask_b32_e64 v5, 0, 1, vcc_lo
	v_cmp_gt_u32_e32 vcc_lo, 24, v3
	s_delay_alu instid0(VALU_DEP_2) | instskip(SKIP_2) | instid1(VALU_DEP_2)
	v_lshlrev_b32_e32 v5, 4, v5
	v_cndmask_b32_e64 v6, 0, 1, vcc_lo
	v_cmp_gt_u32_e32 vcc_lo, 28, v3
	v_lshlrev_b32_e32 v6, 3, v6
	s_delay_alu instid0(VALU_DEP_1)
	v_add_lshl_u32 v6, v6, v3, 2
	s_waitcnt lgkmcnt(0)
	v_add_f32_e32 v4, v7, v4
	v_add_lshl_u32 v5, v5, v3, 2
	ds_bpermute_b32 v5, v5, v4
	s_waitcnt lgkmcnt(0)
	v_add_f32_e32 v4, v4, v5
	ds_bpermute_b32 v5, v6, v4
	v_cndmask_b32_e64 v6, 0, 1, vcc_lo
	v_cmp_gt_u32_e32 vcc_lo, 30, v3
	s_delay_alu instid0(VALU_DEP_2) | instskip(NEXT) | instid1(VALU_DEP_1)
	v_lshlrev_b32_e32 v6, 2, v6
	v_add_lshl_u32 v6, v6, v3, 2
	s_waitcnt lgkmcnt(0)
	v_add_f32_e32 v4, v4, v5
	ds_bpermute_b32 v5, v6, v4
	v_cndmask_b32_e64 v6, 0, 1, vcc_lo
	v_cmp_ne_u32_e32 vcc_lo, 31, v3
	s_delay_alu instid0(VALU_DEP_2) | instskip(NEXT) | instid1(VALU_DEP_1)
	v_lshlrev_b32_e32 v6, 1, v6
	v_add_lshl_u32 v6, v6, v3, 2
	s_waitcnt lgkmcnt(0)
	v_add_f32_e32 v4, v4, v5
	ds_bpermute_b32 v5, v6, v4
	v_add_co_ci_u32_e32 v6, vcc_lo, 0, v3, vcc_lo
	v_cmp_eq_u32_e32 vcc_lo, 0, v0
	s_waitcnt lgkmcnt(0)
	s_delay_alu instid0(VALU_DEP_2)
	v_dual_add_f32 v3, v4, v5 :: v_dual_lshlrev_b32 v4, 2, v6
	ds_bpermute_b32 v4, v4, v3
	s_and_b32 exec_lo, exec_lo, vcc_lo
	s_cbranch_execz .LBB187_7
; %bb.6:
	v_lshlrev_b64 v[0:1], 2, v[1:2]
	s_waitcnt lgkmcnt(0)
	v_add_f32_e32 v2, v3, v4
	s_delay_alu instid0(VALU_DEP_2) | instskip(NEXT) | instid1(VALU_DEP_3)
	v_add_co_u32 v0, vcc_lo, s8, v0
	v_add_co_ci_u32_e32 v1, vcc_lo, s9, v1, vcc_lo
	global_store_b32 v[0:1], v2, off
.LBB187_7:
	s_nop 0
	s_sendmsg sendmsg(MSG_DEALLOC_VGPRS)
	s_endpgm
	.section	.rodata,"a",@progbits
	.p2align	6, 0x0
	.amdhsa_kernel _ZL28rocblas_dot_batched_4_kernelIlLi64ELi4ELb0EffPKPKfEviT5_lT_lS4_lS5_liPT4_
		.amdhsa_group_segment_fixed_size 0
		.amdhsa_private_segment_fixed_size 0
		.amdhsa_kernarg_size 88
		.amdhsa_user_sgpr_count 15
		.amdhsa_user_sgpr_dispatch_ptr 0
		.amdhsa_user_sgpr_queue_ptr 0
		.amdhsa_user_sgpr_kernarg_segment_ptr 1
		.amdhsa_user_sgpr_dispatch_id 0
		.amdhsa_user_sgpr_private_segment_size 0
		.amdhsa_wavefront_size32 1
		.amdhsa_uses_dynamic_stack 0
		.amdhsa_enable_private_segment 0
		.amdhsa_system_sgpr_workgroup_id_x 1
		.amdhsa_system_sgpr_workgroup_id_y 0
		.amdhsa_system_sgpr_workgroup_id_z 0
		.amdhsa_system_sgpr_workgroup_info 0
		.amdhsa_system_vgpr_workitem_id 1
		.amdhsa_next_free_vgpr 14
		.amdhsa_next_free_sgpr 16
		.amdhsa_reserve_vcc 1
		.amdhsa_float_round_mode_32 0
		.amdhsa_float_round_mode_16_64 0
		.amdhsa_float_denorm_mode_32 3
		.amdhsa_float_denorm_mode_16_64 3
		.amdhsa_dx10_clamp 1
		.amdhsa_ieee_mode 1
		.amdhsa_fp16_overflow 0
		.amdhsa_workgroup_processor_mode 1
		.amdhsa_memory_ordered 1
		.amdhsa_forward_progress 0
		.amdhsa_shared_vgpr_count 0
		.amdhsa_exception_fp_ieee_invalid_op 0
		.amdhsa_exception_fp_denorm_src 0
		.amdhsa_exception_fp_ieee_div_zero 0
		.amdhsa_exception_fp_ieee_overflow 0
		.amdhsa_exception_fp_ieee_underflow 0
		.amdhsa_exception_fp_ieee_inexact 0
		.amdhsa_exception_int_div_zero 0
	.end_amdhsa_kernel
	.section	.text._ZL28rocblas_dot_batched_4_kernelIlLi64ELi4ELb0EffPKPKfEviT5_lT_lS4_lS5_liPT4_,"axG",@progbits,_ZL28rocblas_dot_batched_4_kernelIlLi64ELi4ELb0EffPKPKfEviT5_lT_lS4_lS5_liPT4_,comdat
.Lfunc_end187:
	.size	_ZL28rocblas_dot_batched_4_kernelIlLi64ELi4ELb0EffPKPKfEviT5_lT_lS4_lS5_liPT4_, .Lfunc_end187-_ZL28rocblas_dot_batched_4_kernelIlLi64ELi4ELb0EffPKPKfEviT5_lT_lS4_lS5_liPT4_
                                        ; -- End function
	.section	.AMDGPU.csdata,"",@progbits
; Kernel info:
; codeLenInByte = 764
; NumSgprs: 18
; NumVgprs: 14
; ScratchSize: 0
; MemoryBound: 0
; FloatMode: 240
; IeeeMode: 1
; LDSByteSize: 0 bytes/workgroup (compile time only)
; SGPRBlocks: 2
; VGPRBlocks: 1
; NumSGPRsForWavesPerEU: 18
; NumVGPRsForWavesPerEU: 14
; Occupancy: 16
; WaveLimiterHint : 0
; COMPUTE_PGM_RSRC2:SCRATCH_EN: 0
; COMPUTE_PGM_RSRC2:USER_SGPR: 15
; COMPUTE_PGM_RSRC2:TRAP_HANDLER: 0
; COMPUTE_PGM_RSRC2:TGID_X_EN: 1
; COMPUTE_PGM_RSRC2:TGID_Y_EN: 0
; COMPUTE_PGM_RSRC2:TGID_Z_EN: 0
; COMPUTE_PGM_RSRC2:TIDIG_COMP_CNT: 1
	.section	.text._ZL18rocblas_dot_kernelIlLb1ELi1024ELi32ELb0EfPKPKffEviT5_lT_lS4_lS5_liPT6_PT4_,"axG",@progbits,_ZL18rocblas_dot_kernelIlLb1ELi1024ELi32ELb0EfPKPKffEviT5_lT_lS4_lS5_liPT6_PT4_,comdat
	.globl	_ZL18rocblas_dot_kernelIlLb1ELi1024ELi32ELb0EfPKPKffEviT5_lT_lS4_lS5_liPT6_PT4_ ; -- Begin function _ZL18rocblas_dot_kernelIlLb1ELi1024ELi32ELb0EfPKPKffEviT5_lT_lS4_lS5_liPT6_PT4_
	.p2align	8
	.type	_ZL18rocblas_dot_kernelIlLb1ELi1024ELi32ELb0EfPKPKffEviT5_lT_lS4_lS5_liPT6_PT4_,@function
_ZL18rocblas_dot_kernelIlLb1ELi1024ELi32ELb0EfPKPKffEviT5_lT_lS4_lS5_liPT6_PT4_: ; @_ZL18rocblas_dot_kernelIlLb1ELi1024ELi32ELb0EfPKPKffEviT5_lT_lS4_lS5_liPT6_PT4_
; %bb.0:
	s_clause 0x1
	s_load_b32 s14, s[0:1], 0x0
	s_load_b64 s[2:3], s[0:1], 0x58
	v_mov_b32_e32 v5, 0
	s_mov_b32 s12, s15
	s_mov_b32 s13, 0
	s_mov_b32 s15, exec_lo
	s_waitcnt lgkmcnt(0)
	v_cmpx_gt_i32_e64 s14, v0
	s_cbranch_execz .LBB188_4
; %bb.1:
	s_clause 0x4
	s_load_b64 s[16:17], s[0:1], 0x8
	s_load_b128 s[8:11], s[0:1], 0x10
	s_load_b128 s[4:7], s[0:1], 0x30
	s_load_b64 s[18:19], s[0:1], 0x28
	s_load_b32 s20, s[0:1], 0x60
	s_lshl_b64 s[0:1], s[12:13], 3
	s_waitcnt lgkmcnt(0)
	s_add_u32 s16, s16, s0
	v_mad_u64_u32 v[1:2], null, s10, v0, 0
	v_mad_u64_u32 v[3:4], null, s6, v0, 0
	s_addc_u32 s17, s17, s1
	s_add_u32 s18, s18, s0
	s_load_b64 s[16:17], s[16:17], 0x0
	s_addc_u32 s19, s19, s1
	s_lshl_b64 s[8:9], s[8:9], 2
	s_load_b64 s[18:19], s[18:19], 0x0
	s_delay_alu instid0(VALU_DEP_1) | instskip(SKIP_2) | instid1(SALU_CYCLE_1)
	v_mad_u64_u32 v[7:8], null, s11, v0, v[2:3]
	v_mov_b32_e32 v5, 0
	s_lshl_b32 s1, s20, 10
	s_mul_hi_u32 s0, s10, s1
	s_mul_i32 s11, s11, s1
	s_mul_i32 s20, s10, s1
	s_delay_alu instid0(VALU_DEP_2) | instskip(SKIP_3) | instid1(VALU_DEP_2)
	v_mov_b32_e32 v2, v7
	v_mad_u64_u32 v[8:9], null, s7, v0, v[4:5]
	s_mul_hi_u32 s23, s6, s1
	s_mul_i32 s22, s6, s1
	v_lshlrev_b64 v[1:2], 2, v[1:2]
	s_mul_i32 s7, s7, s1
	v_or_b32_e32 v6, s1, v0
	s_waitcnt lgkmcnt(0)
	s_add_u32 s16, s16, s8
	v_mov_b32_e32 v4, v8
	s_addc_u32 s17, s17, s9
	s_ashr_i32 s24, s1, 31
	s_lshl_b64 s[8:9], s[4:5], 2
	s_mul_i32 s4, s10, s24
	v_lshlrev_b64 v[3:4], 2, v[3:4]
	s_add_i32 s0, s0, s4
	v_add_co_u32 v1, vcc_lo, s16, v1
	s_add_i32 s21, s0, s11
	s_mul_i32 s0, s6, s24
	s_lshl_b64 s[4:5], s[20:21], 2
	s_add_u32 s6, s18, s8
	v_add_co_ci_u32_e32 v2, vcc_lo, s17, v2, vcc_lo
	s_addc_u32 s8, s19, s9
	v_add_co_u32 v3, vcc_lo, s6, v3
	s_add_i32 s0, s23, s0
	v_add_co_ci_u32_e32 v4, vcc_lo, s8, v4, vcc_lo
	s_add_i32 s23, s0, s7
	s_mov_b32 s8, s13
	s_lshl_b64 s[6:7], s[22:23], 2
	s_mov_b32 s9, s13
	.p2align	6
.LBB188_2:                              ; =>This Inner Loop Header: Depth=1
	global_load_b32 v7, v[3:4], off
	global_load_b32 v8, v[1:2], off
	v_add_co_u32 v1, s0, v1, s4
	s_delay_alu instid0(VALU_DEP_1)
	v_add_co_ci_u32_e64 v2, s0, s5, v2, s0
	s_add_i32 s10, s9, 1
	v_cmp_le_i32_e32 vcc_lo, s14, v6
	v_add_co_u32 v3, s0, v3, s6
	s_cmp_gt_u32 s9, 30
	v_add_co_ci_u32_e64 v4, s0, s7, v4, s0
	s_cselect_b32 s0, -1, 0
	v_add_nc_u32_e32 v6, s1, v6
	s_or_b32 s0, s0, vcc_lo
	s_mov_b32 s9, s10
	s_and_b32 s0, exec_lo, s0
	s_delay_alu instid0(SALU_CYCLE_1)
	s_or_b32 s8, s0, s8
	s_waitcnt vmcnt(0)
	v_fmac_f32_e32 v5, v7, v8
	s_and_not1_b32 exec_lo, exec_lo, s8
	s_cbranch_execnz .LBB188_2
; %bb.3:
	s_or_b32 exec_lo, exec_lo, s8
.LBB188_4:
	s_delay_alu instid0(SALU_CYCLE_1) | instskip(SKIP_2) | instid1(VALU_DEP_2)
	s_or_b32 exec_lo, exec_lo, s15
	v_and_b32_e32 v7, 31, v0
	v_cmp_gt_u32_e32 vcc_lo, 32, v0
	v_lshlrev_b32_e32 v1, 2, v7
	s_and_saveexec_b32 s0, vcc_lo
	s_cbranch_execz .LBB188_6
; %bb.5:
	v_mov_b32_e32 v2, 0
	ds_store_b32 v1, v2
.LBB188_6:
	s_or_b32 exec_lo, exec_lo, s0
	v_mbcnt_lo_u32_b32 v6, -1, 0
	s_mov_b32 s1, exec_lo
	s_waitcnt lgkmcnt(0)
	s_barrier
	buffer_gl0_inv
	v_cmp_gt_u32_e64 s0, 16, v6
	s_delay_alu instid0(VALU_DEP_1) | instskip(SKIP_1) | instid1(VALU_DEP_2)
	v_cndmask_b32_e64 v2, 0, 1, s0
	v_cmp_gt_u32_e64 s0, 24, v6
	v_lshlrev_b32_e32 v2, 4, v2
	s_delay_alu instid0(VALU_DEP_2) | instskip(SKIP_1) | instid1(VALU_DEP_3)
	v_cndmask_b32_e64 v3, 0, 1, s0
	v_cmp_gt_u32_e64 s0, 28, v6
	v_add_lshl_u32 v2, v2, v6, 2
	ds_bpermute_b32 v4, v2, v5
	s_waitcnt lgkmcnt(0)
	v_add_f32_e32 v5, v5, v4
	v_lshlrev_b32_e32 v3, 3, v3
	v_cndmask_b32_e64 v4, 0, 1, s0
	v_cmp_gt_u32_e64 s0, 30, v6
	s_delay_alu instid0(VALU_DEP_3) | instskip(NEXT) | instid1(VALU_DEP_3)
	v_add_lshl_u32 v3, v3, v6, 2
	v_lshlrev_b32_e32 v4, 2, v4
	ds_bpermute_b32 v8, v3, v5
	v_add_lshl_u32 v4, v4, v6, 2
	s_waitcnt lgkmcnt(0)
	v_add_f32_e32 v8, v5, v8
	v_cndmask_b32_e64 v5, 0, 1, s0
	v_cmp_ne_u32_e64 s0, 31, v6
	ds_bpermute_b32 v9, v4, v8
	v_lshlrev_b32_e32 v5, 1, v5
	s_delay_alu instid0(VALU_DEP_1) | instskip(SKIP_1) | instid1(VALU_DEP_1)
	v_add_lshl_u32 v5, v5, v6, 2
	v_add_co_ci_u32_e64 v6, s0, 0, v6, s0
	v_lshlrev_b32_e32 v6, 2, v6
	s_waitcnt lgkmcnt(0)
	v_add_f32_e32 v8, v8, v9
	ds_bpermute_b32 v9, v5, v8
	s_waitcnt lgkmcnt(0)
	v_add_f32_e32 v8, v8, v9
	ds_bpermute_b32 v9, v6, v8
	v_cmpx_eq_u32_e32 0, v7
	s_cbranch_execz .LBB188_8
; %bb.7:
	v_lshrrev_b32_e32 v7, 3, v0
	s_waitcnt lgkmcnt(0)
	s_delay_alu instid0(VALU_DEP_1)
	v_dual_add_f32 v8, v8, v9 :: v_dual_and_b32 v7, 0x7c, v7
	ds_store_b32 v7, v8
.LBB188_8:
	s_or_b32 exec_lo, exec_lo, s1
	v_mov_b32_e32 v7, 0
	s_waitcnt lgkmcnt(0)
	s_barrier
	buffer_gl0_inv
	s_and_saveexec_b32 s0, vcc_lo
	s_cbranch_execz .LBB188_10
; %bb.9:
	ds_load_b32 v7, v1
.LBB188_10:
	s_or_b32 exec_lo, exec_lo, s0
	s_and_saveexec_b32 s0, vcc_lo
	s_cbranch_execz .LBB188_12
; %bb.11:
	s_waitcnt lgkmcnt(0)
	ds_bpermute_b32 v1, v2, v7
	s_waitcnt lgkmcnt(0)
	v_add_f32_e32 v1, v7, v1
	ds_bpermute_b32 v2, v3, v1
	s_waitcnt lgkmcnt(0)
	v_add_f32_e32 v1, v1, v2
	;; [unrolled: 3-line block ×5, first 2 shown]
.LBB188_12:
	s_or_b32 exec_lo, exec_lo, s0
	s_delay_alu instid0(SALU_CYCLE_1)
	s_mov_b32 s0, exec_lo
	v_cmpx_eq_u32_e32 0, v0
	s_cbranch_execz .LBB188_14
; %bb.13:
	s_lshl_b64 s[0:1], s[12:13], 2
	v_mov_b32_e32 v0, 0
	s_add_u32 s0, s2, s0
	s_addc_u32 s1, s3, s1
	s_waitcnt lgkmcnt(0)
	global_store_b32 v0, v7, s[0:1]
.LBB188_14:
	s_nop 0
	s_sendmsg sendmsg(MSG_DEALLOC_VGPRS)
	s_endpgm
	.section	.rodata,"a",@progbits
	.p2align	6, 0x0
	.amdhsa_kernel _ZL18rocblas_dot_kernelIlLb1ELi1024ELi32ELb0EfPKPKffEviT5_lT_lS4_lS5_liPT6_PT4_
		.amdhsa_group_segment_fixed_size 128
		.amdhsa_private_segment_fixed_size 0
		.amdhsa_kernarg_size 352
		.amdhsa_user_sgpr_count 14
		.amdhsa_user_sgpr_dispatch_ptr 0
		.amdhsa_user_sgpr_queue_ptr 0
		.amdhsa_user_sgpr_kernarg_segment_ptr 1
		.amdhsa_user_sgpr_dispatch_id 0
		.amdhsa_user_sgpr_private_segment_size 0
		.amdhsa_wavefront_size32 1
		.amdhsa_uses_dynamic_stack 0
		.amdhsa_enable_private_segment 0
		.amdhsa_system_sgpr_workgroup_id_x 1
		.amdhsa_system_sgpr_workgroup_id_y 0
		.amdhsa_system_sgpr_workgroup_id_z 1
		.amdhsa_system_sgpr_workgroup_info 0
		.amdhsa_system_vgpr_workitem_id 0
		.amdhsa_next_free_vgpr 10
		.amdhsa_next_free_sgpr 25
		.amdhsa_reserve_vcc 1
		.amdhsa_float_round_mode_32 0
		.amdhsa_float_round_mode_16_64 0
		.amdhsa_float_denorm_mode_32 3
		.amdhsa_float_denorm_mode_16_64 3
		.amdhsa_dx10_clamp 1
		.amdhsa_ieee_mode 1
		.amdhsa_fp16_overflow 0
		.amdhsa_workgroup_processor_mode 1
		.amdhsa_memory_ordered 1
		.amdhsa_forward_progress 0
		.amdhsa_shared_vgpr_count 0
		.amdhsa_exception_fp_ieee_invalid_op 0
		.amdhsa_exception_fp_denorm_src 0
		.amdhsa_exception_fp_ieee_div_zero 0
		.amdhsa_exception_fp_ieee_overflow 0
		.amdhsa_exception_fp_ieee_underflow 0
		.amdhsa_exception_fp_ieee_inexact 0
		.amdhsa_exception_int_div_zero 0
	.end_amdhsa_kernel
	.section	.text._ZL18rocblas_dot_kernelIlLb1ELi1024ELi32ELb0EfPKPKffEviT5_lT_lS4_lS5_liPT6_PT4_,"axG",@progbits,_ZL18rocblas_dot_kernelIlLb1ELi1024ELi32ELb0EfPKPKffEviT5_lT_lS4_lS5_liPT6_PT4_,comdat
.Lfunc_end188:
	.size	_ZL18rocblas_dot_kernelIlLb1ELi1024ELi32ELb0EfPKPKffEviT5_lT_lS4_lS5_liPT6_PT4_, .Lfunc_end188-_ZL18rocblas_dot_kernelIlLb1ELi1024ELi32ELb0EfPKPKffEviT5_lT_lS4_lS5_liPT6_PT4_
                                        ; -- End function
	.section	.AMDGPU.csdata,"",@progbits
; Kernel info:
; codeLenInByte = 972
; NumSgprs: 27
; NumVgprs: 10
; ScratchSize: 0
; MemoryBound: 0
; FloatMode: 240
; IeeeMode: 1
; LDSByteSize: 128 bytes/workgroup (compile time only)
; SGPRBlocks: 3
; VGPRBlocks: 1
; NumSGPRsForWavesPerEU: 27
; NumVGPRsForWavesPerEU: 10
; Occupancy: 16
; WaveLimiterHint : 0
; COMPUTE_PGM_RSRC2:SCRATCH_EN: 0
; COMPUTE_PGM_RSRC2:USER_SGPR: 14
; COMPUTE_PGM_RSRC2:TRAP_HANDLER: 0
; COMPUTE_PGM_RSRC2:TGID_X_EN: 1
; COMPUTE_PGM_RSRC2:TGID_Y_EN: 0
; COMPUTE_PGM_RSRC2:TGID_Z_EN: 1
; COMPUTE_PGM_RSRC2:TIDIG_COMP_CNT: 0
	.section	.text._ZL24rocblas_dot_kernel_magsqIlLb1ELi1024ELi32ELb0EfPKPKffEviT5_lT_liPT6_PT4_,"axG",@progbits,_ZL24rocblas_dot_kernel_magsqIlLb1ELi1024ELi32ELb0EfPKPKffEviT5_lT_liPT6_PT4_,comdat
	.globl	_ZL24rocblas_dot_kernel_magsqIlLb1ELi1024ELi32ELb0EfPKPKffEviT5_lT_liPT6_PT4_ ; -- Begin function _ZL24rocblas_dot_kernel_magsqIlLb1ELi1024ELi32ELb0EfPKPKffEviT5_lT_liPT6_PT4_
	.p2align	8
	.type	_ZL24rocblas_dot_kernel_magsqIlLb1ELi1024ELi32ELb0EfPKPKffEviT5_lT_liPT6_PT4_,@function
_ZL24rocblas_dot_kernel_magsqIlLb1ELi1024ELi32ELb0EfPKPKffEviT5_lT_liPT6_PT4_: ; @_ZL24rocblas_dot_kernel_magsqIlLb1ELi1024ELi32ELb0EfPKPKffEviT5_lT_liPT6_PT4_
; %bb.0:
	s_clause 0x1
	s_load_b32 s8, s[0:1], 0x0
	s_load_b64 s[2:3], s[0:1], 0x38
	v_mov_b32_e32 v3, 0
	s_mov_b32 s4, s15
	s_mov_b32 s5, 0
	s_mov_b32 s9, exec_lo
	s_waitcnt lgkmcnt(0)
	v_cmpx_gt_i32_e64 s8, v0
	s_cbranch_execz .LBB189_4
; %bb.1:
	s_clause 0x1
	s_load_b64 s[6:7], s[0:1], 0x8
	s_load_b128 s[12:15], s[0:1], 0x10
	s_lshl_b64 s[10:11], s[4:5], 3
	s_load_b32 s16, s[0:1], 0x40
	s_waitcnt lgkmcnt(0)
	s_add_u32 s0, s6, s10
	v_mad_u64_u32 v[1:2], null, s14, v0, 0
	s_addc_u32 s1, s7, s11
	s_lshl_b64 s[10:11], s[12:13], 2
	s_load_b64 s[6:7], s[0:1], 0x0
	s_lshl_b32 s1, s16, 10
	s_delay_alu instid0(SALU_CYCLE_1) | instskip(NEXT) | instid1(VALU_DEP_1)
	s_mul_hi_u32 s0, s14, s1
	v_mad_u64_u32 v[3:4], null, s15, v0, v[2:3]
	v_or_b32_e32 v4, s1, v0
	s_delay_alu instid0(VALU_DEP_2) | instskip(NEXT) | instid1(VALU_DEP_1)
	v_dual_mov_b32 v2, v3 :: v_dual_mov_b32 v3, 0
	v_lshlrev_b64 v[1:2], 2, v[1:2]
	s_waitcnt lgkmcnt(0)
	s_add_u32 s10, s6, s10
	s_addc_u32 s11, s7, s11
	s_ashr_i32 s6, s1, 31
	s_delay_alu instid0(VALU_DEP_1)
	v_add_co_u32 v1, vcc_lo, s10, v1
	s_mul_i32 s6, s14, s6
	s_mul_i32 s7, s15, s1
	s_add_i32 s0, s0, s6
	v_add_co_ci_u32_e32 v2, vcc_lo, s11, v2, vcc_lo
	s_mul_i32 s6, s14, s1
	s_add_i32 s7, s0, s7
	s_mov_b32 s10, s5
	s_lshl_b64 s[6:7], s[6:7], 2
	s_mov_b32 s11, s5
	.p2align	6
.LBB189_2:                              ; =>This Inner Loop Header: Depth=1
	global_load_b32 v5, v[1:2], off
	s_add_i32 s12, s11, 1
	v_cmp_le_i32_e32 vcc_lo, s8, v4
	v_add_co_u32 v1, s0, v1, s6
	s_cmp_gt_u32 s11, 30
	v_add_co_ci_u32_e64 v2, s0, s7, v2, s0
	s_cselect_b32 s0, -1, 0
	v_add_nc_u32_e32 v4, s1, v4
	s_or_b32 s0, s0, vcc_lo
	s_mov_b32 s11, s12
	s_and_b32 s0, exec_lo, s0
	s_delay_alu instid0(SALU_CYCLE_1)
	s_or_b32 s10, s0, s10
	s_waitcnt vmcnt(0)
	v_fmac_f32_e32 v3, v5, v5
	s_and_not1_b32 exec_lo, exec_lo, s10
	s_cbranch_execnz .LBB189_2
; %bb.3:
	s_or_b32 exec_lo, exec_lo, s10
.LBB189_4:
	s_delay_alu instid0(SALU_CYCLE_1) | instskip(SKIP_2) | instid1(VALU_DEP_2)
	s_or_b32 exec_lo, exec_lo, s9
	v_and_b32_e32 v7, 31, v0
	v_cmp_gt_u32_e32 vcc_lo, 32, v0
	v_lshlrev_b32_e32 v1, 2, v7
	s_and_saveexec_b32 s0, vcc_lo
	s_cbranch_execz .LBB189_6
; %bb.5:
	v_mov_b32_e32 v2, 0
	ds_store_b32 v1, v2
.LBB189_6:
	s_or_b32 exec_lo, exec_lo, s0
	v_mbcnt_lo_u32_b32 v6, -1, 0
	s_mov_b32 s1, exec_lo
	s_waitcnt lgkmcnt(0)
	s_barrier
	buffer_gl0_inv
	v_cmp_gt_u32_e64 s0, 16, v6
	s_delay_alu instid0(VALU_DEP_1) | instskip(SKIP_1) | instid1(VALU_DEP_2)
	v_cndmask_b32_e64 v2, 0, 1, s0
	v_cmp_gt_u32_e64 s0, 24, v6
	v_lshlrev_b32_e32 v2, 4, v2
	s_delay_alu instid0(VALU_DEP_2) | instskip(SKIP_1) | instid1(VALU_DEP_3)
	v_cndmask_b32_e64 v4, 0, 1, s0
	v_cmp_gt_u32_e64 s0, 28, v6
	v_add_lshl_u32 v2, v2, v6, 2
	s_delay_alu instid0(VALU_DEP_3)
	v_lshlrev_b32_e32 v4, 3, v4
	ds_bpermute_b32 v5, v2, v3
	v_add_lshl_u32 v4, v4, v6, 2
	s_waitcnt lgkmcnt(0)
	v_add_f32_e32 v5, v3, v5
	v_cndmask_b32_e64 v3, 0, 1, s0
	v_cmp_gt_u32_e64 s0, 30, v6
	ds_bpermute_b32 v8, v4, v5
	s_waitcnt lgkmcnt(0)
	v_dual_add_f32 v8, v5, v8 :: v_dual_lshlrev_b32 v3, 2, v3
	s_delay_alu instid0(VALU_DEP_1) | instskip(SKIP_4) | instid1(VALU_DEP_1)
	v_add_lshl_u32 v3, v3, v6, 2
	v_cndmask_b32_e64 v5, 0, 1, s0
	v_cmp_ne_u32_e64 s0, 31, v6
	ds_bpermute_b32 v9, v3, v8
	v_lshlrev_b32_e32 v5, 1, v5
	v_add_lshl_u32 v5, v5, v6, 2
	v_add_co_ci_u32_e64 v6, s0, 0, v6, s0
	s_delay_alu instid0(VALU_DEP_1)
	v_lshlrev_b32_e32 v6, 2, v6
	s_waitcnt lgkmcnt(0)
	v_add_f32_e32 v8, v8, v9
	ds_bpermute_b32 v9, v5, v8
	s_waitcnt lgkmcnt(0)
	v_add_f32_e32 v8, v8, v9
	ds_bpermute_b32 v9, v6, v8
	v_cmpx_eq_u32_e32 0, v7
	s_cbranch_execz .LBB189_8
; %bb.7:
	v_lshrrev_b32_e32 v7, 3, v0
	s_waitcnt lgkmcnt(0)
	s_delay_alu instid0(VALU_DEP_1)
	v_dual_add_f32 v8, v8, v9 :: v_dual_and_b32 v7, 0x7c, v7
	ds_store_b32 v7, v8
.LBB189_8:
	s_or_b32 exec_lo, exec_lo, s1
	v_mov_b32_e32 v7, 0
	s_waitcnt lgkmcnt(0)
	s_barrier
	buffer_gl0_inv
	s_and_saveexec_b32 s0, vcc_lo
	s_cbranch_execz .LBB189_10
; %bb.9:
	ds_load_b32 v7, v1
.LBB189_10:
	s_or_b32 exec_lo, exec_lo, s0
	s_and_saveexec_b32 s0, vcc_lo
	s_cbranch_execz .LBB189_12
; %bb.11:
	s_waitcnt lgkmcnt(0)
	ds_bpermute_b32 v1, v2, v7
	s_waitcnt lgkmcnt(0)
	v_add_f32_e32 v1, v7, v1
	ds_bpermute_b32 v2, v4, v1
	s_waitcnt lgkmcnt(0)
	v_add_f32_e32 v1, v1, v2
	;; [unrolled: 3-line block ×5, first 2 shown]
.LBB189_12:
	s_or_b32 exec_lo, exec_lo, s0
	s_delay_alu instid0(SALU_CYCLE_1)
	s_mov_b32 s0, exec_lo
	v_cmpx_eq_u32_e32 0, v0
	s_cbranch_execz .LBB189_14
; %bb.13:
	s_lshl_b64 s[0:1], s[4:5], 2
	v_mov_b32_e32 v0, 0
	s_add_u32 s0, s2, s0
	s_addc_u32 s1, s3, s1
	s_waitcnt lgkmcnt(0)
	global_store_b32 v0, v7, s[0:1]
.LBB189_14:
	s_nop 0
	s_sendmsg sendmsg(MSG_DEALLOC_VGPRS)
	s_endpgm
	.section	.rodata,"a",@progbits
	.p2align	6, 0x0
	.amdhsa_kernel _ZL24rocblas_dot_kernel_magsqIlLb1ELi1024ELi32ELb0EfPKPKffEviT5_lT_liPT6_PT4_
		.amdhsa_group_segment_fixed_size 128
		.amdhsa_private_segment_fixed_size 0
		.amdhsa_kernarg_size 320
		.amdhsa_user_sgpr_count 14
		.amdhsa_user_sgpr_dispatch_ptr 0
		.amdhsa_user_sgpr_queue_ptr 0
		.amdhsa_user_sgpr_kernarg_segment_ptr 1
		.amdhsa_user_sgpr_dispatch_id 0
		.amdhsa_user_sgpr_private_segment_size 0
		.amdhsa_wavefront_size32 1
		.amdhsa_uses_dynamic_stack 0
		.amdhsa_enable_private_segment 0
		.amdhsa_system_sgpr_workgroup_id_x 1
		.amdhsa_system_sgpr_workgroup_id_y 0
		.amdhsa_system_sgpr_workgroup_id_z 1
		.amdhsa_system_sgpr_workgroup_info 0
		.amdhsa_system_vgpr_workitem_id 0
		.amdhsa_next_free_vgpr 10
		.amdhsa_next_free_sgpr 17
		.amdhsa_reserve_vcc 1
		.amdhsa_float_round_mode_32 0
		.amdhsa_float_round_mode_16_64 0
		.amdhsa_float_denorm_mode_32 3
		.amdhsa_float_denorm_mode_16_64 3
		.amdhsa_dx10_clamp 1
		.amdhsa_ieee_mode 1
		.amdhsa_fp16_overflow 0
		.amdhsa_workgroup_processor_mode 1
		.amdhsa_memory_ordered 1
		.amdhsa_forward_progress 0
		.amdhsa_shared_vgpr_count 0
		.amdhsa_exception_fp_ieee_invalid_op 0
		.amdhsa_exception_fp_denorm_src 0
		.amdhsa_exception_fp_ieee_div_zero 0
		.amdhsa_exception_fp_ieee_overflow 0
		.amdhsa_exception_fp_ieee_underflow 0
		.amdhsa_exception_fp_ieee_inexact 0
		.amdhsa_exception_int_div_zero 0
	.end_amdhsa_kernel
	.section	.text._ZL24rocblas_dot_kernel_magsqIlLb1ELi1024ELi32ELb0EfPKPKffEviT5_lT_liPT6_PT4_,"axG",@progbits,_ZL24rocblas_dot_kernel_magsqIlLb1ELi1024ELi32ELb0EfPKPKffEviT5_lT_liPT6_PT4_,comdat
.Lfunc_end189:
	.size	_ZL24rocblas_dot_kernel_magsqIlLb1ELi1024ELi32ELb0EfPKPKffEviT5_lT_liPT6_PT4_, .Lfunc_end189-_ZL24rocblas_dot_kernel_magsqIlLb1ELi1024ELi32ELb0EfPKPKffEviT5_lT_liPT6_PT4_
                                        ; -- End function
	.section	.AMDGPU.csdata,"",@progbits
; Kernel info:
; codeLenInByte = 840
; NumSgprs: 19
; NumVgprs: 10
; ScratchSize: 0
; MemoryBound: 0
; FloatMode: 240
; IeeeMode: 1
; LDSByteSize: 128 bytes/workgroup (compile time only)
; SGPRBlocks: 2
; VGPRBlocks: 1
; NumSGPRsForWavesPerEU: 19
; NumVGPRsForWavesPerEU: 10
; Occupancy: 16
; WaveLimiterHint : 0
; COMPUTE_PGM_RSRC2:SCRATCH_EN: 0
; COMPUTE_PGM_RSRC2:USER_SGPR: 14
; COMPUTE_PGM_RSRC2:TRAP_HANDLER: 0
; COMPUTE_PGM_RSRC2:TGID_X_EN: 1
; COMPUTE_PGM_RSRC2:TGID_Y_EN: 0
; COMPUTE_PGM_RSRC2:TGID_Z_EN: 1
; COMPUTE_PGM_RSRC2:TIDIG_COMP_CNT: 0
	.section	.text._ZL38rocblas_dot_kernel_gfx942_float_doubleIlLi1024EfPKPKffEviT2_lT_lS4_lS5_lPT3_PT1_,"axG",@progbits,_ZL38rocblas_dot_kernel_gfx942_float_doubleIlLi1024EfPKPKffEviT2_lT_lS4_lS5_lPT3_PT1_,comdat
	.globl	_ZL38rocblas_dot_kernel_gfx942_float_doubleIlLi1024EfPKPKffEviT2_lT_lS4_lS5_lPT3_PT1_ ; -- Begin function _ZL38rocblas_dot_kernel_gfx942_float_doubleIlLi1024EfPKPKffEviT2_lT_lS4_lS5_lPT3_PT1_
	.p2align	8
	.type	_ZL38rocblas_dot_kernel_gfx942_float_doubleIlLi1024EfPKPKffEviT2_lT_lS4_lS5_lPT3_PT1_,@function
_ZL38rocblas_dot_kernel_gfx942_float_doubleIlLi1024EfPKPKffEviT2_lT_lS4_lS5_lPT3_PT1_: ; @_ZL38rocblas_dot_kernel_gfx942_float_doubleIlLi1024EfPKPKffEviT2_lT_lS4_lS5_lPT3_PT1_
; %bb.0:
	s_endpgm
	.section	.rodata,"a",@progbits
	.p2align	6, 0x0
	.amdhsa_kernel _ZL38rocblas_dot_kernel_gfx942_float_doubleIlLi1024EfPKPKffEviT2_lT_lS4_lS5_lPT3_PT1_
		.amdhsa_group_segment_fixed_size 0
		.amdhsa_private_segment_fixed_size 0
		.amdhsa_kernarg_size 88
		.amdhsa_user_sgpr_count 15
		.amdhsa_user_sgpr_dispatch_ptr 0
		.amdhsa_user_sgpr_queue_ptr 0
		.amdhsa_user_sgpr_kernarg_segment_ptr 1
		.amdhsa_user_sgpr_dispatch_id 0
		.amdhsa_user_sgpr_private_segment_size 0
		.amdhsa_wavefront_size32 1
		.amdhsa_uses_dynamic_stack 0
		.amdhsa_enable_private_segment 0
		.amdhsa_system_sgpr_workgroup_id_x 1
		.amdhsa_system_sgpr_workgroup_id_y 0
		.amdhsa_system_sgpr_workgroup_id_z 0
		.amdhsa_system_sgpr_workgroup_info 0
		.amdhsa_system_vgpr_workitem_id 0
		.amdhsa_next_free_vgpr 1
		.amdhsa_next_free_sgpr 1
		.amdhsa_reserve_vcc 0
		.amdhsa_float_round_mode_32 0
		.amdhsa_float_round_mode_16_64 0
		.amdhsa_float_denorm_mode_32 3
		.amdhsa_float_denorm_mode_16_64 3
		.amdhsa_dx10_clamp 1
		.amdhsa_ieee_mode 1
		.amdhsa_fp16_overflow 0
		.amdhsa_workgroup_processor_mode 1
		.amdhsa_memory_ordered 1
		.amdhsa_forward_progress 0
		.amdhsa_shared_vgpr_count 0
		.amdhsa_exception_fp_ieee_invalid_op 0
		.amdhsa_exception_fp_denorm_src 0
		.amdhsa_exception_fp_ieee_div_zero 0
		.amdhsa_exception_fp_ieee_overflow 0
		.amdhsa_exception_fp_ieee_underflow 0
		.amdhsa_exception_fp_ieee_inexact 0
		.amdhsa_exception_int_div_zero 0
	.end_amdhsa_kernel
	.section	.text._ZL38rocblas_dot_kernel_gfx942_float_doubleIlLi1024EfPKPKffEviT2_lT_lS4_lS5_lPT3_PT1_,"axG",@progbits,_ZL38rocblas_dot_kernel_gfx942_float_doubleIlLi1024EfPKPKffEviT2_lT_lS4_lS5_lPT3_PT1_,comdat
.Lfunc_end190:
	.size	_ZL38rocblas_dot_kernel_gfx942_float_doubleIlLi1024EfPKPKffEviT2_lT_lS4_lS5_lPT3_PT1_, .Lfunc_end190-_ZL38rocblas_dot_kernel_gfx942_float_doubleIlLi1024EfPKPKffEviT2_lT_lS4_lS5_lPT3_PT1_
                                        ; -- End function
	.section	.AMDGPU.csdata,"",@progbits
; Kernel info:
; codeLenInByte = 4
; NumSgprs: 0
; NumVgprs: 0
; ScratchSize: 0
; MemoryBound: 0
; FloatMode: 240
; IeeeMode: 1
; LDSByteSize: 0 bytes/workgroup (compile time only)
; SGPRBlocks: 0
; VGPRBlocks: 0
; NumSGPRsForWavesPerEU: 1
; NumVGPRsForWavesPerEU: 1
; Occupancy: 16
; WaveLimiterHint : 0
; COMPUTE_PGM_RSRC2:SCRATCH_EN: 0
; COMPUTE_PGM_RSRC2:USER_SGPR: 15
; COMPUTE_PGM_RSRC2:TRAP_HANDLER: 0
; COMPUTE_PGM_RSRC2:TGID_X_EN: 1
; COMPUTE_PGM_RSRC2:TGID_Y_EN: 0
; COMPUTE_PGM_RSRC2:TGID_Z_EN: 0
; COMPUTE_PGM_RSRC2:TIDIG_COMP_CNT: 0
	.section	.text._ZL18rocblas_dot_kernelIlLb0ELi512ELi4ELb0EfPKPKffEviT5_lT_lS4_lS5_liPT6_PT4_,"axG",@progbits,_ZL18rocblas_dot_kernelIlLb0ELi512ELi4ELb0EfPKPKffEviT5_lT_lS4_lS5_liPT6_PT4_,comdat
	.globl	_ZL18rocblas_dot_kernelIlLb0ELi512ELi4ELb0EfPKPKffEviT5_lT_lS4_lS5_liPT6_PT4_ ; -- Begin function _ZL18rocblas_dot_kernelIlLb0ELi512ELi4ELb0EfPKPKffEviT5_lT_lS4_lS5_liPT6_PT4_
	.p2align	8
	.type	_ZL18rocblas_dot_kernelIlLb0ELi512ELi4ELb0EfPKPKffEviT5_lT_lS4_lS5_liPT6_PT4_,@function
_ZL18rocblas_dot_kernelIlLb0ELi512ELi4ELb0EfPKPKffEviT5_lT_lS4_lS5_liPT6_PT4_: ; @_ZL18rocblas_dot_kernelIlLb0ELi512ELi4ELb0EfPKPKffEviT5_lT_lS4_lS5_liPT6_PT4_
; %bb.0:
	s_clause 0x2
	s_load_b32 s12, s[0:1], 0x60
	s_load_b32 s13, s[0:1], 0x0
	s_load_b128 s[4:7], s[0:1], 0x50
	v_lshl_or_b32 v1, s14, 9, v0
	v_mov_b32_e32 v5, 0
	s_mov_b32 s2, s15
	s_mov_b32 s3, 0
	s_mov_b32 s15, exec_lo
	s_waitcnt lgkmcnt(0)
	v_cmpx_gt_i32_e64 s13, v1
	s_cbranch_execz .LBB191_4
; %bb.1:
	s_clause 0x3
	s_load_b64 s[20:21], s[0:1], 0x8
	s_load_b128 s[16:19], s[0:1], 0x10
	s_load_b128 s[8:11], s[0:1], 0x30
	s_load_b64 s[0:1], s[0:1], 0x28
	s_lshl_b64 s[22:23], s[2:3], 3
	v_ashrrev_i32_e32 v4, 31, v1
	s_waitcnt lgkmcnt(0)
	s_add_u32 s20, s20, s22
	s_addc_u32 s21, s21, s23
	v_mul_lo_u32 v9, s19, v1
	s_load_b64 s[20:21], s[20:21], 0x0
	s_add_u32 s22, s0, s22
	s_addc_u32 s23, s1, s23
	v_mul_lo_u32 v10, s18, v4
	v_mad_u64_u32 v[2:3], null, s18, v1, 0
	s_load_b64 s[22:23], s[22:23], 0x0
	v_mul_lo_u32 v11, s11, v1
	v_mul_lo_u32 v4, s10, v4
	v_mad_u64_u32 v[7:8], null, s10, v1, 0
	s_lshl_b64 s[16:17], s[16:17], 2
	s_delay_alu instid0(VALU_DEP_4) | instskip(SKIP_1) | instid1(SALU_CYCLE_1)
	v_add3_u32 v3, v3, v10, v9
	s_lshl_b32 s1, s12, 9
	v_dual_mov_b32 v5, 0 :: v_dual_add_nc_u32 v6, s1, v1
	s_mul_hi_u32 s0, s18, s1
	s_delay_alu instid0(VALU_DEP_3)
	v_add3_u32 v8, v8, v4, v11
	v_lshlrev_b64 v[1:2], 2, v[2:3]
	s_mul_i32 s19, s19, s1
	s_waitcnt lgkmcnt(0)
	s_add_u32 s20, s20, s16
	s_addc_u32 s21, s21, s17
	s_ashr_i32 s28, s1, 31
	v_lshlrev_b64 v[3:4], 2, v[7:8]
	s_mul_i32 s16, s18, s28
	s_mul_i32 s24, s18, s1
	s_add_i32 s0, s0, s16
	s_lshl_b64 s[16:17], s[8:9], 2
	s_add_i32 s25, s0, s19
	v_add_co_u32 v1, vcc_lo, s20, v1
	s_lshl_b64 s[8:9], s[24:25], 2
	s_mul_hi_u32 s27, s10, s1
	s_mul_i32 s26, s10, s1
	s_mul_i32 s0, s10, s28
	s_add_u32 s10, s22, s16
	v_add_co_ci_u32_e32 v2, vcc_lo, s21, v2, vcc_lo
	s_addc_u32 s16, s23, s17
	v_add_co_u32 v3, vcc_lo, s10, v3
	s_mul_i32 s11, s11, s1
	s_add_i32 s0, s27, s0
	v_add_co_ci_u32_e32 v4, vcc_lo, s16, v4, vcc_lo
	s_add_i32 s27, s0, s11
	s_mov_b32 s16, s3
	s_lshl_b64 s[10:11], s[26:27], 2
	s_mov_b32 s17, s3
	.p2align	6
.LBB191_2:                              ; =>This Inner Loop Header: Depth=1
	global_load_b32 v7, v[3:4], off
	global_load_b32 v8, v[1:2], off
	v_add_co_u32 v1, s0, v1, s8
	s_delay_alu instid0(VALU_DEP_1)
	v_add_co_ci_u32_e64 v2, s0, s9, v2, s0
	s_add_i32 s18, s17, 1
	v_cmp_le_i32_e32 vcc_lo, s13, v6
	v_add_co_u32 v3, s0, v3, s10
	s_cmp_gt_u32 s17, 2
	v_add_co_ci_u32_e64 v4, s0, s11, v4, s0
	s_cselect_b32 s0, -1, 0
	v_add_nc_u32_e32 v6, s1, v6
	s_or_b32 s0, s0, vcc_lo
	s_mov_b32 s17, s18
	s_and_b32 s0, exec_lo, s0
	s_delay_alu instid0(SALU_CYCLE_1)
	s_or_b32 s16, s0, s16
	s_waitcnt vmcnt(0)
	v_fmac_f32_e32 v5, v7, v8
	s_and_not1_b32 exec_lo, exec_lo, s16
	s_cbranch_execnz .LBB191_2
; %bb.3:
	s_or_b32 exec_lo, exec_lo, s16
.LBB191_4:
	s_delay_alu instid0(SALU_CYCLE_1) | instskip(SKIP_2) | instid1(VALU_DEP_2)
	s_or_b32 exec_lo, exec_lo, s15
	v_and_b32_e32 v2, 31, v0
	v_cmp_gt_u32_e32 vcc_lo, 32, v0
	v_lshlrev_b32_e32 v1, 2, v2
	s_and_saveexec_b32 s0, vcc_lo
	s_cbranch_execz .LBB191_6
; %bb.5:
	v_mov_b32_e32 v3, 0
	ds_store_b32 v1, v3
.LBB191_6:
	s_or_b32 exec_lo, exec_lo, s0
	v_mbcnt_lo_u32_b32 v6, -1, 0
	s_mov_b32 s1, exec_lo
	s_waitcnt lgkmcnt(0)
	s_barrier
	buffer_gl0_inv
	v_cmp_gt_u32_e64 s0, 16, v6
	s_delay_alu instid0(VALU_DEP_1) | instskip(SKIP_1) | instid1(VALU_DEP_2)
	v_cndmask_b32_e64 v3, 0, 1, s0
	v_cmp_gt_u32_e64 s0, 24, v6
	v_lshlrev_b32_e32 v3, 4, v3
	s_delay_alu instid0(VALU_DEP_1) | instskip(SKIP_3) | instid1(VALU_DEP_2)
	v_add_lshl_u32 v3, v3, v6, 2
	ds_bpermute_b32 v4, v3, v5
	v_cndmask_b32_e64 v3, 0, 1, s0
	v_cmp_gt_u32_e64 s0, 28, v6
	v_lshlrev_b32_e32 v3, 3, v3
	s_delay_alu instid0(VALU_DEP_1)
	v_add_lshl_u32 v3, v3, v6, 2
	s_waitcnt lgkmcnt(0)
	v_add_f32_e32 v5, v5, v4
	v_cndmask_b32_e64 v4, 0, 1, s0
	v_cmp_gt_u32_e64 s0, 30, v6
	ds_bpermute_b32 v7, v3, v5
	s_waitcnt lgkmcnt(0)
	v_dual_add_f32 v7, v5, v7 :: v_dual_lshlrev_b32 v4, 2, v4
	s_delay_alu instid0(VALU_DEP_1) | instskip(SKIP_4) | instid1(VALU_DEP_1)
	v_add_lshl_u32 v4, v4, v6, 2
	v_cndmask_b32_e64 v5, 0, 1, s0
	v_cmp_ne_u32_e64 s0, 31, v6
	ds_bpermute_b32 v8, v4, v7
	v_lshlrev_b32_e32 v5, 1, v5
	v_add_lshl_u32 v5, v5, v6, 2
	v_add_co_ci_u32_e64 v6, s0, 0, v6, s0
	s_waitcnt lgkmcnt(0)
	s_delay_alu instid0(VALU_DEP_1)
	v_dual_add_f32 v7, v7, v8 :: v_dual_lshlrev_b32 v6, 2, v6
	ds_bpermute_b32 v8, v5, v7
	s_waitcnt lgkmcnt(0)
	v_add_f32_e32 v7, v7, v8
	ds_bpermute_b32 v8, v6, v7
	v_cmpx_eq_u32_e32 0, v2
	s_cbranch_execz .LBB191_8
; %bb.7:
	v_lshrrev_b32_e32 v2, 3, v0
	s_waitcnt lgkmcnt(0)
	s_delay_alu instid0(VALU_DEP_1)
	v_dual_add_f32 v7, v7, v8 :: v_dual_and_b32 v2, 60, v2
	ds_store_b32 v2, v7
.LBB191_8:
	s_or_b32 exec_lo, exec_lo, s1
	v_mov_b32_e32 v2, 0
	s_mov_b32 s1, exec_lo
	s_waitcnt lgkmcnt(0)
	s_barrier
	buffer_gl0_inv
	v_cmpx_gt_u32_e32 16, v0
	s_cbranch_execz .LBB191_10
; %bb.9:
	ds_load_b32 v2, v1
.LBB191_10:
	s_or_b32 exec_lo, exec_lo, s1
	s_and_saveexec_b32 s0, vcc_lo
	s_cbranch_execz .LBB191_12
; %bb.11:
	s_waitcnt lgkmcnt(0)
	ds_bpermute_b32 v1, v3, v2
	s_waitcnt lgkmcnt(0)
	v_add_f32_e32 v1, v2, v1
	ds_bpermute_b32 v2, v4, v1
	s_waitcnt lgkmcnt(0)
	v_add_f32_e32 v1, v1, v2
	;; [unrolled: 3-line block ×4, first 2 shown]
.LBB191_12:
	s_or_b32 exec_lo, exec_lo, s0
	s_delay_alu instid0(SALU_CYCLE_1)
	s_mov_b32 s0, exec_lo
	v_cmpx_eq_u32_e32 0, v0
	s_cbranch_execz .LBB191_18
; %bb.13:
	s_cmp_lg_u32 s12, 1
	s_cbranch_scc0 .LBB191_15
; %bb.14:
	s_mul_hi_u32 s1, s12, s2
	s_mul_i32 s0, s12, s2
	s_mov_b32 s15, 0
	s_lshl_b64 s[0:1], s[0:1], 2
	s_delay_alu instid0(SALU_CYCLE_1) | instskip(SKIP_2) | instid1(SALU_CYCLE_1)
	s_add_u32 s4, s4, s0
	s_addc_u32 s5, s5, s1
	s_lshl_b64 s[0:1], s[14:15], 2
	s_add_u32 s0, s4, s0
	s_addc_u32 s1, s5, s1
	s_cbranch_execz .LBB191_16
	s_branch .LBB191_17
.LBB191_15:
                                        ; implicit-def: $sgpr0_sgpr1
.LBB191_16:
	s_lshl_b64 s[0:1], s[2:3], 2
	s_delay_alu instid0(SALU_CYCLE_1)
	s_add_u32 s0, s6, s0
	s_addc_u32 s1, s7, s1
.LBB191_17:
	v_mov_b32_e32 v0, 0
	s_waitcnt lgkmcnt(0)
	global_store_b32 v0, v2, s[0:1]
.LBB191_18:
	s_nop 0
	s_sendmsg sendmsg(MSG_DEALLOC_VGPRS)
	s_endpgm
	.section	.rodata,"a",@progbits
	.p2align	6, 0x0
	.amdhsa_kernel _ZL18rocblas_dot_kernelIlLb0ELi512ELi4ELb0EfPKPKffEviT5_lT_lS4_lS5_liPT6_PT4_
		.amdhsa_group_segment_fixed_size 128
		.amdhsa_private_segment_fixed_size 0
		.amdhsa_kernarg_size 352
		.amdhsa_user_sgpr_count 14
		.amdhsa_user_sgpr_dispatch_ptr 0
		.amdhsa_user_sgpr_queue_ptr 0
		.amdhsa_user_sgpr_kernarg_segment_ptr 1
		.amdhsa_user_sgpr_dispatch_id 0
		.amdhsa_user_sgpr_private_segment_size 0
		.amdhsa_wavefront_size32 1
		.amdhsa_uses_dynamic_stack 0
		.amdhsa_enable_private_segment 0
		.amdhsa_system_sgpr_workgroup_id_x 1
		.amdhsa_system_sgpr_workgroup_id_y 0
		.amdhsa_system_sgpr_workgroup_id_z 1
		.amdhsa_system_sgpr_workgroup_info 0
		.amdhsa_system_vgpr_workitem_id 0
		.amdhsa_next_free_vgpr 12
		.amdhsa_next_free_sgpr 29
		.amdhsa_reserve_vcc 1
		.amdhsa_float_round_mode_32 0
		.amdhsa_float_round_mode_16_64 0
		.amdhsa_float_denorm_mode_32 3
		.amdhsa_float_denorm_mode_16_64 3
		.amdhsa_dx10_clamp 1
		.amdhsa_ieee_mode 1
		.amdhsa_fp16_overflow 0
		.amdhsa_workgroup_processor_mode 1
		.amdhsa_memory_ordered 1
		.amdhsa_forward_progress 0
		.amdhsa_shared_vgpr_count 0
		.amdhsa_exception_fp_ieee_invalid_op 0
		.amdhsa_exception_fp_denorm_src 0
		.amdhsa_exception_fp_ieee_div_zero 0
		.amdhsa_exception_fp_ieee_overflow 0
		.amdhsa_exception_fp_ieee_underflow 0
		.amdhsa_exception_fp_ieee_inexact 0
		.amdhsa_exception_int_div_zero 0
	.end_amdhsa_kernel
	.section	.text._ZL18rocblas_dot_kernelIlLb0ELi512ELi4ELb0EfPKPKffEviT5_lT_lS4_lS5_liPT6_PT4_,"axG",@progbits,_ZL18rocblas_dot_kernelIlLb0ELi512ELi4ELb0EfPKPKffEviT5_lT_lS4_lS5_liPT6_PT4_,comdat
.Lfunc_end191:
	.size	_ZL18rocblas_dot_kernelIlLb0ELi512ELi4ELb0EfPKPKffEviT5_lT_lS4_lS5_liPT6_PT4_, .Lfunc_end191-_ZL18rocblas_dot_kernelIlLb0ELi512ELi4ELb0EfPKPKffEviT5_lT_lS4_lS5_liPT6_PT4_
                                        ; -- End function
	.section	.AMDGPU.csdata,"",@progbits
; Kernel info:
; codeLenInByte = 1056
; NumSgprs: 31
; NumVgprs: 12
; ScratchSize: 0
; MemoryBound: 0
; FloatMode: 240
; IeeeMode: 1
; LDSByteSize: 128 bytes/workgroup (compile time only)
; SGPRBlocks: 3
; VGPRBlocks: 1
; NumSGPRsForWavesPerEU: 31
; NumVGPRsForWavesPerEU: 12
; Occupancy: 16
; WaveLimiterHint : 0
; COMPUTE_PGM_RSRC2:SCRATCH_EN: 0
; COMPUTE_PGM_RSRC2:USER_SGPR: 14
; COMPUTE_PGM_RSRC2:TRAP_HANDLER: 0
; COMPUTE_PGM_RSRC2:TGID_X_EN: 1
; COMPUTE_PGM_RSRC2:TGID_Y_EN: 0
; COMPUTE_PGM_RSRC2:TGID_Z_EN: 1
; COMPUTE_PGM_RSRC2:TIDIG_COMP_CNT: 0
	.section	.text._ZL24rocblas_dot_kernel_magsqIlLb0ELi512ELi4ELb0EfPKPKffEviT5_lT_liPT6_PT4_,"axG",@progbits,_ZL24rocblas_dot_kernel_magsqIlLb0ELi512ELi4ELb0EfPKPKffEviT5_lT_liPT6_PT4_,comdat
	.globl	_ZL24rocblas_dot_kernel_magsqIlLb0ELi512ELi4ELb0EfPKPKffEviT5_lT_liPT6_PT4_ ; -- Begin function _ZL24rocblas_dot_kernel_magsqIlLb0ELi512ELi4ELb0EfPKPKffEviT5_lT_liPT6_PT4_
	.p2align	8
	.type	_ZL24rocblas_dot_kernel_magsqIlLb0ELi512ELi4ELb0EfPKPKffEviT5_lT_liPT6_PT4_,@function
_ZL24rocblas_dot_kernel_magsqIlLb0ELi512ELi4ELb0EfPKPKffEviT5_lT_liPT6_PT4_: ; @_ZL24rocblas_dot_kernel_magsqIlLb0ELi512ELi4ELb0EfPKPKffEviT5_lT_liPT6_PT4_
; %bb.0:
	s_clause 0x2
	s_load_b32 s11, s[0:1], 0x0
	s_load_b128 s[4:7], s[0:1], 0x30
	s_load_b32 s10, s[0:1], 0x40
	v_lshl_or_b32 v1, s14, 9, v0
	v_mov_b32_e32 v3, 0
	s_mov_b32 s8, s15
	s_mov_b32 s9, 0
	s_mov_b32 s12, exec_lo
	s_waitcnt lgkmcnt(0)
	v_cmpx_gt_i32_e64 s11, v1
	s_cbranch_execz .LBB192_4
; %bb.1:
	s_clause 0x1
	s_load_b64 s[16:17], s[0:1], 0x8
	s_load_b128 s[0:3], s[0:1], 0x10
	s_lshl_b64 s[18:19], s[8:9], 3
	v_ashrrev_i32_e32 v2, 31, v1
	s_waitcnt lgkmcnt(0)
	s_add_u32 s16, s16, s18
	s_addc_u32 s17, s17, s19
	v_mul_lo_u32 v4, s3, v1
	s_load_b64 s[16:17], s[16:17], 0x0
	v_mul_lo_u32 v2, s2, v2
	v_mad_u64_u32 v[5:6], null, s2, v1, 0
	s_lshl_b32 s13, s10, 9
	v_mov_b32_e32 v3, 0
	s_lshl_b64 s[0:1], s[0:1], 2
	s_mul_hi_u32 s15, s2, s13
	s_mul_i32 s3, s3, s13
	s_delay_alu instid0(VALU_DEP_2) | instskip(SKIP_1) | instid1(VALU_DEP_2)
	v_add3_u32 v6, v6, v2, v4
	v_add_nc_u32_e32 v4, s13, v1
	v_lshlrev_b64 v[1:2], 2, v[5:6]
	s_waitcnt lgkmcnt(0)
	s_add_u32 s0, s16, s0
	s_addc_u32 s1, s17, s1
	s_ashr_i32 s16, s13, 31
	s_delay_alu instid0(VALU_DEP_1)
	v_add_co_u32 v1, vcc_lo, s0, v1
	s_mul_i32 s16, s2, s16
	v_add_co_ci_u32_e32 v2, vcc_lo, s1, v2, vcc_lo
	s_add_i32 s15, s15, s16
	s_mul_i32 s2, s2, s13
	s_add_i32 s3, s15, s3
	s_mov_b32 s1, s9
	s_lshl_b64 s[2:3], s[2:3], 2
	s_mov_b32 s15, s9
	.p2align	6
.LBB192_2:                              ; =>This Inner Loop Header: Depth=1
	global_load_b32 v5, v[1:2], off
	s_add_i32 s16, s15, 1
	v_cmp_le_i32_e32 vcc_lo, s11, v4
	v_add_co_u32 v1, s0, v1, s2
	s_cmp_gt_u32 s15, 2
	v_add_co_ci_u32_e64 v2, s0, s3, v2, s0
	s_cselect_b32 s0, -1, 0
	v_add_nc_u32_e32 v4, s13, v4
	s_or_b32 s0, s0, vcc_lo
	s_mov_b32 s15, s16
	s_and_b32 s0, exec_lo, s0
	s_delay_alu instid0(SALU_CYCLE_1)
	s_or_b32 s1, s0, s1
	s_waitcnt vmcnt(0)
	v_fmac_f32_e32 v3, v5, v5
	s_and_not1_b32 exec_lo, exec_lo, s1
	s_cbranch_execnz .LBB192_2
; %bb.3:
	s_or_b32 exec_lo, exec_lo, s1
.LBB192_4:
	s_delay_alu instid0(SALU_CYCLE_1) | instskip(SKIP_2) | instid1(VALU_DEP_2)
	s_or_b32 exec_lo, exec_lo, s12
	v_and_b32_e32 v2, 31, v0
	v_cmp_gt_u32_e32 vcc_lo, 32, v0
	v_lshlrev_b32_e32 v1, 2, v2
	s_and_saveexec_b32 s0, vcc_lo
	s_cbranch_execz .LBB192_6
; %bb.5:
	v_mov_b32_e32 v4, 0
	ds_store_b32 v1, v4
.LBB192_6:
	s_or_b32 exec_lo, exec_lo, s0
	v_mbcnt_lo_u32_b32 v6, -1, 0
	s_mov_b32 s1, exec_lo
	s_waitcnt lgkmcnt(0)
	s_barrier
	buffer_gl0_inv
	v_cmp_gt_u32_e64 s0, 16, v6
	s_delay_alu instid0(VALU_DEP_1) | instskip(SKIP_1) | instid1(VALU_DEP_2)
	v_cndmask_b32_e64 v4, 0, 1, s0
	v_cmp_gt_u32_e64 s0, 24, v6
	v_lshlrev_b32_e32 v4, 4, v4
	s_delay_alu instid0(VALU_DEP_1) | instskip(SKIP_4) | instid1(VALU_DEP_2)
	v_add_lshl_u32 v4, v4, v6, 2
	ds_bpermute_b32 v5, v4, v3
	v_cndmask_b32_e64 v4, 0, 1, s0
	v_cmp_gt_u32_e64 s0, 28, v6
	s_waitcnt lgkmcnt(0)
	v_dual_add_f32 v5, v3, v5 :: v_dual_lshlrev_b32 v4, 3, v4
	s_delay_alu instid0(VALU_DEP_2) | instskip(SKIP_1) | instid1(VALU_DEP_3)
	v_cndmask_b32_e64 v3, 0, 1, s0
	v_cmp_gt_u32_e64 s0, 30, v6
	v_add_lshl_u32 v4, v4, v6, 2
	s_delay_alu instid0(VALU_DEP_3)
	v_lshlrev_b32_e32 v3, 2, v3
	ds_bpermute_b32 v7, v4, v5
	v_add_lshl_u32 v3, v3, v6, 2
	s_waitcnt lgkmcnt(0)
	v_add_f32_e32 v7, v5, v7
	v_cndmask_b32_e64 v5, 0, 1, s0
	v_cmp_ne_u32_e64 s0, 31, v6
	ds_bpermute_b32 v8, v3, v7
	v_lshlrev_b32_e32 v5, 1, v5
	s_delay_alu instid0(VALU_DEP_1) | instskip(SKIP_2) | instid1(VALU_DEP_1)
	v_add_lshl_u32 v5, v5, v6, 2
	v_add_co_ci_u32_e64 v6, s0, 0, v6, s0
	s_waitcnt lgkmcnt(0)
	v_dual_add_f32 v7, v7, v8 :: v_dual_lshlrev_b32 v6, 2, v6
	ds_bpermute_b32 v8, v5, v7
	s_waitcnt lgkmcnt(0)
	v_add_f32_e32 v7, v7, v8
	ds_bpermute_b32 v8, v6, v7
	v_cmpx_eq_u32_e32 0, v2
	s_cbranch_execz .LBB192_8
; %bb.7:
	v_lshrrev_b32_e32 v2, 3, v0
	s_waitcnt lgkmcnt(0)
	s_delay_alu instid0(VALU_DEP_1)
	v_dual_add_f32 v7, v7, v8 :: v_dual_and_b32 v2, 60, v2
	ds_store_b32 v2, v7
.LBB192_8:
	s_or_b32 exec_lo, exec_lo, s1
	v_mov_b32_e32 v2, 0
	s_mov_b32 s1, exec_lo
	s_waitcnt lgkmcnt(0)
	s_barrier
	buffer_gl0_inv
	v_cmpx_gt_u32_e32 16, v0
	s_cbranch_execz .LBB192_10
; %bb.9:
	ds_load_b32 v2, v1
.LBB192_10:
	s_or_b32 exec_lo, exec_lo, s1
	s_and_saveexec_b32 s0, vcc_lo
	s_cbranch_execz .LBB192_12
; %bb.11:
	s_waitcnt lgkmcnt(0)
	ds_bpermute_b32 v1, v4, v2
	s_waitcnt lgkmcnt(0)
	v_add_f32_e32 v1, v2, v1
	ds_bpermute_b32 v2, v3, v1
	s_waitcnt lgkmcnt(0)
	v_add_f32_e32 v1, v1, v2
	ds_bpermute_b32 v2, v5, v1
	s_waitcnt lgkmcnt(0)
	v_add_f32_e32 v1, v1, v2
	ds_bpermute_b32 v2, v6, v1
	s_waitcnt lgkmcnt(0)
	v_add_f32_e32 v2, v1, v2
.LBB192_12:
	s_or_b32 exec_lo, exec_lo, s0
	s_delay_alu instid0(SALU_CYCLE_1)
	s_mov_b32 s0, exec_lo
	v_cmpx_eq_u32_e32 0, v0
	s_cbranch_execz .LBB192_18
; %bb.13:
	s_cmp_lg_u32 s10, 1
	s_cbranch_scc0 .LBB192_15
; %bb.14:
	s_mul_hi_u32 s1, s10, s8
	s_mul_i32 s0, s10, s8
	s_mov_b32 s15, 0
	s_lshl_b64 s[0:1], s[0:1], 2
	s_delay_alu instid0(SALU_CYCLE_1) | instskip(SKIP_2) | instid1(SALU_CYCLE_1)
	s_add_u32 s2, s4, s0
	s_addc_u32 s3, s5, s1
	s_lshl_b64 s[0:1], s[14:15], 2
	s_add_u32 s0, s2, s0
	s_addc_u32 s1, s3, s1
	s_cbranch_execz .LBB192_16
	s_branch .LBB192_17
.LBB192_15:
                                        ; implicit-def: $sgpr0_sgpr1
.LBB192_16:
	s_lshl_b64 s[0:1], s[8:9], 2
	s_delay_alu instid0(SALU_CYCLE_1)
	s_add_u32 s0, s6, s0
	s_addc_u32 s1, s7, s1
.LBB192_17:
	v_mov_b32_e32 v0, 0
	s_waitcnt lgkmcnt(0)
	global_store_b32 v0, v2, s[0:1]
.LBB192_18:
	s_nop 0
	s_sendmsg sendmsg(MSG_DEALLOC_VGPRS)
	s_endpgm
	.section	.rodata,"a",@progbits
	.p2align	6, 0x0
	.amdhsa_kernel _ZL24rocblas_dot_kernel_magsqIlLb0ELi512ELi4ELb0EfPKPKffEviT5_lT_liPT6_PT4_
		.amdhsa_group_segment_fixed_size 128
		.amdhsa_private_segment_fixed_size 0
		.amdhsa_kernarg_size 320
		.amdhsa_user_sgpr_count 14
		.amdhsa_user_sgpr_dispatch_ptr 0
		.amdhsa_user_sgpr_queue_ptr 0
		.amdhsa_user_sgpr_kernarg_segment_ptr 1
		.amdhsa_user_sgpr_dispatch_id 0
		.amdhsa_user_sgpr_private_segment_size 0
		.amdhsa_wavefront_size32 1
		.amdhsa_uses_dynamic_stack 0
		.amdhsa_enable_private_segment 0
		.amdhsa_system_sgpr_workgroup_id_x 1
		.amdhsa_system_sgpr_workgroup_id_y 0
		.amdhsa_system_sgpr_workgroup_id_z 1
		.amdhsa_system_sgpr_workgroup_info 0
		.amdhsa_system_vgpr_workitem_id 0
		.amdhsa_next_free_vgpr 9
		.amdhsa_next_free_sgpr 20
		.amdhsa_reserve_vcc 1
		.amdhsa_float_round_mode_32 0
		.amdhsa_float_round_mode_16_64 0
		.amdhsa_float_denorm_mode_32 3
		.amdhsa_float_denorm_mode_16_64 3
		.amdhsa_dx10_clamp 1
		.amdhsa_ieee_mode 1
		.amdhsa_fp16_overflow 0
		.amdhsa_workgroup_processor_mode 1
		.amdhsa_memory_ordered 1
		.amdhsa_forward_progress 0
		.amdhsa_shared_vgpr_count 0
		.amdhsa_exception_fp_ieee_invalid_op 0
		.amdhsa_exception_fp_denorm_src 0
		.amdhsa_exception_fp_ieee_div_zero 0
		.amdhsa_exception_fp_ieee_overflow 0
		.amdhsa_exception_fp_ieee_underflow 0
		.amdhsa_exception_fp_ieee_inexact 0
		.amdhsa_exception_int_div_zero 0
	.end_amdhsa_kernel
	.section	.text._ZL24rocblas_dot_kernel_magsqIlLb0ELi512ELi4ELb0EfPKPKffEviT5_lT_liPT6_PT4_,"axG",@progbits,_ZL24rocblas_dot_kernel_magsqIlLb0ELi512ELi4ELb0EfPKPKffEviT5_lT_liPT6_PT4_,comdat
.Lfunc_end192:
	.size	_ZL24rocblas_dot_kernel_magsqIlLb0ELi512ELi4ELb0EfPKPKffEviT5_lT_liPT6_PT4_, .Lfunc_end192-_ZL24rocblas_dot_kernel_magsqIlLb0ELi512ELi4ELb0EfPKPKffEviT5_lT_liPT6_PT4_
                                        ; -- End function
	.section	.AMDGPU.csdata,"",@progbits
; Kernel info:
; codeLenInByte = 904
; NumSgprs: 22
; NumVgprs: 9
; ScratchSize: 0
; MemoryBound: 0
; FloatMode: 240
; IeeeMode: 1
; LDSByteSize: 128 bytes/workgroup (compile time only)
; SGPRBlocks: 2
; VGPRBlocks: 1
; NumSGPRsForWavesPerEU: 22
; NumVGPRsForWavesPerEU: 9
; Occupancy: 16
; WaveLimiterHint : 0
; COMPUTE_PGM_RSRC2:SCRATCH_EN: 0
; COMPUTE_PGM_RSRC2:USER_SGPR: 14
; COMPUTE_PGM_RSRC2:TRAP_HANDLER: 0
; COMPUTE_PGM_RSRC2:TGID_X_EN: 1
; COMPUTE_PGM_RSRC2:TGID_Y_EN: 0
; COMPUTE_PGM_RSRC2:TGID_Z_EN: 1
; COMPUTE_PGM_RSRC2:TIDIG_COMP_CNT: 0
	.section	.text._ZL28rocblas_dot_batched_4_kernelIiLi32ELi4ELb0EddPKPKdEviT5_lT_lS4_lS5_liPT4_,"axG",@progbits,_ZL28rocblas_dot_batched_4_kernelIiLi32ELi4ELb0EddPKPKdEviT5_lT_lS4_lS5_liPT4_,comdat
	.globl	_ZL28rocblas_dot_batched_4_kernelIiLi32ELi4ELb0EddPKPKdEviT5_lT_lS4_lS5_liPT4_ ; -- Begin function _ZL28rocblas_dot_batched_4_kernelIiLi32ELi4ELb0EddPKPKdEviT5_lT_lS4_lS5_liPT4_
	.p2align	8
	.type	_ZL28rocblas_dot_batched_4_kernelIiLi32ELi4ELb0EddPKPKdEviT5_lT_lS4_lS5_liPT4_,@function
_ZL28rocblas_dot_batched_4_kernelIiLi32ELi4ELb0EddPKPKdEviT5_lT_lS4_lS5_liPT4_: ; @_ZL28rocblas_dot_batched_4_kernelIiLi32ELi4ELb0EddPKPKdEviT5_lT_lS4_lS5_liPT4_
; %bb.0:
	s_load_b32 s2, s[0:1], 0x48
	v_bfe_u32 v1, v0, 10, 10
	s_delay_alu instid0(VALU_DEP_1) | instskip(SKIP_1) | instid1(VALU_DEP_1)
	v_lshl_add_u32 v4, s15, 2, v1
	s_waitcnt lgkmcnt(0)
	v_cmp_gt_u32_e32 vcc_lo, s2, v4
	s_and_saveexec_b32 s2, vcc_lo
	s_cbranch_execz .LBB193_7
; %bb.1:
	s_clause 0x1
	s_load_b32 s12, s[0:1], 0x0
	s_load_b64 s[2:3], s[0:1], 0x50
	v_dual_mov_b32 v5, 0 :: v_dual_and_b32 v8, 0x3ff, v0
	v_mov_b32_e32 v2, 0
	v_mov_b32_e32 v3, 0
	s_mov_b32 s13, exec_lo
	s_delay_alu instid0(VALU_DEP_3)
	v_lshlrev_b64 v[0:1], 3, v[4:5]
	s_waitcnt lgkmcnt(0)
	v_cmpx_gt_i32_e64 s12, v8
	s_cbranch_execz .LBB193_5
; %bb.2:
	s_clause 0x3
	s_load_b128 s[4:7], s[0:1], 0x8
	s_load_b128 s[8:11], s[0:1], 0x28
	s_load_b32 s14, s[0:1], 0x18
	s_load_b32 s0, s[0:1], 0x38
	s_waitcnt lgkmcnt(0)
	v_add_co_u32 v2, vcc_lo, s4, v0
	v_add_co_ci_u32_e32 v3, vcc_lo, s5, v1, vcc_lo
	v_add_co_u32 v4, vcc_lo, s8, v0
	v_add_co_ci_u32_e32 v5, vcc_lo, s9, v1, vcc_lo
	v_mad_i64_i32 v[11:12], null, s0, v8, 0
	global_load_b64 v[6:7], v[2:3], off
	global_load_b64 v[9:10], v[4:5], off
	v_mad_i64_i32 v[4:5], null, s14, v8, 0
	s_lshl_b64 s[4:5], s[6:7], 3
	s_lshl_b64 s[6:7], s[10:11], 3
	v_mov_b32_e32 v2, 0
	v_lshlrev_b64 v[11:12], 3, v[11:12]
	v_mov_b32_e32 v3, 0
	s_ashr_i32 s15, s14, 31
	s_delay_alu instid0(VALU_DEP_4) | instskip(SKIP_1) | instid1(VALU_DEP_1)
	v_lshlrev_b64 v[4:5], 3, v[4:5]
	s_ashr_i32 s1, s0, 31
	v_add_co_u32 v4, vcc_lo, v4, s4
	s_delay_alu instid0(VALU_DEP_2)
	v_add_co_ci_u32_e32 v5, vcc_lo, s5, v5, vcc_lo
	v_add_co_u32 v11, vcc_lo, v11, s6
	v_add_co_ci_u32_e32 v12, vcc_lo, s7, v12, vcc_lo
	s_lshl_b64 s[4:5], s[14:15], 8
	s_lshl_b64 s[6:7], s[0:1], 8
	s_mov_b32 s1, 0
	s_waitcnt vmcnt(1)
	v_add_co_u32 v4, vcc_lo, v6, v4
	v_add_co_ci_u32_e32 v5, vcc_lo, v7, v5, vcc_lo
	s_waitcnt vmcnt(0)
	v_add_co_u32 v6, vcc_lo, v9, v11
	v_mov_b32_e32 v9, v8
	v_add_co_ci_u32_e32 v7, vcc_lo, v10, v12, vcc_lo
	.p2align	6
.LBB193_3:                              ; =>This Inner Loop Header: Depth=1
	global_load_b64 v[10:11], v[4:5], off
	global_load_b64 v[12:13], v[6:7], off
	v_add_nc_u32_e32 v9, 32, v9
	v_add_co_u32 v4, vcc_lo, v4, s4
	v_add_co_ci_u32_e32 v5, vcc_lo, s5, v5, vcc_lo
	s_delay_alu instid0(VALU_DEP_3) | instskip(SKIP_1) | instid1(VALU_DEP_1)
	v_cmp_le_i32_e32 vcc_lo, s12, v9
	v_add_co_u32 v6, s0, v6, s6
	v_add_co_ci_u32_e64 v7, s0, s7, v7, s0
	s_or_b32 s1, vcc_lo, s1
	s_waitcnt vmcnt(0)
	v_fma_f64 v[2:3], v[10:11], v[12:13], v[2:3]
	s_and_not1_b32 exec_lo, exec_lo, s1
	s_cbranch_execnz .LBB193_3
; %bb.4:
	s_or_b32 exec_lo, exec_lo, s1
.LBB193_5:
	s_delay_alu instid0(SALU_CYCLE_1)
	s_or_b32 exec_lo, exec_lo, s13
	v_mbcnt_lo_u32_b32 v6, -1, 0
	s_barrier
	buffer_gl0_inv
	v_cmp_gt_u32_e32 vcc_lo, 16, v6
	v_cndmask_b32_e64 v4, 0, 1, vcc_lo
	v_cmp_gt_u32_e32 vcc_lo, 24, v6
	s_delay_alu instid0(VALU_DEP_2) | instskip(NEXT) | instid1(VALU_DEP_1)
	v_lshlrev_b32_e32 v4, 4, v4
	v_add_lshl_u32 v5, v4, v6, 2
	ds_bpermute_b32 v4, v5, v2
	ds_bpermute_b32 v5, v5, v3
	s_waitcnt lgkmcnt(0)
	v_add_f64 v[2:3], v[2:3], v[4:5]
	v_cndmask_b32_e64 v4, 0, 1, vcc_lo
	v_cmp_gt_u32_e32 vcc_lo, 28, v6
	s_delay_alu instid0(VALU_DEP_2) | instskip(NEXT) | instid1(VALU_DEP_1)
	v_lshlrev_b32_e32 v4, 3, v4
	v_add_lshl_u32 v5, v4, v6, 2
	ds_bpermute_b32 v4, v5, v2
	ds_bpermute_b32 v5, v5, v3
	s_waitcnt lgkmcnt(0)
	v_add_f64 v[2:3], v[2:3], v[4:5]
	;; [unrolled: 9-line block ×3, first 2 shown]
	v_cndmask_b32_e64 v4, 0, 1, vcc_lo
	v_cmp_ne_u32_e32 vcc_lo, 31, v6
	s_delay_alu instid0(VALU_DEP_2) | instskip(NEXT) | instid1(VALU_DEP_1)
	v_lshlrev_b32_e32 v4, 1, v4
	v_add_lshl_u32 v5, v4, v6, 2
	ds_bpermute_b32 v4, v5, v2
	ds_bpermute_b32 v5, v5, v3
	s_waitcnt lgkmcnt(0)
	v_add_f64 v[2:3], v[2:3], v[4:5]
	v_add_co_ci_u32_e32 v4, vcc_lo, 0, v6, vcc_lo
	v_cmp_eq_u32_e32 vcc_lo, 0, v8
	s_delay_alu instid0(VALU_DEP_2)
	v_lshlrev_b32_e32 v5, 2, v4
	ds_bpermute_b32 v4, v5, v2
	ds_bpermute_b32 v5, v5, v3
	s_and_b32 exec_lo, exec_lo, vcc_lo
	s_cbranch_execz .LBB193_7
; %bb.6:
	s_waitcnt lgkmcnt(0)
	v_add_f64 v[2:3], v[2:3], v[4:5]
	v_add_co_u32 v0, vcc_lo, s2, v0
	v_add_co_ci_u32_e32 v1, vcc_lo, s3, v1, vcc_lo
	global_store_b64 v[0:1], v[2:3], off
.LBB193_7:
	s_nop 0
	s_sendmsg sendmsg(MSG_DEALLOC_VGPRS)
	s_endpgm
	.section	.rodata,"a",@progbits
	.p2align	6, 0x0
	.amdhsa_kernel _ZL28rocblas_dot_batched_4_kernelIiLi32ELi4ELb0EddPKPKdEviT5_lT_lS4_lS5_liPT4_
		.amdhsa_group_segment_fixed_size 0
		.amdhsa_private_segment_fixed_size 0
		.amdhsa_kernarg_size 88
		.amdhsa_user_sgpr_count 15
		.amdhsa_user_sgpr_dispatch_ptr 0
		.amdhsa_user_sgpr_queue_ptr 0
		.amdhsa_user_sgpr_kernarg_segment_ptr 1
		.amdhsa_user_sgpr_dispatch_id 0
		.amdhsa_user_sgpr_private_segment_size 0
		.amdhsa_wavefront_size32 1
		.amdhsa_uses_dynamic_stack 0
		.amdhsa_enable_private_segment 0
		.amdhsa_system_sgpr_workgroup_id_x 1
		.amdhsa_system_sgpr_workgroup_id_y 0
		.amdhsa_system_sgpr_workgroup_id_z 0
		.amdhsa_system_sgpr_workgroup_info 0
		.amdhsa_system_vgpr_workitem_id 1
		.amdhsa_next_free_vgpr 14
		.amdhsa_next_free_sgpr 16
		.amdhsa_reserve_vcc 1
		.amdhsa_float_round_mode_32 0
		.amdhsa_float_round_mode_16_64 0
		.amdhsa_float_denorm_mode_32 3
		.amdhsa_float_denorm_mode_16_64 3
		.amdhsa_dx10_clamp 1
		.amdhsa_ieee_mode 1
		.amdhsa_fp16_overflow 0
		.amdhsa_workgroup_processor_mode 1
		.amdhsa_memory_ordered 1
		.amdhsa_forward_progress 0
		.amdhsa_shared_vgpr_count 0
		.amdhsa_exception_fp_ieee_invalid_op 0
		.amdhsa_exception_fp_denorm_src 0
		.amdhsa_exception_fp_ieee_div_zero 0
		.amdhsa_exception_fp_ieee_overflow 0
		.amdhsa_exception_fp_ieee_underflow 0
		.amdhsa_exception_fp_ieee_inexact 0
		.amdhsa_exception_int_div_zero 0
	.end_amdhsa_kernel
	.section	.text._ZL28rocblas_dot_batched_4_kernelIiLi32ELi4ELb0EddPKPKdEviT5_lT_lS4_lS5_liPT4_,"axG",@progbits,_ZL28rocblas_dot_batched_4_kernelIiLi32ELi4ELb0EddPKPKdEviT5_lT_lS4_lS5_liPT4_,comdat
.Lfunc_end193:
	.size	_ZL28rocblas_dot_batched_4_kernelIiLi32ELi4ELb0EddPKPKdEviT5_lT_lS4_lS5_liPT4_, .Lfunc_end193-_ZL28rocblas_dot_batched_4_kernelIiLi32ELi4ELb0EddPKPKdEviT5_lT_lS4_lS5_liPT4_
                                        ; -- End function
	.section	.AMDGPU.csdata,"",@progbits
; Kernel info:
; codeLenInByte = 756
; NumSgprs: 18
; NumVgprs: 14
; ScratchSize: 0
; MemoryBound: 0
; FloatMode: 240
; IeeeMode: 1
; LDSByteSize: 0 bytes/workgroup (compile time only)
; SGPRBlocks: 2
; VGPRBlocks: 1
; NumSGPRsForWavesPerEU: 18
; NumVGPRsForWavesPerEU: 14
; Occupancy: 16
; WaveLimiterHint : 0
; COMPUTE_PGM_RSRC2:SCRATCH_EN: 0
; COMPUTE_PGM_RSRC2:USER_SGPR: 15
; COMPUTE_PGM_RSRC2:TRAP_HANDLER: 0
; COMPUTE_PGM_RSRC2:TGID_X_EN: 1
; COMPUTE_PGM_RSRC2:TGID_Y_EN: 0
; COMPUTE_PGM_RSRC2:TGID_Z_EN: 0
; COMPUTE_PGM_RSRC2:TIDIG_COMP_CNT: 1
	.section	.text._ZL28rocblas_dot_batched_4_kernelIiLi64ELi4ELb0EddPKPKdEviT5_lT_lS4_lS5_liPT4_,"axG",@progbits,_ZL28rocblas_dot_batched_4_kernelIiLi64ELi4ELb0EddPKPKdEviT5_lT_lS4_lS5_liPT4_,comdat
	.globl	_ZL28rocblas_dot_batched_4_kernelIiLi64ELi4ELb0EddPKPKdEviT5_lT_lS4_lS5_liPT4_ ; -- Begin function _ZL28rocblas_dot_batched_4_kernelIiLi64ELi4ELb0EddPKPKdEviT5_lT_lS4_lS5_liPT4_
	.p2align	8
	.type	_ZL28rocblas_dot_batched_4_kernelIiLi64ELi4ELb0EddPKPKdEviT5_lT_lS4_lS5_liPT4_,@function
_ZL28rocblas_dot_batched_4_kernelIiLi64ELi4ELb0EddPKPKdEviT5_lT_lS4_lS5_liPT4_: ; @_ZL28rocblas_dot_batched_4_kernelIiLi64ELi4ELb0EddPKPKdEviT5_lT_lS4_lS5_liPT4_
; %bb.0:
	s_load_b32 s2, s[0:1], 0x48
	v_bfe_u32 v1, v0, 10, 10
	s_delay_alu instid0(VALU_DEP_1) | instskip(SKIP_1) | instid1(VALU_DEP_1)
	v_lshl_add_u32 v4, s15, 2, v1
	s_waitcnt lgkmcnt(0)
	v_cmp_gt_u32_e32 vcc_lo, s2, v4
	s_and_saveexec_b32 s2, vcc_lo
	s_cbranch_execz .LBB194_7
; %bb.1:
	s_clause 0x1
	s_load_b32 s12, s[0:1], 0x0
	s_load_b64 s[2:3], s[0:1], 0x50
	v_dual_mov_b32 v5, 0 :: v_dual_and_b32 v8, 0x3ff, v0
	v_mov_b32_e32 v2, 0
	v_mov_b32_e32 v3, 0
	s_mov_b32 s13, exec_lo
	s_delay_alu instid0(VALU_DEP_3)
	v_lshlrev_b64 v[0:1], 3, v[4:5]
	s_waitcnt lgkmcnt(0)
	v_cmpx_gt_i32_e64 s12, v8
	s_cbranch_execz .LBB194_5
; %bb.2:
	s_clause 0x3
	s_load_b128 s[4:7], s[0:1], 0x8
	s_load_b128 s[8:11], s[0:1], 0x28
	s_load_b32 s14, s[0:1], 0x18
	s_load_b32 s0, s[0:1], 0x38
	s_waitcnt lgkmcnt(0)
	v_add_co_u32 v2, vcc_lo, s4, v0
	v_add_co_ci_u32_e32 v3, vcc_lo, s5, v1, vcc_lo
	v_add_co_u32 v4, vcc_lo, s8, v0
	v_add_co_ci_u32_e32 v5, vcc_lo, s9, v1, vcc_lo
	v_mad_i64_i32 v[11:12], null, s0, v8, 0
	global_load_b64 v[6:7], v[2:3], off
	global_load_b64 v[9:10], v[4:5], off
	v_mad_i64_i32 v[4:5], null, s14, v8, 0
	s_lshl_b64 s[4:5], s[6:7], 3
	s_lshl_b64 s[6:7], s[10:11], 3
	v_mov_b32_e32 v2, 0
	v_lshlrev_b64 v[11:12], 3, v[11:12]
	v_mov_b32_e32 v3, 0
	s_ashr_i32 s15, s14, 31
	s_delay_alu instid0(VALU_DEP_4) | instskip(SKIP_1) | instid1(VALU_DEP_1)
	v_lshlrev_b64 v[4:5], 3, v[4:5]
	s_ashr_i32 s1, s0, 31
	v_add_co_u32 v4, vcc_lo, v4, s4
	s_delay_alu instid0(VALU_DEP_2)
	v_add_co_ci_u32_e32 v5, vcc_lo, s5, v5, vcc_lo
	v_add_co_u32 v11, vcc_lo, v11, s6
	v_add_co_ci_u32_e32 v12, vcc_lo, s7, v12, vcc_lo
	s_lshl_b64 s[4:5], s[14:15], 9
	s_lshl_b64 s[6:7], s[0:1], 9
	s_mov_b32 s1, 0
	s_waitcnt vmcnt(1)
	v_add_co_u32 v4, vcc_lo, v6, v4
	v_add_co_ci_u32_e32 v5, vcc_lo, v7, v5, vcc_lo
	s_waitcnt vmcnt(0)
	v_add_co_u32 v6, vcc_lo, v9, v11
	v_mov_b32_e32 v9, v8
	v_add_co_ci_u32_e32 v7, vcc_lo, v10, v12, vcc_lo
	.p2align	6
.LBB194_3:                              ; =>This Inner Loop Header: Depth=1
	global_load_b64 v[10:11], v[4:5], off
	global_load_b64 v[12:13], v[6:7], off
	v_add_nc_u32_e32 v9, 64, v9
	v_add_co_u32 v4, vcc_lo, v4, s4
	v_add_co_ci_u32_e32 v5, vcc_lo, s5, v5, vcc_lo
	s_delay_alu instid0(VALU_DEP_3) | instskip(SKIP_1) | instid1(VALU_DEP_1)
	v_cmp_le_i32_e32 vcc_lo, s12, v9
	v_add_co_u32 v6, s0, v6, s6
	v_add_co_ci_u32_e64 v7, s0, s7, v7, s0
	s_or_b32 s1, vcc_lo, s1
	s_waitcnt vmcnt(0)
	v_fma_f64 v[2:3], v[10:11], v[12:13], v[2:3]
	s_and_not1_b32 exec_lo, exec_lo, s1
	s_cbranch_execnz .LBB194_3
; %bb.4:
	s_or_b32 exec_lo, exec_lo, s1
.LBB194_5:
	s_delay_alu instid0(SALU_CYCLE_1)
	s_or_b32 exec_lo, exec_lo, s13
	v_mbcnt_lo_u32_b32 v6, -1, 0
	s_barrier
	buffer_gl0_inv
	v_lshlrev_b32_e32 v5, 2, v6
	v_cmp_gt_u32_e32 vcc_lo, 16, v6
	ds_bpermute_b32 v4, v5, v2
	ds_bpermute_b32 v5, v5, v3
	s_waitcnt lgkmcnt(0)
	v_add_f64 v[2:3], v[2:3], v[4:5]
	v_cndmask_b32_e64 v4, 0, 1, vcc_lo
	v_cmp_gt_u32_e32 vcc_lo, 24, v6
	s_delay_alu instid0(VALU_DEP_2) | instskip(NEXT) | instid1(VALU_DEP_1)
	v_lshlrev_b32_e32 v4, 4, v4
	v_add_lshl_u32 v5, v4, v6, 2
	ds_bpermute_b32 v4, v5, v2
	ds_bpermute_b32 v5, v5, v3
	s_waitcnt lgkmcnt(0)
	v_add_f64 v[2:3], v[2:3], v[4:5]
	v_cndmask_b32_e64 v4, 0, 1, vcc_lo
	v_cmp_gt_u32_e32 vcc_lo, 28, v6
	s_delay_alu instid0(VALU_DEP_2) | instskip(NEXT) | instid1(VALU_DEP_1)
	v_lshlrev_b32_e32 v4, 3, v4
	v_add_lshl_u32 v5, v4, v6, 2
	;; [unrolled: 9-line block ×3, first 2 shown]
	ds_bpermute_b32 v4, v5, v2
	ds_bpermute_b32 v5, v5, v3
	s_waitcnt lgkmcnt(0)
	v_add_f64 v[2:3], v[2:3], v[4:5]
	v_cndmask_b32_e64 v4, 0, 1, vcc_lo
	v_cmp_ne_u32_e32 vcc_lo, 31, v6
	s_delay_alu instid0(VALU_DEP_2) | instskip(NEXT) | instid1(VALU_DEP_1)
	v_lshlrev_b32_e32 v4, 1, v4
	v_add_lshl_u32 v5, v4, v6, 2
	ds_bpermute_b32 v4, v5, v2
	ds_bpermute_b32 v5, v5, v3
	s_waitcnt lgkmcnt(0)
	v_add_f64 v[2:3], v[2:3], v[4:5]
	v_add_co_ci_u32_e32 v4, vcc_lo, 0, v6, vcc_lo
	v_cmp_eq_u32_e32 vcc_lo, 0, v8
	s_delay_alu instid0(VALU_DEP_2)
	v_lshlrev_b32_e32 v5, 2, v4
	ds_bpermute_b32 v4, v5, v2
	ds_bpermute_b32 v5, v5, v3
	s_and_b32 exec_lo, exec_lo, vcc_lo
	s_cbranch_execz .LBB194_7
; %bb.6:
	s_waitcnt lgkmcnt(0)
	v_add_f64 v[2:3], v[2:3], v[4:5]
	v_add_co_u32 v0, vcc_lo, s2, v0
	v_add_co_ci_u32_e32 v1, vcc_lo, s3, v1, vcc_lo
	global_store_b64 v[0:1], v[2:3], off
.LBB194_7:
	s_nop 0
	s_sendmsg sendmsg(MSG_DEALLOC_VGPRS)
	s_endpgm
	.section	.rodata,"a",@progbits
	.p2align	6, 0x0
	.amdhsa_kernel _ZL28rocblas_dot_batched_4_kernelIiLi64ELi4ELb0EddPKPKdEviT5_lT_lS4_lS5_liPT4_
		.amdhsa_group_segment_fixed_size 0
		.amdhsa_private_segment_fixed_size 0
		.amdhsa_kernarg_size 88
		.amdhsa_user_sgpr_count 15
		.amdhsa_user_sgpr_dispatch_ptr 0
		.amdhsa_user_sgpr_queue_ptr 0
		.amdhsa_user_sgpr_kernarg_segment_ptr 1
		.amdhsa_user_sgpr_dispatch_id 0
		.amdhsa_user_sgpr_private_segment_size 0
		.amdhsa_wavefront_size32 1
		.amdhsa_uses_dynamic_stack 0
		.amdhsa_enable_private_segment 0
		.amdhsa_system_sgpr_workgroup_id_x 1
		.amdhsa_system_sgpr_workgroup_id_y 0
		.amdhsa_system_sgpr_workgroup_id_z 0
		.amdhsa_system_sgpr_workgroup_info 0
		.amdhsa_system_vgpr_workitem_id 1
		.amdhsa_next_free_vgpr 14
		.amdhsa_next_free_sgpr 16
		.amdhsa_reserve_vcc 1
		.amdhsa_float_round_mode_32 0
		.amdhsa_float_round_mode_16_64 0
		.amdhsa_float_denorm_mode_32 3
		.amdhsa_float_denorm_mode_16_64 3
		.amdhsa_dx10_clamp 1
		.amdhsa_ieee_mode 1
		.amdhsa_fp16_overflow 0
		.amdhsa_workgroup_processor_mode 1
		.amdhsa_memory_ordered 1
		.amdhsa_forward_progress 0
		.amdhsa_shared_vgpr_count 0
		.amdhsa_exception_fp_ieee_invalid_op 0
		.amdhsa_exception_fp_denorm_src 0
		.amdhsa_exception_fp_ieee_div_zero 0
		.amdhsa_exception_fp_ieee_overflow 0
		.amdhsa_exception_fp_ieee_underflow 0
		.amdhsa_exception_fp_ieee_inexact 0
		.amdhsa_exception_int_div_zero 0
	.end_amdhsa_kernel
	.section	.text._ZL28rocblas_dot_batched_4_kernelIiLi64ELi4ELb0EddPKPKdEviT5_lT_lS4_lS5_liPT4_,"axG",@progbits,_ZL28rocblas_dot_batched_4_kernelIiLi64ELi4ELb0EddPKPKdEviT5_lT_lS4_lS5_liPT4_,comdat
.Lfunc_end194:
	.size	_ZL28rocblas_dot_batched_4_kernelIiLi64ELi4ELb0EddPKPKdEviT5_lT_lS4_lS5_liPT4_, .Lfunc_end194-_ZL28rocblas_dot_batched_4_kernelIiLi64ELi4ELb0EddPKPKdEviT5_lT_lS4_lS5_liPT4_
                                        ; -- End function
	.section	.AMDGPU.csdata,"",@progbits
; Kernel info:
; codeLenInByte = 788
; NumSgprs: 18
; NumVgprs: 14
; ScratchSize: 0
; MemoryBound: 0
; FloatMode: 240
; IeeeMode: 1
; LDSByteSize: 0 bytes/workgroup (compile time only)
; SGPRBlocks: 2
; VGPRBlocks: 1
; NumSGPRsForWavesPerEU: 18
; NumVGPRsForWavesPerEU: 14
; Occupancy: 16
; WaveLimiterHint : 0
; COMPUTE_PGM_RSRC2:SCRATCH_EN: 0
; COMPUTE_PGM_RSRC2:USER_SGPR: 15
; COMPUTE_PGM_RSRC2:TRAP_HANDLER: 0
; COMPUTE_PGM_RSRC2:TGID_X_EN: 1
; COMPUTE_PGM_RSRC2:TGID_Y_EN: 0
; COMPUTE_PGM_RSRC2:TGID_Z_EN: 0
; COMPUTE_PGM_RSRC2:TIDIG_COMP_CNT: 1
	.section	.text._ZL26rocblas_dot_kernel_inc1by2ILb1ELi1024ELi32ELb0EdPKPKddEviT4_llS4_lliPT5_PT3_,"axG",@progbits,_ZL26rocblas_dot_kernel_inc1by2ILb1ELi1024ELi32ELb0EdPKPKddEviT4_llS4_lliPT5_PT3_,comdat
	.globl	_ZL26rocblas_dot_kernel_inc1by2ILb1ELi1024ELi32ELb0EdPKPKddEviT4_llS4_lliPT5_PT3_ ; -- Begin function _ZL26rocblas_dot_kernel_inc1by2ILb1ELi1024ELi32ELb0EdPKPKddEviT4_llS4_lliPT5_PT3_
	.p2align	8
	.type	_ZL26rocblas_dot_kernel_inc1by2ILb1ELi1024ELi32ELb0EdPKPKddEviT4_llS4_lliPT5_PT3_,@function
_ZL26rocblas_dot_kernel_inc1by2ILb1ELi1024ELi32ELb0EdPKPKddEviT4_llS4_lliPT5_PT3_: ; @_ZL26rocblas_dot_kernel_inc1by2ILb1ELi1024ELi32ELb0EdPKPKddEviT4_llS4_lliPT5_PT3_
; %bb.0:
	s_clause 0x1
	s_load_b32 s6, s[0:1], 0x0
	s_load_b64 s[2:3], s[0:1], 0x48
	v_mov_b32_e32 v1, 0
	v_mov_b32_e32 v2, 0
	s_mov_b32 s4, s15
	s_mov_b32 s5, 0
	s_mov_b32 s7, exec_lo
	s_waitcnt lgkmcnt(0)
	v_cmpx_gt_i32_e64 s6, v0
	s_cbranch_execz .LBB195_4
; %bb.1:
	s_clause 0x1
	s_load_b128 s[8:11], s[0:1], 0x8
	s_load_b128 s[12:15], s[0:1], 0x20
	s_lshl_b64 s[0:1], s[4:5], 3
	v_lshlrev_b32_e32 v5, 3, v0
	v_mov_b32_e32 v1, 0
	v_mov_b32_e32 v2, 0
	v_or_b32_e32 v7, 0x400, v0
	s_waitcnt lgkmcnt(0)
	s_add_u32 s8, s8, s0
	s_addc_u32 s9, s9, s1
	s_add_u32 s0, s12, s0
	s_addc_u32 s1, s13, s1
	s_lshl_b64 s[12:13], s[14:15], 3
	s_load_b64 s[0:1], s[0:1], 0x0
	s_load_b64 s[8:9], s[8:9], 0x0
	s_waitcnt lgkmcnt(0)
	s_add_u32 s12, s0, s12
	s_addc_u32 s13, s1, s13
	s_lshl_b64 s[0:1], s[10:11], 3
	v_add_co_u32 v3, s10, s12, v5
	s_add_u32 s0, s8, s0
	s_addc_u32 s1, s9, s1
	v_add_co_u32 v5, s0, s0, v5
	v_add_co_ci_u32_e64 v4, null, s13, 0, s10
	v_add_co_ci_u32_e64 v6, null, s1, 0, s0
	s_mov_b32 s1, s5
	s_mov_b32 s8, s5
	.p2align	6
.LBB195_2:                              ; =>This Inner Loop Header: Depth=1
	global_load_b64 v[8:9], v[3:4], off
	global_load_b64 v[10:11], v[5:6], off
	s_add_i32 s9, s8, 1
	v_cmp_le_i32_e32 vcc_lo, s6, v7
	v_add_co_u32 v3, s0, 0x2000, v3
	s_cmp_gt_u32 s8, 30
	v_add_co_ci_u32_e64 v4, s0, 0, v4, s0
	s_cselect_b32 s8, -1, 0
	v_add_co_u32 v5, s0, 0x2000, v5
	s_or_b32 s8, s8, vcc_lo
	v_add_nc_u32_e32 v7, 0x400, v7
	v_add_co_ci_u32_e64 v6, vcc_lo, 0, v6, s0
	s_and_b32 s0, exec_lo, s8
	s_mov_b32 s8, s9
	s_or_b32 s1, s0, s1
	s_waitcnt vmcnt(0)
	v_fma_f64 v[1:2], v[8:9], v[10:11], v[1:2]
	s_and_not1_b32 exec_lo, exec_lo, s1
	s_cbranch_execnz .LBB195_2
; %bb.3:
	s_or_b32 exec_lo, exec_lo, s1
.LBB195_4:
	s_delay_alu instid0(SALU_CYCLE_1) | instskip(SKIP_2) | instid1(VALU_DEP_2)
	s_or_b32 exec_lo, exec_lo, s7
	v_and_b32_e32 v11, 31, v0
	v_cmp_gt_u32_e32 vcc_lo, 32, v0
	v_lshlrev_b32_e32 v5, 3, v11
	s_and_saveexec_b32 s0, vcc_lo
	s_cbranch_execz .LBB195_6
; %bb.5:
	v_mov_b32_e32 v3, 0
	s_delay_alu instid0(VALU_DEP_1)
	v_mov_b32_e32 v4, v3
	ds_store_b64 v5, v[3:4]
.LBB195_6:
	s_or_b32 exec_lo, exec_lo, s0
	v_mbcnt_lo_u32_b32 v10, -1, 0
	s_mov_b32 s1, exec_lo
	s_waitcnt lgkmcnt(0)
	s_barrier
	buffer_gl0_inv
	v_cmp_gt_u32_e64 s0, 16, v10
	s_delay_alu instid0(VALU_DEP_1) | instskip(SKIP_1) | instid1(VALU_DEP_2)
	v_cndmask_b32_e64 v3, 0, 1, s0
	v_cmp_gt_u32_e64 s0, 24, v10
	v_lshlrev_b32_e32 v3, 4, v3
	s_delay_alu instid0(VALU_DEP_1)
	v_add_lshl_u32 v6, v3, v10, 2
	ds_bpermute_b32 v3, v6, v1
	ds_bpermute_b32 v4, v6, v2
	s_waitcnt lgkmcnt(0)
	v_add_f64 v[1:2], v[1:2], v[3:4]
	v_cndmask_b32_e64 v3, 0, 1, s0
	v_cmp_gt_u32_e64 s0, 28, v10
	s_delay_alu instid0(VALU_DEP_2) | instskip(NEXT) | instid1(VALU_DEP_1)
	v_lshlrev_b32_e32 v3, 3, v3
	v_add_lshl_u32 v7, v3, v10, 2
	ds_bpermute_b32 v3, v7, v1
	ds_bpermute_b32 v4, v7, v2
	s_waitcnt lgkmcnt(0)
	v_add_f64 v[1:2], v[1:2], v[3:4]
	v_cndmask_b32_e64 v3, 0, 1, s0
	v_cmp_gt_u32_e64 s0, 30, v10
	s_delay_alu instid0(VALU_DEP_2) | instskip(NEXT) | instid1(VALU_DEP_1)
	v_lshlrev_b32_e32 v3, 2, v3
	v_add_lshl_u32 v8, v3, v10, 2
	ds_bpermute_b32 v3, v8, v1
	ds_bpermute_b32 v4, v8, v2
	s_waitcnt lgkmcnt(0)
	v_add_f64 v[1:2], v[1:2], v[3:4]
	v_cndmask_b32_e64 v3, 0, 1, s0
	v_cmp_ne_u32_e64 s0, 31, v10
	s_delay_alu instid0(VALU_DEP_2) | instskip(NEXT) | instid1(VALU_DEP_1)
	v_lshlrev_b32_e32 v3, 1, v3
	v_add_lshl_u32 v9, v3, v10, 2
	ds_bpermute_b32 v3, v9, v1
	ds_bpermute_b32 v4, v9, v2
	s_waitcnt lgkmcnt(0)
	v_add_f64 v[1:2], v[1:2], v[3:4]
	v_add_co_ci_u32_e64 v3, s0, 0, v10, s0
	s_delay_alu instid0(VALU_DEP_1)
	v_lshlrev_b32_e32 v10, 2, v3
	ds_bpermute_b32 v3, v10, v1
	ds_bpermute_b32 v4, v10, v2
	v_cmpx_eq_u32_e32 0, v11
	s_cbranch_execz .LBB195_8
; %bb.7:
	s_waitcnt lgkmcnt(0)
	v_add_f64 v[1:2], v[1:2], v[3:4]
	v_lshrrev_b32_e32 v3, 2, v0
	s_delay_alu instid0(VALU_DEP_1)
	v_and_b32_e32 v3, 0xf8, v3
	ds_store_b64 v3, v[1:2]
.LBB195_8:
	s_or_b32 exec_lo, exec_lo, s1
	v_mov_b32_e32 v1, 0
	v_mov_b32_e32 v2, 0
	s_waitcnt lgkmcnt(0)
	s_barrier
	buffer_gl0_inv
	s_and_saveexec_b32 s0, vcc_lo
	s_cbranch_execz .LBB195_10
; %bb.9:
	ds_load_b64 v[1:2], v5
.LBB195_10:
	s_or_b32 exec_lo, exec_lo, s0
	s_and_saveexec_b32 s0, vcc_lo
	s_cbranch_execz .LBB195_12
; %bb.11:
	s_waitcnt lgkmcnt(0)
	ds_bpermute_b32 v3, v6, v1
	ds_bpermute_b32 v4, v6, v2
	s_waitcnt lgkmcnt(0)
	v_add_f64 v[1:2], v[1:2], v[3:4]
	ds_bpermute_b32 v3, v7, v1
	ds_bpermute_b32 v4, v7, v2
	s_waitcnt lgkmcnt(0)
	v_add_f64 v[1:2], v[1:2], v[3:4]
	;; [unrolled: 4-line block ×5, first 2 shown]
.LBB195_12:
	s_or_b32 exec_lo, exec_lo, s0
	s_delay_alu instid0(SALU_CYCLE_1)
	s_mov_b32 s0, exec_lo
	v_cmpx_eq_u32_e32 0, v0
	s_cbranch_execz .LBB195_14
; %bb.13:
	s_lshl_b64 s[0:1], s[4:5], 3
	v_mov_b32_e32 v0, 0
	s_add_u32 s0, s2, s0
	s_addc_u32 s1, s3, s1
	s_waitcnt lgkmcnt(0)
	global_store_b64 v0, v[1:2], s[0:1]
.LBB195_14:
	s_nop 0
	s_sendmsg sendmsg(MSG_DEALLOC_VGPRS)
	s_endpgm
	.section	.rodata,"a",@progbits
	.p2align	6, 0x0
	.amdhsa_kernel _ZL26rocblas_dot_kernel_inc1by2ILb1ELi1024ELi32ELb0EdPKPKddEviT4_llS4_lliPT5_PT3_
		.amdhsa_group_segment_fixed_size 256
		.amdhsa_private_segment_fixed_size 0
		.amdhsa_kernarg_size 80
		.amdhsa_user_sgpr_count 14
		.amdhsa_user_sgpr_dispatch_ptr 0
		.amdhsa_user_sgpr_queue_ptr 0
		.amdhsa_user_sgpr_kernarg_segment_ptr 1
		.amdhsa_user_sgpr_dispatch_id 0
		.amdhsa_user_sgpr_private_segment_size 0
		.amdhsa_wavefront_size32 1
		.amdhsa_uses_dynamic_stack 0
		.amdhsa_enable_private_segment 0
		.amdhsa_system_sgpr_workgroup_id_x 1
		.amdhsa_system_sgpr_workgroup_id_y 0
		.amdhsa_system_sgpr_workgroup_id_z 1
		.amdhsa_system_sgpr_workgroup_info 0
		.amdhsa_system_vgpr_workitem_id 0
		.amdhsa_next_free_vgpr 12
		.amdhsa_next_free_sgpr 16
		.amdhsa_reserve_vcc 1
		.amdhsa_float_round_mode_32 0
		.amdhsa_float_round_mode_16_64 0
		.amdhsa_float_denorm_mode_32 3
		.amdhsa_float_denorm_mode_16_64 3
		.amdhsa_dx10_clamp 1
		.amdhsa_ieee_mode 1
		.amdhsa_fp16_overflow 0
		.amdhsa_workgroup_processor_mode 1
		.amdhsa_memory_ordered 1
		.amdhsa_forward_progress 0
		.amdhsa_shared_vgpr_count 0
		.amdhsa_exception_fp_ieee_invalid_op 0
		.amdhsa_exception_fp_denorm_src 0
		.amdhsa_exception_fp_ieee_div_zero 0
		.amdhsa_exception_fp_ieee_overflow 0
		.amdhsa_exception_fp_ieee_underflow 0
		.amdhsa_exception_fp_ieee_inexact 0
		.amdhsa_exception_int_div_zero 0
	.end_amdhsa_kernel
	.section	.text._ZL26rocblas_dot_kernel_inc1by2ILb1ELi1024ELi32ELb0EdPKPKddEviT4_llS4_lliPT5_PT3_,"axG",@progbits,_ZL26rocblas_dot_kernel_inc1by2ILb1ELi1024ELi32ELb0EdPKPKddEviT4_llS4_lliPT5_PT3_,comdat
.Lfunc_end195:
	.size	_ZL26rocblas_dot_kernel_inc1by2ILb1ELi1024ELi32ELb0EdPKPKddEviT4_llS4_lliPT5_PT3_, .Lfunc_end195-_ZL26rocblas_dot_kernel_inc1by2ILb1ELi1024ELi32ELb0EdPKPKddEviT4_llS4_lliPT5_PT3_
                                        ; -- End function
	.section	.AMDGPU.csdata,"",@progbits
; Kernel info:
; codeLenInByte = 992
; NumSgprs: 18
; NumVgprs: 12
; ScratchSize: 0
; MemoryBound: 0
; FloatMode: 240
; IeeeMode: 1
; LDSByteSize: 256 bytes/workgroup (compile time only)
; SGPRBlocks: 2
; VGPRBlocks: 1
; NumSGPRsForWavesPerEU: 18
; NumVGPRsForWavesPerEU: 12
; Occupancy: 16
; WaveLimiterHint : 0
; COMPUTE_PGM_RSRC2:SCRATCH_EN: 0
; COMPUTE_PGM_RSRC2:USER_SGPR: 14
; COMPUTE_PGM_RSRC2:TRAP_HANDLER: 0
; COMPUTE_PGM_RSRC2:TGID_X_EN: 1
; COMPUTE_PGM_RSRC2:TGID_Y_EN: 0
; COMPUTE_PGM_RSRC2:TGID_Z_EN: 1
; COMPUTE_PGM_RSRC2:TIDIG_COMP_CNT: 0
	.section	.text._ZL18rocblas_dot_kernelIiLb1ELi1024ELi32ELb0EdPKPKddEviT5_lT_lS4_lS5_liPT6_PT4_,"axG",@progbits,_ZL18rocblas_dot_kernelIiLb1ELi1024ELi32ELb0EdPKPKddEviT5_lT_lS4_lS5_liPT6_PT4_,comdat
	.globl	_ZL18rocblas_dot_kernelIiLb1ELi1024ELi32ELb0EdPKPKddEviT5_lT_lS4_lS5_liPT6_PT4_ ; -- Begin function _ZL18rocblas_dot_kernelIiLb1ELi1024ELi32ELb0EdPKPKddEviT5_lT_lS4_lS5_liPT6_PT4_
	.p2align	8
	.type	_ZL18rocblas_dot_kernelIiLb1ELi1024ELi32ELb0EdPKPKddEviT5_lT_lS4_lS5_liPT6_PT4_,@function
_ZL18rocblas_dot_kernelIiLb1ELi1024ELi32ELb0EdPKPKddEviT5_lT_lS4_lS5_liPT6_PT4_: ; @_ZL18rocblas_dot_kernelIiLb1ELi1024ELi32ELb0EdPKPKddEviT5_lT_lS4_lS5_liPT6_PT4_
; %bb.0:
	s_clause 0x1
	s_load_b32 s14, s[0:1], 0x0
	s_load_b64 s[2:3], s[0:1], 0x58
	v_mov_b32_e32 v1, 0
	v_mov_b32_e32 v2, 0
	s_mov_b32 s12, s15
	s_mov_b32 s13, 0
	s_mov_b32 s15, exec_lo
	s_waitcnt lgkmcnt(0)
	v_cmpx_gt_i32_e64 s14, v0
	s_cbranch_execz .LBB196_4
; %bb.1:
	s_clause 0x4
	s_load_b128 s[8:11], s[0:1], 0x8
	s_load_b128 s[4:7], s[0:1], 0x28
	s_load_b32 s18, s[0:1], 0x18
	s_load_b32 s20, s[0:1], 0x38
	;; [unrolled: 1-line block ×3, first 2 shown]
	s_lshl_b64 s[0:1], s[12:13], 3
	v_mov_b32_e32 v1, 0
	v_mov_b32_e32 v2, 0
	s_waitcnt lgkmcnt(0)
	s_add_u32 s8, s8, s0
	s_addc_u32 s9, s9, s1
	s_add_u32 s0, s4, s0
	s_load_b64 s[8:9], s[8:9], 0x0
	s_addc_u32 s1, s5, s1
	v_mad_i64_i32 v[3:4], null, s18, v0, 0
	s_load_b64 s[16:17], s[0:1], 0x0
	v_mad_i64_i32 v[5:6], null, s20, v0, 0
	s_lshl_b32 s1, s19, 10
	s_lshl_b64 s[4:5], s[10:11], 3
	s_mul_hi_i32 s11, s18, s1
	s_delay_alu instid0(VALU_DEP_2) | instskip(SKIP_2) | instid1(VALU_DEP_3)
	v_lshlrev_b64 v[3:4], 3, v[3:4]
	s_mul_i32 s10, s18, s1
	v_or_b32_e32 v7, s1, v0
	v_lshlrev_b64 v[5:6], 3, v[5:6]
	s_mul_hi_i32 s19, s20, s1
	s_mul_i32 s18, s20, s1
	s_waitcnt lgkmcnt(0)
	s_add_u32 s0, s8, s4
	s_addc_u32 s8, s9, s5
	s_lshl_b64 s[6:7], s[6:7], 3
	s_lshl_b64 s[4:5], s[10:11], 3
	v_add_co_u32 v3, vcc_lo, s0, v3
	s_add_u32 s0, s16, s6
	v_add_co_ci_u32_e32 v4, vcc_lo, s8, v4, vcc_lo
	s_addc_u32 s6, s17, s7
	v_add_co_u32 v5, vcc_lo, s0, v5
	v_add_co_ci_u32_e32 v6, vcc_lo, s6, v6, vcc_lo
	s_lshl_b64 s[6:7], s[18:19], 3
	s_mov_b32 s8, s13
	s_mov_b32 s9, s13
	.p2align	6
.LBB196_2:                              ; =>This Inner Loop Header: Depth=1
	global_load_b64 v[8:9], v[5:6], off
	global_load_b64 v[10:11], v[3:4], off
	s_add_i32 s10, s9, 1
	v_cmp_le_i32_e32 vcc_lo, s14, v7
	v_add_co_u32 v3, s0, v3, s4
	s_cmp_gt_u32 s9, 30
	v_add_co_ci_u32_e64 v4, s0, s5, v4, s0
	s_cselect_b32 s9, -1, 0
	v_add_co_u32 v5, s0, v5, s6
	s_or_b32 s9, s9, vcc_lo
	v_add_nc_u32_e32 v7, s1, v7
	v_add_co_ci_u32_e64 v6, vcc_lo, s7, v6, s0
	s_and_b32 s0, exec_lo, s9
	s_mov_b32 s9, s10
	s_or_b32 s8, s0, s8
	s_waitcnt vmcnt(0)
	v_fma_f64 v[1:2], v[8:9], v[10:11], v[1:2]
	s_and_not1_b32 exec_lo, exec_lo, s8
	s_cbranch_execnz .LBB196_2
; %bb.3:
	s_or_b32 exec_lo, exec_lo, s8
.LBB196_4:
	s_delay_alu instid0(SALU_CYCLE_1) | instskip(SKIP_2) | instid1(VALU_DEP_2)
	s_or_b32 exec_lo, exec_lo, s15
	v_and_b32_e32 v11, 31, v0
	v_cmp_gt_u32_e32 vcc_lo, 32, v0
	v_lshlrev_b32_e32 v5, 3, v11
	s_and_saveexec_b32 s0, vcc_lo
	s_cbranch_execz .LBB196_6
; %bb.5:
	v_mov_b32_e32 v3, 0
	s_delay_alu instid0(VALU_DEP_1)
	v_mov_b32_e32 v4, v3
	ds_store_b64 v5, v[3:4]
.LBB196_6:
	s_or_b32 exec_lo, exec_lo, s0
	v_mbcnt_lo_u32_b32 v10, -1, 0
	s_mov_b32 s1, exec_lo
	s_waitcnt lgkmcnt(0)
	s_barrier
	buffer_gl0_inv
	v_cmp_gt_u32_e64 s0, 16, v10
	s_delay_alu instid0(VALU_DEP_1) | instskip(SKIP_1) | instid1(VALU_DEP_2)
	v_cndmask_b32_e64 v3, 0, 1, s0
	v_cmp_gt_u32_e64 s0, 24, v10
	v_lshlrev_b32_e32 v3, 4, v3
	s_delay_alu instid0(VALU_DEP_1)
	v_add_lshl_u32 v6, v3, v10, 2
	ds_bpermute_b32 v3, v6, v1
	ds_bpermute_b32 v4, v6, v2
	s_waitcnt lgkmcnt(0)
	v_add_f64 v[1:2], v[1:2], v[3:4]
	v_cndmask_b32_e64 v3, 0, 1, s0
	v_cmp_gt_u32_e64 s0, 28, v10
	s_delay_alu instid0(VALU_DEP_2) | instskip(NEXT) | instid1(VALU_DEP_1)
	v_lshlrev_b32_e32 v3, 3, v3
	v_add_lshl_u32 v7, v3, v10, 2
	ds_bpermute_b32 v3, v7, v1
	ds_bpermute_b32 v4, v7, v2
	s_waitcnt lgkmcnt(0)
	v_add_f64 v[1:2], v[1:2], v[3:4]
	v_cndmask_b32_e64 v3, 0, 1, s0
	v_cmp_gt_u32_e64 s0, 30, v10
	s_delay_alu instid0(VALU_DEP_2) | instskip(NEXT) | instid1(VALU_DEP_1)
	v_lshlrev_b32_e32 v3, 2, v3
	v_add_lshl_u32 v8, v3, v10, 2
	ds_bpermute_b32 v3, v8, v1
	ds_bpermute_b32 v4, v8, v2
	s_waitcnt lgkmcnt(0)
	v_add_f64 v[1:2], v[1:2], v[3:4]
	v_cndmask_b32_e64 v3, 0, 1, s0
	v_cmp_ne_u32_e64 s0, 31, v10
	s_delay_alu instid0(VALU_DEP_2) | instskip(NEXT) | instid1(VALU_DEP_1)
	v_lshlrev_b32_e32 v3, 1, v3
	v_add_lshl_u32 v9, v3, v10, 2
	ds_bpermute_b32 v3, v9, v1
	ds_bpermute_b32 v4, v9, v2
	s_waitcnt lgkmcnt(0)
	v_add_f64 v[1:2], v[1:2], v[3:4]
	v_add_co_ci_u32_e64 v3, s0, 0, v10, s0
	s_delay_alu instid0(VALU_DEP_1)
	v_lshlrev_b32_e32 v10, 2, v3
	ds_bpermute_b32 v3, v10, v1
	ds_bpermute_b32 v4, v10, v2
	v_cmpx_eq_u32_e32 0, v11
	s_cbranch_execz .LBB196_8
; %bb.7:
	s_waitcnt lgkmcnt(0)
	v_add_f64 v[1:2], v[1:2], v[3:4]
	v_lshrrev_b32_e32 v3, 2, v0
	s_delay_alu instid0(VALU_DEP_1)
	v_and_b32_e32 v3, 0xf8, v3
	ds_store_b64 v3, v[1:2]
.LBB196_8:
	s_or_b32 exec_lo, exec_lo, s1
	v_mov_b32_e32 v1, 0
	v_mov_b32_e32 v2, 0
	s_waitcnt lgkmcnt(0)
	s_barrier
	buffer_gl0_inv
	s_and_saveexec_b32 s0, vcc_lo
	s_cbranch_execz .LBB196_10
; %bb.9:
	ds_load_b64 v[1:2], v5
.LBB196_10:
	s_or_b32 exec_lo, exec_lo, s0
	s_and_saveexec_b32 s0, vcc_lo
	s_cbranch_execz .LBB196_12
; %bb.11:
	s_waitcnt lgkmcnt(0)
	ds_bpermute_b32 v3, v6, v1
	ds_bpermute_b32 v4, v6, v2
	s_waitcnt lgkmcnt(0)
	v_add_f64 v[1:2], v[1:2], v[3:4]
	ds_bpermute_b32 v3, v7, v1
	ds_bpermute_b32 v4, v7, v2
	s_waitcnt lgkmcnt(0)
	v_add_f64 v[1:2], v[1:2], v[3:4]
	;; [unrolled: 4-line block ×5, first 2 shown]
.LBB196_12:
	s_or_b32 exec_lo, exec_lo, s0
	s_delay_alu instid0(SALU_CYCLE_1)
	s_mov_b32 s0, exec_lo
	v_cmpx_eq_u32_e32 0, v0
	s_cbranch_execz .LBB196_14
; %bb.13:
	s_lshl_b64 s[0:1], s[12:13], 3
	v_mov_b32_e32 v0, 0
	s_add_u32 s0, s2, s0
	s_addc_u32 s1, s3, s1
	s_waitcnt lgkmcnt(0)
	global_store_b64 v0, v[1:2], s[0:1]
.LBB196_14:
	s_nop 0
	s_sendmsg sendmsg(MSG_DEALLOC_VGPRS)
	s_endpgm
	.section	.rodata,"a",@progbits
	.p2align	6, 0x0
	.amdhsa_kernel _ZL18rocblas_dot_kernelIiLb1ELi1024ELi32ELb0EdPKPKddEviT5_lT_lS4_lS5_liPT6_PT4_
		.amdhsa_group_segment_fixed_size 256
		.amdhsa_private_segment_fixed_size 0
		.amdhsa_kernarg_size 352
		.amdhsa_user_sgpr_count 14
		.amdhsa_user_sgpr_dispatch_ptr 0
		.amdhsa_user_sgpr_queue_ptr 0
		.amdhsa_user_sgpr_kernarg_segment_ptr 1
		.amdhsa_user_sgpr_dispatch_id 0
		.amdhsa_user_sgpr_private_segment_size 0
		.amdhsa_wavefront_size32 1
		.amdhsa_uses_dynamic_stack 0
		.amdhsa_enable_private_segment 0
		.amdhsa_system_sgpr_workgroup_id_x 1
		.amdhsa_system_sgpr_workgroup_id_y 0
		.amdhsa_system_sgpr_workgroup_id_z 1
		.amdhsa_system_sgpr_workgroup_info 0
		.amdhsa_system_vgpr_workitem_id 0
		.amdhsa_next_free_vgpr 12
		.amdhsa_next_free_sgpr 21
		.amdhsa_reserve_vcc 1
		.amdhsa_float_round_mode_32 0
		.amdhsa_float_round_mode_16_64 0
		.amdhsa_float_denorm_mode_32 3
		.amdhsa_float_denorm_mode_16_64 3
		.amdhsa_dx10_clamp 1
		.amdhsa_ieee_mode 1
		.amdhsa_fp16_overflow 0
		.amdhsa_workgroup_processor_mode 1
		.amdhsa_memory_ordered 1
		.amdhsa_forward_progress 0
		.amdhsa_shared_vgpr_count 0
		.amdhsa_exception_fp_ieee_invalid_op 0
		.amdhsa_exception_fp_denorm_src 0
		.amdhsa_exception_fp_ieee_div_zero 0
		.amdhsa_exception_fp_ieee_overflow 0
		.amdhsa_exception_fp_ieee_underflow 0
		.amdhsa_exception_fp_ieee_inexact 0
		.amdhsa_exception_int_div_zero 0
	.end_amdhsa_kernel
	.section	.text._ZL18rocblas_dot_kernelIiLb1ELi1024ELi32ELb0EdPKPKddEviT5_lT_lS4_lS5_liPT6_PT4_,"axG",@progbits,_ZL18rocblas_dot_kernelIiLb1ELi1024ELi32ELb0EdPKPKddEviT5_lT_lS4_lS5_liPT6_PT4_,comdat
.Lfunc_end196:
	.size	_ZL18rocblas_dot_kernelIiLb1ELi1024ELi32ELb0EdPKPKddEviT5_lT_lS4_lS5_liPT6_PT4_, .Lfunc_end196-_ZL18rocblas_dot_kernelIiLb1ELi1024ELi32ELb0EdPKPKddEviT5_lT_lS4_lS5_liPT6_PT4_
                                        ; -- End function
	.section	.AMDGPU.csdata,"",@progbits
; Kernel info:
; codeLenInByte = 1052
; NumSgprs: 23
; NumVgprs: 12
; ScratchSize: 0
; MemoryBound: 0
; FloatMode: 240
; IeeeMode: 1
; LDSByteSize: 256 bytes/workgroup (compile time only)
; SGPRBlocks: 2
; VGPRBlocks: 1
; NumSGPRsForWavesPerEU: 23
; NumVGPRsForWavesPerEU: 12
; Occupancy: 16
; WaveLimiterHint : 0
; COMPUTE_PGM_RSRC2:SCRATCH_EN: 0
; COMPUTE_PGM_RSRC2:USER_SGPR: 14
; COMPUTE_PGM_RSRC2:TRAP_HANDLER: 0
; COMPUTE_PGM_RSRC2:TGID_X_EN: 1
; COMPUTE_PGM_RSRC2:TGID_Y_EN: 0
; COMPUTE_PGM_RSRC2:TGID_Z_EN: 1
; COMPUTE_PGM_RSRC2:TIDIG_COMP_CNT: 0
	.section	.text._ZL24rocblas_dot_kernel_magsqIiLb1ELi1024ELi32ELb0EdPKPKddEviT5_lT_liPT6_PT4_,"axG",@progbits,_ZL24rocblas_dot_kernel_magsqIiLb1ELi1024ELi32ELb0EdPKPKddEviT5_lT_liPT6_PT4_,comdat
	.globl	_ZL24rocblas_dot_kernel_magsqIiLb1ELi1024ELi32ELb0EdPKPKddEviT5_lT_liPT6_PT4_ ; -- Begin function _ZL24rocblas_dot_kernel_magsqIiLb1ELi1024ELi32ELb0EdPKPKddEviT5_lT_liPT6_PT4_
	.p2align	8
	.type	_ZL24rocblas_dot_kernel_magsqIiLb1ELi1024ELi32ELb0EdPKPKddEviT5_lT_liPT6_PT4_,@function
_ZL24rocblas_dot_kernel_magsqIiLb1ELi1024ELi32ELb0EdPKPKddEviT5_lT_liPT6_PT4_: ; @_ZL24rocblas_dot_kernel_magsqIiLb1ELi1024ELi32ELb0EdPKPKddEviT5_lT_liPT6_PT4_
; %bb.0:
	s_clause 0x1
	s_load_b32 s8, s[0:1], 0x0
	s_load_b64 s[2:3], s[0:1], 0x38
	v_mov_b32_e32 v1, 0
	v_mov_b32_e32 v2, 0
	s_mov_b32 s4, s15
	s_mov_b32 s5, 0
	s_mov_b32 s9, exec_lo
	s_waitcnt lgkmcnt(0)
	v_cmpx_gt_i32_e64 s8, v0
	s_cbranch_execz .LBB197_4
; %bb.1:
	s_clause 0x2
	s_load_b128 s[12:15], s[0:1], 0x8
	s_load_b32 s16, s[0:1], 0x18
	s_load_b32 s10, s[0:1], 0x40
	s_lshl_b64 s[0:1], s[4:5], 3
	v_mov_b32_e32 v1, 0
	v_mov_b32_e32 v2, 0
	s_waitcnt lgkmcnt(0)
	s_add_u32 s0, s12, s0
	s_addc_u32 s1, s13, s1
	v_mad_i64_i32 v[3:4], null, s16, v0, 0
	s_load_b64 s[6:7], s[0:1], 0x0
	s_lshl_b32 s1, s10, 10
	s_lshl_b64 s[10:11], s[14:15], 3
	v_or_b32_e32 v5, s1, v0
	s_mul_hi_i32 s13, s16, s1
	s_mul_i32 s12, s16, s1
	s_delay_alu instid0(VALU_DEP_2) | instskip(SKIP_3) | instid1(VALU_DEP_1)
	v_lshlrev_b64 v[3:4], 3, v[3:4]
	s_waitcnt lgkmcnt(0)
	s_add_u32 s0, s6, s10
	s_addc_u32 s6, s7, s11
	v_add_co_u32 v3, vcc_lo, s0, v3
	s_delay_alu instid0(VALU_DEP_2)
	v_add_co_ci_u32_e32 v4, vcc_lo, s6, v4, vcc_lo
	s_lshl_b64 s[6:7], s[12:13], 3
	s_mov_b32 s10, s5
	s_mov_b32 s11, s5
	.p2align	6
.LBB197_2:                              ; =>This Inner Loop Header: Depth=1
	global_load_b64 v[6:7], v[3:4], off
	s_add_i32 s12, s11, 1
	v_cmp_le_i32_e32 vcc_lo, s8, v5
	s_cmp_gt_u32 s11, 30
	v_add_co_u32 v3, s0, v3, s6
	s_cselect_b32 s11, -1, 0
	v_add_nc_u32_e32 v5, s1, v5
	s_or_b32 s11, s11, vcc_lo
	v_add_co_ci_u32_e64 v4, vcc_lo, s7, v4, s0
	s_and_b32 s0, exec_lo, s11
	s_mov_b32 s11, s12
	s_or_b32 s10, s0, s10
	s_waitcnt vmcnt(0)
	v_fma_f64 v[1:2], v[6:7], v[6:7], v[1:2]
	s_and_not1_b32 exec_lo, exec_lo, s10
	s_cbranch_execnz .LBB197_2
; %bb.3:
	s_or_b32 exec_lo, exec_lo, s10
.LBB197_4:
	s_delay_alu instid0(SALU_CYCLE_1) | instskip(SKIP_2) | instid1(VALU_DEP_2)
	s_or_b32 exec_lo, exec_lo, s9
	v_and_b32_e32 v11, 31, v0
	v_cmp_gt_u32_e32 vcc_lo, 32, v0
	v_lshlrev_b32_e32 v5, 3, v11
	s_and_saveexec_b32 s0, vcc_lo
	s_cbranch_execz .LBB197_6
; %bb.5:
	v_mov_b32_e32 v3, 0
	s_delay_alu instid0(VALU_DEP_1)
	v_mov_b32_e32 v4, v3
	ds_store_b64 v5, v[3:4]
.LBB197_6:
	s_or_b32 exec_lo, exec_lo, s0
	v_mbcnt_lo_u32_b32 v10, -1, 0
	s_mov_b32 s1, exec_lo
	s_waitcnt lgkmcnt(0)
	s_barrier
	buffer_gl0_inv
	v_cmp_gt_u32_e64 s0, 16, v10
	s_delay_alu instid0(VALU_DEP_1) | instskip(SKIP_1) | instid1(VALU_DEP_2)
	v_cndmask_b32_e64 v3, 0, 1, s0
	v_cmp_gt_u32_e64 s0, 24, v10
	v_lshlrev_b32_e32 v3, 4, v3
	s_delay_alu instid0(VALU_DEP_1)
	v_add_lshl_u32 v6, v3, v10, 2
	ds_bpermute_b32 v3, v6, v1
	ds_bpermute_b32 v4, v6, v2
	s_waitcnt lgkmcnt(0)
	v_add_f64 v[1:2], v[1:2], v[3:4]
	v_cndmask_b32_e64 v3, 0, 1, s0
	v_cmp_gt_u32_e64 s0, 28, v10
	s_delay_alu instid0(VALU_DEP_2) | instskip(NEXT) | instid1(VALU_DEP_1)
	v_lshlrev_b32_e32 v3, 3, v3
	v_add_lshl_u32 v7, v3, v10, 2
	ds_bpermute_b32 v3, v7, v1
	ds_bpermute_b32 v4, v7, v2
	s_waitcnt lgkmcnt(0)
	v_add_f64 v[1:2], v[1:2], v[3:4]
	v_cndmask_b32_e64 v3, 0, 1, s0
	v_cmp_gt_u32_e64 s0, 30, v10
	s_delay_alu instid0(VALU_DEP_2) | instskip(NEXT) | instid1(VALU_DEP_1)
	v_lshlrev_b32_e32 v3, 2, v3
	v_add_lshl_u32 v8, v3, v10, 2
	ds_bpermute_b32 v3, v8, v1
	ds_bpermute_b32 v4, v8, v2
	s_waitcnt lgkmcnt(0)
	v_add_f64 v[1:2], v[1:2], v[3:4]
	v_cndmask_b32_e64 v3, 0, 1, s0
	v_cmp_ne_u32_e64 s0, 31, v10
	s_delay_alu instid0(VALU_DEP_2) | instskip(NEXT) | instid1(VALU_DEP_1)
	v_lshlrev_b32_e32 v3, 1, v3
	v_add_lshl_u32 v9, v3, v10, 2
	ds_bpermute_b32 v3, v9, v1
	ds_bpermute_b32 v4, v9, v2
	s_waitcnt lgkmcnt(0)
	v_add_f64 v[1:2], v[1:2], v[3:4]
	v_add_co_ci_u32_e64 v3, s0, 0, v10, s0
	s_delay_alu instid0(VALU_DEP_1)
	v_lshlrev_b32_e32 v10, 2, v3
	ds_bpermute_b32 v3, v10, v1
	ds_bpermute_b32 v4, v10, v2
	v_cmpx_eq_u32_e32 0, v11
	s_cbranch_execz .LBB197_8
; %bb.7:
	s_waitcnt lgkmcnt(0)
	v_add_f64 v[1:2], v[1:2], v[3:4]
	v_lshrrev_b32_e32 v3, 2, v0
	s_delay_alu instid0(VALU_DEP_1)
	v_and_b32_e32 v3, 0xf8, v3
	ds_store_b64 v3, v[1:2]
.LBB197_8:
	s_or_b32 exec_lo, exec_lo, s1
	v_mov_b32_e32 v1, 0
	v_mov_b32_e32 v2, 0
	s_waitcnt lgkmcnt(0)
	s_barrier
	buffer_gl0_inv
	s_and_saveexec_b32 s0, vcc_lo
	s_cbranch_execz .LBB197_10
; %bb.9:
	ds_load_b64 v[1:2], v5
.LBB197_10:
	s_or_b32 exec_lo, exec_lo, s0
	s_and_saveexec_b32 s0, vcc_lo
	s_cbranch_execz .LBB197_12
; %bb.11:
	s_waitcnt lgkmcnt(0)
	ds_bpermute_b32 v3, v6, v1
	ds_bpermute_b32 v4, v6, v2
	s_waitcnt lgkmcnt(0)
	v_add_f64 v[1:2], v[1:2], v[3:4]
	ds_bpermute_b32 v3, v7, v1
	ds_bpermute_b32 v4, v7, v2
	s_waitcnt lgkmcnt(0)
	v_add_f64 v[1:2], v[1:2], v[3:4]
	;; [unrolled: 4-line block ×5, first 2 shown]
.LBB197_12:
	s_or_b32 exec_lo, exec_lo, s0
	s_delay_alu instid0(SALU_CYCLE_1)
	s_mov_b32 s0, exec_lo
	v_cmpx_eq_u32_e32 0, v0
	s_cbranch_execz .LBB197_14
; %bb.13:
	s_lshl_b64 s[0:1], s[4:5], 3
	v_mov_b32_e32 v0, 0
	s_add_u32 s0, s2, s0
	s_addc_u32 s1, s3, s1
	s_waitcnt lgkmcnt(0)
	global_store_b64 v0, v[1:2], s[0:1]
.LBB197_14:
	s_nop 0
	s_sendmsg sendmsg(MSG_DEALLOC_VGPRS)
	s_endpgm
	.section	.rodata,"a",@progbits
	.p2align	6, 0x0
	.amdhsa_kernel _ZL24rocblas_dot_kernel_magsqIiLb1ELi1024ELi32ELb0EdPKPKddEviT5_lT_liPT6_PT4_
		.amdhsa_group_segment_fixed_size 256
		.amdhsa_private_segment_fixed_size 0
		.amdhsa_kernarg_size 320
		.amdhsa_user_sgpr_count 14
		.amdhsa_user_sgpr_dispatch_ptr 0
		.amdhsa_user_sgpr_queue_ptr 0
		.amdhsa_user_sgpr_kernarg_segment_ptr 1
		.amdhsa_user_sgpr_dispatch_id 0
		.amdhsa_user_sgpr_private_segment_size 0
		.amdhsa_wavefront_size32 1
		.amdhsa_uses_dynamic_stack 0
		.amdhsa_enable_private_segment 0
		.amdhsa_system_sgpr_workgroup_id_x 1
		.amdhsa_system_sgpr_workgroup_id_y 0
		.amdhsa_system_sgpr_workgroup_id_z 1
		.amdhsa_system_sgpr_workgroup_info 0
		.amdhsa_system_vgpr_workitem_id 0
		.amdhsa_next_free_vgpr 12
		.amdhsa_next_free_sgpr 17
		.amdhsa_reserve_vcc 1
		.amdhsa_float_round_mode_32 0
		.amdhsa_float_round_mode_16_64 0
		.amdhsa_float_denorm_mode_32 3
		.amdhsa_float_denorm_mode_16_64 3
		.amdhsa_dx10_clamp 1
		.amdhsa_ieee_mode 1
		.amdhsa_fp16_overflow 0
		.amdhsa_workgroup_processor_mode 1
		.amdhsa_memory_ordered 1
		.amdhsa_forward_progress 0
		.amdhsa_shared_vgpr_count 0
		.amdhsa_exception_fp_ieee_invalid_op 0
		.amdhsa_exception_fp_denorm_src 0
		.amdhsa_exception_fp_ieee_div_zero 0
		.amdhsa_exception_fp_ieee_overflow 0
		.amdhsa_exception_fp_ieee_underflow 0
		.amdhsa_exception_fp_ieee_inexact 0
		.amdhsa_exception_int_div_zero 0
	.end_amdhsa_kernel
	.section	.text._ZL24rocblas_dot_kernel_magsqIiLb1ELi1024ELi32ELb0EdPKPKddEviT5_lT_liPT6_PT4_,"axG",@progbits,_ZL24rocblas_dot_kernel_magsqIiLb1ELi1024ELi32ELb0EdPKPKddEviT5_lT_liPT6_PT4_,comdat
.Lfunc_end197:
	.size	_ZL24rocblas_dot_kernel_magsqIiLb1ELi1024ELi32ELb0EdPKPKddEviT5_lT_liPT6_PT4_, .Lfunc_end197-_ZL24rocblas_dot_kernel_magsqIiLb1ELi1024ELi32ELb0EdPKPKddEviT5_lT_liPT6_PT4_
                                        ; -- End function
	.section	.AMDGPU.csdata,"",@progbits
; Kernel info:
; codeLenInByte = 948
; NumSgprs: 19
; NumVgprs: 12
; ScratchSize: 0
; MemoryBound: 0
; FloatMode: 240
; IeeeMode: 1
; LDSByteSize: 256 bytes/workgroup (compile time only)
; SGPRBlocks: 2
; VGPRBlocks: 1
; NumSGPRsForWavesPerEU: 19
; NumVGPRsForWavesPerEU: 12
; Occupancy: 16
; WaveLimiterHint : 0
; COMPUTE_PGM_RSRC2:SCRATCH_EN: 0
; COMPUTE_PGM_RSRC2:USER_SGPR: 14
; COMPUTE_PGM_RSRC2:TRAP_HANDLER: 0
; COMPUTE_PGM_RSRC2:TGID_X_EN: 1
; COMPUTE_PGM_RSRC2:TGID_Y_EN: 0
; COMPUTE_PGM_RSRC2:TGID_Z_EN: 1
; COMPUTE_PGM_RSRC2:TIDIG_COMP_CNT: 0
	.section	.text._ZL38rocblas_dot_kernel_gfx942_float_doubleIiLi1024EdPKPKddEviT2_lT_lS4_lS5_lPT3_PT1_,"axG",@progbits,_ZL38rocblas_dot_kernel_gfx942_float_doubleIiLi1024EdPKPKddEviT2_lT_lS4_lS5_lPT3_PT1_,comdat
	.globl	_ZL38rocblas_dot_kernel_gfx942_float_doubleIiLi1024EdPKPKddEviT2_lT_lS4_lS5_lPT3_PT1_ ; -- Begin function _ZL38rocblas_dot_kernel_gfx942_float_doubleIiLi1024EdPKPKddEviT2_lT_lS4_lS5_lPT3_PT1_
	.p2align	8
	.type	_ZL38rocblas_dot_kernel_gfx942_float_doubleIiLi1024EdPKPKddEviT2_lT_lS4_lS5_lPT3_PT1_,@function
_ZL38rocblas_dot_kernel_gfx942_float_doubleIiLi1024EdPKPKddEviT2_lT_lS4_lS5_lPT3_PT1_: ; @_ZL38rocblas_dot_kernel_gfx942_float_doubleIiLi1024EdPKPKddEviT2_lT_lS4_lS5_lPT3_PT1_
; %bb.0:
	s_endpgm
	.section	.rodata,"a",@progbits
	.p2align	6, 0x0
	.amdhsa_kernel _ZL38rocblas_dot_kernel_gfx942_float_doubleIiLi1024EdPKPKddEviT2_lT_lS4_lS5_lPT3_PT1_
		.amdhsa_group_segment_fixed_size 0
		.amdhsa_private_segment_fixed_size 0
		.amdhsa_kernarg_size 88
		.amdhsa_user_sgpr_count 15
		.amdhsa_user_sgpr_dispatch_ptr 0
		.amdhsa_user_sgpr_queue_ptr 0
		.amdhsa_user_sgpr_kernarg_segment_ptr 1
		.amdhsa_user_sgpr_dispatch_id 0
		.amdhsa_user_sgpr_private_segment_size 0
		.amdhsa_wavefront_size32 1
		.amdhsa_uses_dynamic_stack 0
		.amdhsa_enable_private_segment 0
		.amdhsa_system_sgpr_workgroup_id_x 1
		.amdhsa_system_sgpr_workgroup_id_y 0
		.amdhsa_system_sgpr_workgroup_id_z 0
		.amdhsa_system_sgpr_workgroup_info 0
		.amdhsa_system_vgpr_workitem_id 0
		.amdhsa_next_free_vgpr 1
		.amdhsa_next_free_sgpr 1
		.amdhsa_reserve_vcc 0
		.amdhsa_float_round_mode_32 0
		.amdhsa_float_round_mode_16_64 0
		.amdhsa_float_denorm_mode_32 3
		.amdhsa_float_denorm_mode_16_64 3
		.amdhsa_dx10_clamp 1
		.amdhsa_ieee_mode 1
		.amdhsa_fp16_overflow 0
		.amdhsa_workgroup_processor_mode 1
		.amdhsa_memory_ordered 1
		.amdhsa_forward_progress 0
		.amdhsa_shared_vgpr_count 0
		.amdhsa_exception_fp_ieee_invalid_op 0
		.amdhsa_exception_fp_denorm_src 0
		.amdhsa_exception_fp_ieee_div_zero 0
		.amdhsa_exception_fp_ieee_overflow 0
		.amdhsa_exception_fp_ieee_underflow 0
		.amdhsa_exception_fp_ieee_inexact 0
		.amdhsa_exception_int_div_zero 0
	.end_amdhsa_kernel
	.section	.text._ZL38rocblas_dot_kernel_gfx942_float_doubleIiLi1024EdPKPKddEviT2_lT_lS4_lS5_lPT3_PT1_,"axG",@progbits,_ZL38rocblas_dot_kernel_gfx942_float_doubleIiLi1024EdPKPKddEviT2_lT_lS4_lS5_lPT3_PT1_,comdat
.Lfunc_end198:
	.size	_ZL38rocblas_dot_kernel_gfx942_float_doubleIiLi1024EdPKPKddEviT2_lT_lS4_lS5_lPT3_PT1_, .Lfunc_end198-_ZL38rocblas_dot_kernel_gfx942_float_doubleIiLi1024EdPKPKddEviT2_lT_lS4_lS5_lPT3_PT1_
                                        ; -- End function
	.section	.AMDGPU.csdata,"",@progbits
; Kernel info:
; codeLenInByte = 4
; NumSgprs: 0
; NumVgprs: 0
; ScratchSize: 0
; MemoryBound: 0
; FloatMode: 240
; IeeeMode: 1
; LDSByteSize: 0 bytes/workgroup (compile time only)
; SGPRBlocks: 0
; VGPRBlocks: 0
; NumSGPRsForWavesPerEU: 1
; NumVGPRsForWavesPerEU: 1
; Occupancy: 16
; WaveLimiterHint : 0
; COMPUTE_PGM_RSRC2:SCRATCH_EN: 0
; COMPUTE_PGM_RSRC2:USER_SGPR: 15
; COMPUTE_PGM_RSRC2:TRAP_HANDLER: 0
; COMPUTE_PGM_RSRC2:TGID_X_EN: 1
; COMPUTE_PGM_RSRC2:TGID_Y_EN: 0
; COMPUTE_PGM_RSRC2:TGID_Z_EN: 0
; COMPUTE_PGM_RSRC2:TIDIG_COMP_CNT: 0
	.section	.text._ZL23rocblas_dot_kernel_inc1ILb0ELi512ELi2ELb0EdPKPKddEviT4_llS4_lliPT5_PT3_,"axG",@progbits,_ZL23rocblas_dot_kernel_inc1ILb0ELi512ELi2ELb0EdPKPKddEviT4_llS4_lliPT5_PT3_,comdat
	.globl	_ZL23rocblas_dot_kernel_inc1ILb0ELi512ELi2ELb0EdPKPKddEviT4_llS4_lliPT5_PT3_ ; -- Begin function _ZL23rocblas_dot_kernel_inc1ILb0ELi512ELi2ELb0EdPKPKddEviT4_llS4_lliPT5_PT3_
	.p2align	8
	.type	_ZL23rocblas_dot_kernel_inc1ILb0ELi512ELi2ELb0EdPKPKddEviT4_llS4_lliPT5_PT3_,@function
_ZL23rocblas_dot_kernel_inc1ILb0ELi512ELi2ELb0EdPKPKddEviT4_llS4_lliPT5_PT3_: ; @_ZL23rocblas_dot_kernel_inc1ILb0ELi512ELi2ELb0EdPKPKddEviT4_llS4_lliPT5_PT3_
; %bb.0:
	s_clause 0x1
	s_load_b32 s6, s[0:1], 0x0
	s_load_b32 s3, s[0:1], 0x50
	v_mov_b32_e32 v1, 0
	v_lshl_or_b32 v3, s14, 9, v0
	v_mov_b32_e32 v2, 0
	s_mov_b32 s4, s15
	s_mov_b32 s5, 0
	s_mov_b32 s2, exec_lo
	s_waitcnt lgkmcnt(0)
	v_cmpx_gt_i32_e64 s6, v3
	s_cbranch_execz .LBB199_4
; %bb.1:
	s_clause 0x1
	s_load_b128 s[8:11], s[0:1], 0x8
	s_load_b128 s[16:19], s[0:1], 0x20
	s_lshl_b64 s[12:13], s[4:5], 3
	v_ashrrev_i32_e32 v4, 31, v3
	s_delay_alu instid0(VALU_DEP_1)
	v_lshlrev_b64 v[1:2], 3, v[3:4]
	s_waitcnt lgkmcnt(0)
	s_add_u32 s8, s8, s12
	s_addc_u32 s9, s9, s13
	s_lshl_b64 s[10:11], s[10:11], 3
	s_load_b64 s[8:9], s[8:9], 0x0
	s_waitcnt lgkmcnt(0)
	s_add_u32 s7, s8, s10
	s_addc_u32 s8, s9, s11
	s_add_u32 s10, s16, s12
	s_addc_u32 s11, s17, s13
	s_lshl_b64 s[12:13], s[18:19], 3
	s_load_b64 s[10:11], s[10:11], 0x0
	s_waitcnt lgkmcnt(0)
	s_add_u32 s9, s10, s12
	s_addc_u32 s10, s11, s13
	v_add_co_u32 v3, vcc_lo, s9, v1
	v_add_co_ci_u32_e32 v4, vcc_lo, s10, v2, vcc_lo
	v_add_co_u32 v1, vcc_lo, s7, v1
	v_add_co_ci_u32_e32 v2, vcc_lo, s8, v2, vcc_lo
	s_add_i32 s11, s14, s3
	global_load_b64 v[3:4], v[3:4], off
	global_load_b64 v[1:2], v[1:2], off
	s_waitcnt vmcnt(0)
	v_fma_f64 v[1:2], v[3:4], v[1:2], 0
	v_lshl_or_b32 v3, s11, 9, v0
	s_delay_alu instid0(VALU_DEP_1)
	v_cmp_gt_i32_e32 vcc_lo, s6, v3
	s_and_saveexec_b32 s6, vcc_lo
	s_cbranch_execz .LBB199_3
; %bb.2:
	v_ashrrev_i32_e32 v4, 31, v3
	s_delay_alu instid0(VALU_DEP_1) | instskip(NEXT) | instid1(VALU_DEP_1)
	v_lshlrev_b64 v[3:4], 3, v[3:4]
	v_add_co_u32 v5, vcc_lo, s9, v3
	s_delay_alu instid0(VALU_DEP_2)
	v_add_co_ci_u32_e32 v6, vcc_lo, s10, v4, vcc_lo
	v_add_co_u32 v3, vcc_lo, s7, v3
	v_add_co_ci_u32_e32 v4, vcc_lo, s8, v4, vcc_lo
	global_load_b64 v[5:6], v[5:6], off
	global_load_b64 v[3:4], v[3:4], off
	s_waitcnt vmcnt(0)
	v_fma_f64 v[1:2], v[5:6], v[3:4], v[1:2]
.LBB199_3:
	s_or_b32 exec_lo, exec_lo, s6
.LBB199_4:
	s_delay_alu instid0(SALU_CYCLE_1) | instskip(SKIP_2) | instid1(VALU_DEP_2)
	s_or_b32 exec_lo, exec_lo, s2
	v_and_b32_e32 v10, 31, v0
	v_cmp_gt_u32_e32 vcc_lo, 32, v0
	v_lshlrev_b32_e32 v5, 3, v10
	s_and_saveexec_b32 s2, vcc_lo
	s_cbranch_execz .LBB199_6
; %bb.5:
	v_mov_b32_e32 v3, 0
	s_delay_alu instid0(VALU_DEP_1)
	v_mov_b32_e32 v4, v3
	ds_store_b64 v5, v[3:4]
.LBB199_6:
	s_or_b32 exec_lo, exec_lo, s2
	v_mbcnt_lo_u32_b32 v9, -1, 0
	s_mov_b32 s6, exec_lo
	s_waitcnt lgkmcnt(0)
	s_barrier
	buffer_gl0_inv
	v_cmp_gt_u32_e64 s2, 16, v9
	s_delay_alu instid0(VALU_DEP_1) | instskip(SKIP_1) | instid1(VALU_DEP_2)
	v_cndmask_b32_e64 v3, 0, 1, s2
	v_cmp_gt_u32_e64 s2, 24, v9
	v_lshlrev_b32_e32 v3, 4, v3
	s_delay_alu instid0(VALU_DEP_1)
	v_add_lshl_u32 v4, v3, v9, 2
	ds_bpermute_b32 v3, v4, v1
	ds_bpermute_b32 v4, v4, v2
	s_waitcnt lgkmcnt(0)
	v_add_f64 v[1:2], v[1:2], v[3:4]
	v_cndmask_b32_e64 v3, 0, 1, s2
	v_cmp_gt_u32_e64 s2, 28, v9
	s_delay_alu instid0(VALU_DEP_2) | instskip(NEXT) | instid1(VALU_DEP_1)
	v_lshlrev_b32_e32 v3, 3, v3
	v_add_lshl_u32 v6, v3, v9, 2
	ds_bpermute_b32 v3, v6, v1
	ds_bpermute_b32 v4, v6, v2
	s_waitcnt lgkmcnt(0)
	v_add_f64 v[1:2], v[1:2], v[3:4]
	v_cndmask_b32_e64 v3, 0, 1, s2
	v_cmp_gt_u32_e64 s2, 30, v9
	s_delay_alu instid0(VALU_DEP_2) | instskip(NEXT) | instid1(VALU_DEP_1)
	v_lshlrev_b32_e32 v3, 2, v3
	v_add_lshl_u32 v7, v3, v9, 2
	ds_bpermute_b32 v3, v7, v1
	ds_bpermute_b32 v4, v7, v2
	s_waitcnt lgkmcnt(0)
	v_add_f64 v[1:2], v[1:2], v[3:4]
	v_cndmask_b32_e64 v3, 0, 1, s2
	v_cmp_ne_u32_e64 s2, 31, v9
	s_delay_alu instid0(VALU_DEP_2) | instskip(NEXT) | instid1(VALU_DEP_1)
	v_lshlrev_b32_e32 v3, 1, v3
	v_add_lshl_u32 v8, v3, v9, 2
	ds_bpermute_b32 v3, v8, v1
	ds_bpermute_b32 v4, v8, v2
	s_waitcnt lgkmcnt(0)
	v_add_f64 v[1:2], v[1:2], v[3:4]
	v_add_co_ci_u32_e64 v3, s2, 0, v9, s2
	s_delay_alu instid0(VALU_DEP_1)
	v_lshlrev_b32_e32 v9, 2, v3
	ds_bpermute_b32 v3, v9, v1
	ds_bpermute_b32 v4, v9, v2
	v_cmpx_eq_u32_e32 0, v10
	s_cbranch_execz .LBB199_8
; %bb.7:
	s_waitcnt lgkmcnt(0)
	v_add_f64 v[1:2], v[1:2], v[3:4]
	v_lshrrev_b32_e32 v3, 2, v0
	s_delay_alu instid0(VALU_DEP_1)
	v_and_b32_e32 v3, 0x78, v3
	ds_store_b64 v3, v[1:2]
.LBB199_8:
	s_or_b32 exec_lo, exec_lo, s6
	v_mov_b32_e32 v1, 0
	v_mov_b32_e32 v2, 0
	s_mov_b32 s6, exec_lo
	s_waitcnt lgkmcnt(0)
	s_barrier
	buffer_gl0_inv
	v_cmpx_gt_u32_e32 16, v0
	s_cbranch_execz .LBB199_10
; %bb.9:
	ds_load_b64 v[1:2], v5
.LBB199_10:
	s_or_b32 exec_lo, exec_lo, s6
	s_and_saveexec_b32 s2, vcc_lo
	s_cbranch_execz .LBB199_12
; %bb.11:
	s_waitcnt lgkmcnt(0)
	ds_bpermute_b32 v3, v6, v1
	ds_bpermute_b32 v4, v6, v2
	s_waitcnt lgkmcnt(0)
	v_add_f64 v[1:2], v[1:2], v[3:4]
	ds_bpermute_b32 v3, v7, v1
	ds_bpermute_b32 v4, v7, v2
	s_waitcnt lgkmcnt(0)
	v_add_f64 v[1:2], v[1:2], v[3:4]
	;; [unrolled: 4-line block ×4, first 2 shown]
.LBB199_12:
	s_or_b32 exec_lo, exec_lo, s2
	s_delay_alu instid0(SALU_CYCLE_1)
	s_mov_b32 s2, exec_lo
	v_cmpx_eq_u32_e32 0, v0
	s_cbranch_execz .LBB199_18
; %bb.13:
	s_cmp_lg_u32 s3, 1
	s_cbranch_scc0 .LBB199_15
; %bb.14:
	s_load_b64 s[6:7], s[0:1], 0x40
	s_mul_hi_u32 s9, s3, s4
	s_mul_i32 s8, s3, s4
	s_mov_b32 s15, 0
	s_lshl_b64 s[2:3], s[8:9], 3
	s_waitcnt lgkmcnt(0)
	s_add_u32 s6, s6, s2
	s_addc_u32 s7, s7, s3
	s_lshl_b64 s[2:3], s[14:15], 3
	s_delay_alu instid0(SALU_CYCLE_1)
	s_add_u32 s2, s6, s2
	s_addc_u32 s3, s7, s3
	s_cbranch_execz .LBB199_16
	s_branch .LBB199_17
.LBB199_15:
                                        ; implicit-def: $sgpr2_sgpr3
.LBB199_16:
	s_load_b64 s[0:1], s[0:1], 0x48
	s_lshl_b64 s[2:3], s[4:5], 3
	s_waitcnt lgkmcnt(0)
	s_add_u32 s2, s0, s2
	s_addc_u32 s3, s1, s3
.LBB199_17:
	v_mov_b32_e32 v0, 0
	s_waitcnt lgkmcnt(0)
	global_store_b64 v0, v[1:2], s[2:3]
.LBB199_18:
	s_nop 0
	s_sendmsg sendmsg(MSG_DEALLOC_VGPRS)
	s_endpgm
	.section	.rodata,"a",@progbits
	.p2align	6, 0x0
	.amdhsa_kernel _ZL23rocblas_dot_kernel_inc1ILb0ELi512ELi2ELb0EdPKPKddEviT4_llS4_lliPT5_PT3_
		.amdhsa_group_segment_fixed_size 256
		.amdhsa_private_segment_fixed_size 0
		.amdhsa_kernarg_size 336
		.amdhsa_user_sgpr_count 14
		.amdhsa_user_sgpr_dispatch_ptr 0
		.amdhsa_user_sgpr_queue_ptr 0
		.amdhsa_user_sgpr_kernarg_segment_ptr 1
		.amdhsa_user_sgpr_dispatch_id 0
		.amdhsa_user_sgpr_private_segment_size 0
		.amdhsa_wavefront_size32 1
		.amdhsa_uses_dynamic_stack 0
		.amdhsa_enable_private_segment 0
		.amdhsa_system_sgpr_workgroup_id_x 1
		.amdhsa_system_sgpr_workgroup_id_y 0
		.amdhsa_system_sgpr_workgroup_id_z 1
		.amdhsa_system_sgpr_workgroup_info 0
		.amdhsa_system_vgpr_workitem_id 0
		.amdhsa_next_free_vgpr 11
		.amdhsa_next_free_sgpr 20
		.amdhsa_reserve_vcc 1
		.amdhsa_float_round_mode_32 0
		.amdhsa_float_round_mode_16_64 0
		.amdhsa_float_denorm_mode_32 3
		.amdhsa_float_denorm_mode_16_64 3
		.amdhsa_dx10_clamp 1
		.amdhsa_ieee_mode 1
		.amdhsa_fp16_overflow 0
		.amdhsa_workgroup_processor_mode 1
		.amdhsa_memory_ordered 1
		.amdhsa_forward_progress 0
		.amdhsa_shared_vgpr_count 0
		.amdhsa_exception_fp_ieee_invalid_op 0
		.amdhsa_exception_fp_denorm_src 0
		.amdhsa_exception_fp_ieee_div_zero 0
		.amdhsa_exception_fp_ieee_overflow 0
		.amdhsa_exception_fp_ieee_underflow 0
		.amdhsa_exception_fp_ieee_inexact 0
		.amdhsa_exception_int_div_zero 0
	.end_amdhsa_kernel
	.section	.text._ZL23rocblas_dot_kernel_inc1ILb0ELi512ELi2ELb0EdPKPKddEviT4_llS4_lliPT5_PT3_,"axG",@progbits,_ZL23rocblas_dot_kernel_inc1ILb0ELi512ELi2ELb0EdPKPKddEviT4_llS4_lliPT5_PT3_,comdat
.Lfunc_end199:
	.size	_ZL23rocblas_dot_kernel_inc1ILb0ELi512ELi2ELb0EdPKPKddEviT4_llS4_lliPT5_PT3_, .Lfunc_end199-_ZL23rocblas_dot_kernel_inc1ILb0ELi512ELi2ELb0EdPKPKddEviT4_llS4_lliPT5_PT3_
                                        ; -- End function
	.section	.AMDGPU.csdata,"",@progbits
; Kernel info:
; codeLenInByte = 1052
; NumSgprs: 22
; NumVgprs: 11
; ScratchSize: 0
; MemoryBound: 0
; FloatMode: 240
; IeeeMode: 1
; LDSByteSize: 256 bytes/workgroup (compile time only)
; SGPRBlocks: 2
; VGPRBlocks: 1
; NumSGPRsForWavesPerEU: 22
; NumVGPRsForWavesPerEU: 11
; Occupancy: 16
; WaveLimiterHint : 1
; COMPUTE_PGM_RSRC2:SCRATCH_EN: 0
; COMPUTE_PGM_RSRC2:USER_SGPR: 14
; COMPUTE_PGM_RSRC2:TRAP_HANDLER: 0
; COMPUTE_PGM_RSRC2:TGID_X_EN: 1
; COMPUTE_PGM_RSRC2:TGID_Y_EN: 0
; COMPUTE_PGM_RSRC2:TGID_Z_EN: 1
; COMPUTE_PGM_RSRC2:TIDIG_COMP_CNT: 0
	.section	.text._ZL18rocblas_dot_kernelIiLb0ELi512ELi2ELb0EdPKPKddEviT5_lT_lS4_lS5_liPT6_PT4_,"axG",@progbits,_ZL18rocblas_dot_kernelIiLb0ELi512ELi2ELb0EdPKPKddEviT5_lT_lS4_lS5_liPT6_PT4_,comdat
	.globl	_ZL18rocblas_dot_kernelIiLb0ELi512ELi2ELb0EdPKPKddEviT5_lT_lS4_lS5_liPT6_PT4_ ; -- Begin function _ZL18rocblas_dot_kernelIiLb0ELi512ELi2ELb0EdPKPKddEviT5_lT_lS4_lS5_liPT6_PT4_
	.p2align	8
	.type	_ZL18rocblas_dot_kernelIiLb0ELi512ELi2ELb0EdPKPKddEviT5_lT_lS4_lS5_liPT6_PT4_,@function
_ZL18rocblas_dot_kernelIiLb0ELi512ELi2ELb0EdPKPKddEviT5_lT_lS4_lS5_liPT6_PT4_: ; @_ZL18rocblas_dot_kernelIiLb0ELi512ELi2ELb0EdPKPKddEviT5_lT_lS4_lS5_liPT6_PT4_
; %bb.0:
	s_clause 0x1
	s_load_b32 s6, s[0:1], 0x0
	s_load_b32 s3, s[0:1], 0x60
	v_mov_b32_e32 v1, 0
	v_lshl_or_b32 v3, s14, 9, v0
	v_mov_b32_e32 v2, 0
	s_mov_b32 s4, s15
	s_mov_b32 s5, 0
	s_mov_b32 s2, exec_lo
	s_waitcnt lgkmcnt(0)
	v_cmpx_gt_i32_e64 s6, v3
	s_cbranch_execz .LBB200_4
; %bb.1:
	s_clause 0x1
	s_load_b128 s[16:19], s[0:1], 0x8
	s_load_b32 s7, s[0:1], 0x18
	s_lshl_b64 s[12:13], s[4:5], 3
	s_waitcnt lgkmcnt(0)
	s_add_u32 s8, s16, s12
	s_addc_u32 s9, s17, s13
	s_lshl_b64 s[16:17], s[18:19], 3
	s_load_b64 s[8:9], s[8:9], 0x0
	s_clause 0x1
	s_load_b128 s[20:23], s[0:1], 0x28
	s_load_b32 s10, s[0:1], 0x38
	v_mad_i64_i32 v[4:5], null, v3, s7, 0
	s_waitcnt lgkmcnt(0)
	s_add_u32 s8, s8, s16
	s_addc_u32 s9, s9, s17
	s_add_u32 s12, s20, s12
	s_addc_u32 s13, s21, s13
	v_mad_i64_i32 v[1:2], null, v3, s10, 0
	s_load_b64 s[12:13], s[12:13], 0x0
	s_lshl_b64 s[16:17], s[22:23], 3
	v_lshlrev_b64 v[3:4], 3, v[4:5]
	s_delay_alu instid0(VALU_DEP_2) | instskip(SKIP_3) | instid1(VALU_DEP_1)
	v_lshlrev_b64 v[1:2], 3, v[1:2]
	s_waitcnt lgkmcnt(0)
	s_add_u32 s11, s12, s16
	s_addc_u32 s12, s13, s17
	v_add_co_u32 v1, vcc_lo, s11, v1
	s_delay_alu instid0(VALU_DEP_2)
	v_add_co_ci_u32_e32 v2, vcc_lo, s12, v2, vcc_lo
	v_add_co_u32 v3, vcc_lo, s8, v3
	v_add_co_ci_u32_e32 v4, vcc_lo, s9, v4, vcc_lo
	global_load_b64 v[1:2], v[1:2], off
	global_load_b64 v[3:4], v[3:4], off
	s_add_i32 s13, s14, s3
	s_waitcnt vmcnt(0)
	v_fma_f64 v[1:2], v[1:2], v[3:4], 0
	v_lshl_or_b32 v3, s13, 9, v0
	s_delay_alu instid0(VALU_DEP_1)
	v_cmp_gt_i32_e32 vcc_lo, s6, v3
	s_and_saveexec_b32 s6, vcc_lo
	s_cbranch_execz .LBB200_3
; %bb.2:
	v_mad_i64_i32 v[4:5], null, v3, s10, 0
	v_mad_i64_i32 v[6:7], null, v3, s7, 0
	s_delay_alu instid0(VALU_DEP_2) | instskip(NEXT) | instid1(VALU_DEP_2)
	v_lshlrev_b64 v[3:4], 3, v[4:5]
	v_lshlrev_b64 v[5:6], 3, v[6:7]
	s_delay_alu instid0(VALU_DEP_2) | instskip(NEXT) | instid1(VALU_DEP_3)
	v_add_co_u32 v3, vcc_lo, s11, v3
	v_add_co_ci_u32_e32 v4, vcc_lo, s12, v4, vcc_lo
	s_delay_alu instid0(VALU_DEP_3) | instskip(NEXT) | instid1(VALU_DEP_4)
	v_add_co_u32 v5, vcc_lo, s8, v5
	v_add_co_ci_u32_e32 v6, vcc_lo, s9, v6, vcc_lo
	global_load_b64 v[3:4], v[3:4], off
	global_load_b64 v[5:6], v[5:6], off
	s_waitcnt vmcnt(0)
	v_fma_f64 v[1:2], v[3:4], v[5:6], v[1:2]
.LBB200_3:
	s_or_b32 exec_lo, exec_lo, s6
.LBB200_4:
	s_delay_alu instid0(SALU_CYCLE_1) | instskip(SKIP_2) | instid1(VALU_DEP_2)
	s_or_b32 exec_lo, exec_lo, s2
	v_and_b32_e32 v10, 31, v0
	v_cmp_gt_u32_e32 vcc_lo, 32, v0
	v_lshlrev_b32_e32 v5, 3, v10
	s_and_saveexec_b32 s2, vcc_lo
	s_cbranch_execz .LBB200_6
; %bb.5:
	v_mov_b32_e32 v3, 0
	s_delay_alu instid0(VALU_DEP_1)
	v_mov_b32_e32 v4, v3
	ds_store_b64 v5, v[3:4]
.LBB200_6:
	s_or_b32 exec_lo, exec_lo, s2
	v_mbcnt_lo_u32_b32 v9, -1, 0
	s_mov_b32 s6, exec_lo
	s_waitcnt lgkmcnt(0)
	s_barrier
	buffer_gl0_inv
	v_cmp_gt_u32_e64 s2, 16, v9
	s_delay_alu instid0(VALU_DEP_1) | instskip(SKIP_1) | instid1(VALU_DEP_2)
	v_cndmask_b32_e64 v3, 0, 1, s2
	v_cmp_gt_u32_e64 s2, 24, v9
	v_lshlrev_b32_e32 v3, 4, v3
	s_delay_alu instid0(VALU_DEP_1)
	v_add_lshl_u32 v4, v3, v9, 2
	ds_bpermute_b32 v3, v4, v1
	ds_bpermute_b32 v4, v4, v2
	s_waitcnt lgkmcnt(0)
	v_add_f64 v[1:2], v[1:2], v[3:4]
	v_cndmask_b32_e64 v3, 0, 1, s2
	v_cmp_gt_u32_e64 s2, 28, v9
	s_delay_alu instid0(VALU_DEP_2) | instskip(NEXT) | instid1(VALU_DEP_1)
	v_lshlrev_b32_e32 v3, 3, v3
	v_add_lshl_u32 v6, v3, v9, 2
	ds_bpermute_b32 v3, v6, v1
	ds_bpermute_b32 v4, v6, v2
	s_waitcnt lgkmcnt(0)
	v_add_f64 v[1:2], v[1:2], v[3:4]
	v_cndmask_b32_e64 v3, 0, 1, s2
	v_cmp_gt_u32_e64 s2, 30, v9
	s_delay_alu instid0(VALU_DEP_2) | instskip(NEXT) | instid1(VALU_DEP_1)
	v_lshlrev_b32_e32 v3, 2, v3
	v_add_lshl_u32 v7, v3, v9, 2
	ds_bpermute_b32 v3, v7, v1
	ds_bpermute_b32 v4, v7, v2
	s_waitcnt lgkmcnt(0)
	v_add_f64 v[1:2], v[1:2], v[3:4]
	v_cndmask_b32_e64 v3, 0, 1, s2
	v_cmp_ne_u32_e64 s2, 31, v9
	s_delay_alu instid0(VALU_DEP_2) | instskip(NEXT) | instid1(VALU_DEP_1)
	v_lshlrev_b32_e32 v3, 1, v3
	v_add_lshl_u32 v8, v3, v9, 2
	ds_bpermute_b32 v3, v8, v1
	ds_bpermute_b32 v4, v8, v2
	s_waitcnt lgkmcnt(0)
	v_add_f64 v[1:2], v[1:2], v[3:4]
	v_add_co_ci_u32_e64 v3, s2, 0, v9, s2
	s_delay_alu instid0(VALU_DEP_1)
	v_lshlrev_b32_e32 v9, 2, v3
	ds_bpermute_b32 v3, v9, v1
	ds_bpermute_b32 v4, v9, v2
	v_cmpx_eq_u32_e32 0, v10
	s_cbranch_execz .LBB200_8
; %bb.7:
	s_waitcnt lgkmcnt(0)
	v_add_f64 v[1:2], v[1:2], v[3:4]
	v_lshrrev_b32_e32 v3, 2, v0
	s_delay_alu instid0(VALU_DEP_1)
	v_and_b32_e32 v3, 0x78, v3
	ds_store_b64 v3, v[1:2]
.LBB200_8:
	s_or_b32 exec_lo, exec_lo, s6
	v_mov_b32_e32 v1, 0
	v_mov_b32_e32 v2, 0
	s_mov_b32 s6, exec_lo
	s_waitcnt lgkmcnt(0)
	s_barrier
	buffer_gl0_inv
	v_cmpx_gt_u32_e32 16, v0
	s_cbranch_execz .LBB200_10
; %bb.9:
	ds_load_b64 v[1:2], v5
.LBB200_10:
	s_or_b32 exec_lo, exec_lo, s6
	s_and_saveexec_b32 s2, vcc_lo
	s_cbranch_execz .LBB200_12
; %bb.11:
	s_waitcnt lgkmcnt(0)
	ds_bpermute_b32 v3, v6, v1
	ds_bpermute_b32 v4, v6, v2
	s_waitcnt lgkmcnt(0)
	v_add_f64 v[1:2], v[1:2], v[3:4]
	ds_bpermute_b32 v3, v7, v1
	ds_bpermute_b32 v4, v7, v2
	s_waitcnt lgkmcnt(0)
	v_add_f64 v[1:2], v[1:2], v[3:4]
	;; [unrolled: 4-line block ×4, first 2 shown]
.LBB200_12:
	s_or_b32 exec_lo, exec_lo, s2
	s_delay_alu instid0(SALU_CYCLE_1)
	s_mov_b32 s2, exec_lo
	v_cmpx_eq_u32_e32 0, v0
	s_cbranch_execz .LBB200_18
; %bb.13:
	s_cmp_lg_u32 s3, 1
	s_cbranch_scc0 .LBB200_15
; %bb.14:
	s_load_b64 s[6:7], s[0:1], 0x50
	s_mul_hi_u32 s9, s3, s4
	s_mul_i32 s8, s3, s4
	s_mov_b32 s15, 0
	s_lshl_b64 s[2:3], s[8:9], 3
	s_waitcnt lgkmcnt(0)
	s_add_u32 s6, s6, s2
	s_addc_u32 s7, s7, s3
	s_lshl_b64 s[2:3], s[14:15], 3
	s_delay_alu instid0(SALU_CYCLE_1)
	s_add_u32 s2, s6, s2
	s_addc_u32 s3, s7, s3
	s_cbranch_execz .LBB200_16
	s_branch .LBB200_17
.LBB200_15:
                                        ; implicit-def: $sgpr2_sgpr3
.LBB200_16:
	s_load_b64 s[0:1], s[0:1], 0x58
	s_lshl_b64 s[2:3], s[4:5], 3
	s_waitcnt lgkmcnt(0)
	s_add_u32 s2, s0, s2
	s_addc_u32 s3, s1, s3
.LBB200_17:
	v_mov_b32_e32 v0, 0
	s_waitcnt lgkmcnt(0)
	global_store_b64 v0, v[1:2], s[2:3]
.LBB200_18:
	s_nop 0
	s_sendmsg sendmsg(MSG_DEALLOC_VGPRS)
	s_endpgm
	.section	.rodata,"a",@progbits
	.p2align	6, 0x0
	.amdhsa_kernel _ZL18rocblas_dot_kernelIiLb0ELi512ELi2ELb0EdPKPKddEviT5_lT_lS4_lS5_liPT6_PT4_
		.amdhsa_group_segment_fixed_size 256
		.amdhsa_private_segment_fixed_size 0
		.amdhsa_kernarg_size 352
		.amdhsa_user_sgpr_count 14
		.amdhsa_user_sgpr_dispatch_ptr 0
		.amdhsa_user_sgpr_queue_ptr 0
		.amdhsa_user_sgpr_kernarg_segment_ptr 1
		.amdhsa_user_sgpr_dispatch_id 0
		.amdhsa_user_sgpr_private_segment_size 0
		.amdhsa_wavefront_size32 1
		.amdhsa_uses_dynamic_stack 0
		.amdhsa_enable_private_segment 0
		.amdhsa_system_sgpr_workgroup_id_x 1
		.amdhsa_system_sgpr_workgroup_id_y 0
		.amdhsa_system_sgpr_workgroup_id_z 1
		.amdhsa_system_sgpr_workgroup_info 0
		.amdhsa_system_vgpr_workitem_id 0
		.amdhsa_next_free_vgpr 11
		.amdhsa_next_free_sgpr 24
		.amdhsa_reserve_vcc 1
		.amdhsa_float_round_mode_32 0
		.amdhsa_float_round_mode_16_64 0
		.amdhsa_float_denorm_mode_32 3
		.amdhsa_float_denorm_mode_16_64 3
		.amdhsa_dx10_clamp 1
		.amdhsa_ieee_mode 1
		.amdhsa_fp16_overflow 0
		.amdhsa_workgroup_processor_mode 1
		.amdhsa_memory_ordered 1
		.amdhsa_forward_progress 0
		.amdhsa_shared_vgpr_count 0
		.amdhsa_exception_fp_ieee_invalid_op 0
		.amdhsa_exception_fp_denorm_src 0
		.amdhsa_exception_fp_ieee_div_zero 0
		.amdhsa_exception_fp_ieee_overflow 0
		.amdhsa_exception_fp_ieee_underflow 0
		.amdhsa_exception_fp_ieee_inexact 0
		.amdhsa_exception_int_div_zero 0
	.end_amdhsa_kernel
	.section	.text._ZL18rocblas_dot_kernelIiLb0ELi512ELi2ELb0EdPKPKddEviT5_lT_lS4_lS5_liPT6_PT4_,"axG",@progbits,_ZL18rocblas_dot_kernelIiLb0ELi512ELi2ELb0EdPKPKddEviT5_lT_lS4_lS5_liPT6_PT4_,comdat
.Lfunc_end200:
	.size	_ZL18rocblas_dot_kernelIiLb0ELi512ELi2ELb0EdPKPKddEviT5_lT_lS4_lS5_liPT6_PT4_, .Lfunc_end200-_ZL18rocblas_dot_kernelIiLb0ELi512ELi2ELb0EdPKPKddEviT5_lT_lS4_lS5_liPT6_PT4_
                                        ; -- End function
	.section	.AMDGPU.csdata,"",@progbits
; Kernel info:
; codeLenInByte = 1120
; NumSgprs: 26
; NumVgprs: 11
; ScratchSize: 0
; MemoryBound: 0
; FloatMode: 240
; IeeeMode: 1
; LDSByteSize: 256 bytes/workgroup (compile time only)
; SGPRBlocks: 3
; VGPRBlocks: 1
; NumSGPRsForWavesPerEU: 26
; NumVGPRsForWavesPerEU: 11
; Occupancy: 16
; WaveLimiterHint : 1
; COMPUTE_PGM_RSRC2:SCRATCH_EN: 0
; COMPUTE_PGM_RSRC2:USER_SGPR: 14
; COMPUTE_PGM_RSRC2:TRAP_HANDLER: 0
; COMPUTE_PGM_RSRC2:TGID_X_EN: 1
; COMPUTE_PGM_RSRC2:TGID_Y_EN: 0
; COMPUTE_PGM_RSRC2:TGID_Z_EN: 1
; COMPUTE_PGM_RSRC2:TIDIG_COMP_CNT: 0
	.section	.text._ZL24rocblas_dot_kernel_magsqIiLb0ELi512ELi2ELb0EdPKPKddEviT5_lT_liPT6_PT4_,"axG",@progbits,_ZL24rocblas_dot_kernel_magsqIiLb0ELi512ELi2ELb0EdPKPKddEviT5_lT_liPT6_PT4_,comdat
	.globl	_ZL24rocblas_dot_kernel_magsqIiLb0ELi512ELi2ELb0EdPKPKddEviT5_lT_liPT6_PT4_ ; -- Begin function _ZL24rocblas_dot_kernel_magsqIiLb0ELi512ELi2ELb0EdPKPKddEviT5_lT_liPT6_PT4_
	.p2align	8
	.type	_ZL24rocblas_dot_kernel_magsqIiLb0ELi512ELi2ELb0EdPKPKddEviT5_lT_liPT6_PT4_,@function
_ZL24rocblas_dot_kernel_magsqIiLb0ELi512ELi2ELb0EdPKPKddEviT5_lT_liPT6_PT4_: ; @_ZL24rocblas_dot_kernel_magsqIiLb0ELi512ELi2ELb0EdPKPKddEviT5_lT_liPT6_PT4_
; %bb.0:
	s_clause 0x1
	s_load_b32 s6, s[0:1], 0x0
	s_load_b32 s3, s[0:1], 0x40
	v_mov_b32_e32 v1, 0
	v_lshl_or_b32 v3, s14, 9, v0
	v_mov_b32_e32 v2, 0
	s_mov_b32 s4, s15
	s_mov_b32 s5, 0
	s_mov_b32 s2, exec_lo
	s_waitcnt lgkmcnt(0)
	v_cmpx_gt_i32_e64 s6, v3
	s_cbranch_execz .LBB201_4
; %bb.1:
	s_clause 0x1
	s_load_b128 s[8:11], s[0:1], 0x8
	s_load_b32 s7, s[0:1], 0x18
	s_lshl_b64 s[12:13], s[4:5], 3
	s_waitcnt lgkmcnt(0)
	s_add_u32 s8, s8, s12
	s_addc_u32 s9, s9, s13
	v_mad_i64_i32 v[1:2], null, v3, s7, 0
	s_load_b64 s[8:9], s[8:9], 0x0
	s_lshl_b64 s[10:11], s[10:11], 3
	s_delay_alu instid0(VALU_DEP_1) | instskip(SKIP_3) | instid1(VALU_DEP_1)
	v_lshlrev_b64 v[1:2], 3, v[1:2]
	s_waitcnt lgkmcnt(0)
	s_add_u32 s8, s8, s10
	s_addc_u32 s9, s9, s11
	v_add_co_u32 v1, vcc_lo, s8, v1
	s_delay_alu instid0(VALU_DEP_2) | instskip(SKIP_1) | instid1(SALU_CYCLE_1)
	v_add_co_ci_u32_e32 v2, vcc_lo, s9, v2, vcc_lo
	s_add_i32 s10, s14, s3
	v_lshl_or_b32 v3, s10, 9, v0
	global_load_b64 v[1:2], v[1:2], off
	v_cmp_gt_i32_e32 vcc_lo, s6, v3
	s_waitcnt vmcnt(0)
	v_mul_f64 v[1:2], v[1:2], v[1:2]
	s_and_saveexec_b32 s6, vcc_lo
	s_cbranch_execz .LBB201_3
; %bb.2:
	v_mad_i64_i32 v[4:5], null, v3, s7, 0
	s_delay_alu instid0(VALU_DEP_1) | instskip(NEXT) | instid1(VALU_DEP_1)
	v_lshlrev_b64 v[3:4], 3, v[4:5]
	v_add_co_u32 v3, vcc_lo, s8, v3
	s_delay_alu instid0(VALU_DEP_2)
	v_add_co_ci_u32_e32 v4, vcc_lo, s9, v4, vcc_lo
	global_load_b64 v[3:4], v[3:4], off
	s_waitcnt vmcnt(0)
	v_fma_f64 v[1:2], v[3:4], v[3:4], v[1:2]
.LBB201_3:
	s_or_b32 exec_lo, exec_lo, s6
.LBB201_4:
	s_delay_alu instid0(SALU_CYCLE_1) | instskip(SKIP_2) | instid1(VALU_DEP_2)
	s_or_b32 exec_lo, exec_lo, s2
	v_and_b32_e32 v10, 31, v0
	v_cmp_gt_u32_e32 vcc_lo, 32, v0
	v_lshlrev_b32_e32 v5, 3, v10
	s_and_saveexec_b32 s2, vcc_lo
	s_cbranch_execz .LBB201_6
; %bb.5:
	v_mov_b32_e32 v3, 0
	s_delay_alu instid0(VALU_DEP_1)
	v_mov_b32_e32 v4, v3
	ds_store_b64 v5, v[3:4]
.LBB201_6:
	s_or_b32 exec_lo, exec_lo, s2
	v_mbcnt_lo_u32_b32 v9, -1, 0
	s_mov_b32 s6, exec_lo
	s_waitcnt lgkmcnt(0)
	s_barrier
	buffer_gl0_inv
	v_cmp_gt_u32_e64 s2, 16, v9
	s_delay_alu instid0(VALU_DEP_1) | instskip(SKIP_1) | instid1(VALU_DEP_2)
	v_cndmask_b32_e64 v3, 0, 1, s2
	v_cmp_gt_u32_e64 s2, 24, v9
	v_lshlrev_b32_e32 v3, 4, v3
	s_delay_alu instid0(VALU_DEP_1)
	v_add_lshl_u32 v4, v3, v9, 2
	ds_bpermute_b32 v3, v4, v1
	ds_bpermute_b32 v4, v4, v2
	s_waitcnt lgkmcnt(0)
	v_add_f64 v[1:2], v[1:2], v[3:4]
	v_cndmask_b32_e64 v3, 0, 1, s2
	v_cmp_gt_u32_e64 s2, 28, v9
	s_delay_alu instid0(VALU_DEP_2) | instskip(NEXT) | instid1(VALU_DEP_1)
	v_lshlrev_b32_e32 v3, 3, v3
	v_add_lshl_u32 v6, v3, v9, 2
	ds_bpermute_b32 v3, v6, v1
	ds_bpermute_b32 v4, v6, v2
	s_waitcnt lgkmcnt(0)
	v_add_f64 v[1:2], v[1:2], v[3:4]
	v_cndmask_b32_e64 v3, 0, 1, s2
	v_cmp_gt_u32_e64 s2, 30, v9
	s_delay_alu instid0(VALU_DEP_2) | instskip(NEXT) | instid1(VALU_DEP_1)
	v_lshlrev_b32_e32 v3, 2, v3
	v_add_lshl_u32 v7, v3, v9, 2
	ds_bpermute_b32 v3, v7, v1
	ds_bpermute_b32 v4, v7, v2
	s_waitcnt lgkmcnt(0)
	v_add_f64 v[1:2], v[1:2], v[3:4]
	v_cndmask_b32_e64 v3, 0, 1, s2
	v_cmp_ne_u32_e64 s2, 31, v9
	s_delay_alu instid0(VALU_DEP_2) | instskip(NEXT) | instid1(VALU_DEP_1)
	v_lshlrev_b32_e32 v3, 1, v3
	v_add_lshl_u32 v8, v3, v9, 2
	ds_bpermute_b32 v3, v8, v1
	ds_bpermute_b32 v4, v8, v2
	s_waitcnt lgkmcnt(0)
	v_add_f64 v[1:2], v[1:2], v[3:4]
	v_add_co_ci_u32_e64 v3, s2, 0, v9, s2
	s_delay_alu instid0(VALU_DEP_1)
	v_lshlrev_b32_e32 v9, 2, v3
	ds_bpermute_b32 v3, v9, v1
	ds_bpermute_b32 v4, v9, v2
	v_cmpx_eq_u32_e32 0, v10
	s_cbranch_execz .LBB201_8
; %bb.7:
	s_waitcnt lgkmcnt(0)
	v_add_f64 v[1:2], v[1:2], v[3:4]
	v_lshrrev_b32_e32 v3, 2, v0
	s_delay_alu instid0(VALU_DEP_1)
	v_and_b32_e32 v3, 0x78, v3
	ds_store_b64 v3, v[1:2]
.LBB201_8:
	s_or_b32 exec_lo, exec_lo, s6
	v_mov_b32_e32 v1, 0
	v_mov_b32_e32 v2, 0
	s_mov_b32 s6, exec_lo
	s_waitcnt lgkmcnt(0)
	s_barrier
	buffer_gl0_inv
	v_cmpx_gt_u32_e32 16, v0
	s_cbranch_execz .LBB201_10
; %bb.9:
	ds_load_b64 v[1:2], v5
.LBB201_10:
	s_or_b32 exec_lo, exec_lo, s6
	s_and_saveexec_b32 s2, vcc_lo
	s_cbranch_execz .LBB201_12
; %bb.11:
	s_waitcnt lgkmcnt(0)
	ds_bpermute_b32 v3, v6, v1
	ds_bpermute_b32 v4, v6, v2
	s_waitcnt lgkmcnt(0)
	v_add_f64 v[1:2], v[1:2], v[3:4]
	ds_bpermute_b32 v3, v7, v1
	ds_bpermute_b32 v4, v7, v2
	s_waitcnt lgkmcnt(0)
	v_add_f64 v[1:2], v[1:2], v[3:4]
	;; [unrolled: 4-line block ×4, first 2 shown]
.LBB201_12:
	s_or_b32 exec_lo, exec_lo, s2
	s_delay_alu instid0(SALU_CYCLE_1)
	s_mov_b32 s2, exec_lo
	v_cmpx_eq_u32_e32 0, v0
	s_cbranch_execz .LBB201_18
; %bb.13:
	s_cmp_lg_u32 s3, 1
	s_cbranch_scc0 .LBB201_15
; %bb.14:
	s_load_b64 s[6:7], s[0:1], 0x30
	s_mul_hi_u32 s9, s3, s4
	s_mul_i32 s8, s3, s4
	s_mov_b32 s15, 0
	s_lshl_b64 s[2:3], s[8:9], 3
	s_waitcnt lgkmcnt(0)
	s_add_u32 s6, s6, s2
	s_addc_u32 s7, s7, s3
	s_lshl_b64 s[2:3], s[14:15], 3
	s_delay_alu instid0(SALU_CYCLE_1)
	s_add_u32 s2, s6, s2
	s_addc_u32 s3, s7, s3
	s_cbranch_execz .LBB201_16
	s_branch .LBB201_17
.LBB201_15:
                                        ; implicit-def: $sgpr2_sgpr3
.LBB201_16:
	s_load_b64 s[0:1], s[0:1], 0x38
	s_lshl_b64 s[2:3], s[4:5], 3
	s_waitcnt lgkmcnt(0)
	s_add_u32 s2, s0, s2
	s_addc_u32 s3, s1, s3
.LBB201_17:
	v_mov_b32_e32 v0, 0
	s_waitcnt lgkmcnt(0)
	global_store_b64 v0, v[1:2], s[2:3]
.LBB201_18:
	s_nop 0
	s_sendmsg sendmsg(MSG_DEALLOC_VGPRS)
	s_endpgm
	.section	.rodata,"a",@progbits
	.p2align	6, 0x0
	.amdhsa_kernel _ZL24rocblas_dot_kernel_magsqIiLb0ELi512ELi2ELb0EdPKPKddEviT5_lT_liPT6_PT4_
		.amdhsa_group_segment_fixed_size 256
		.amdhsa_private_segment_fixed_size 0
		.amdhsa_kernarg_size 320
		.amdhsa_user_sgpr_count 14
		.amdhsa_user_sgpr_dispatch_ptr 0
		.amdhsa_user_sgpr_queue_ptr 0
		.amdhsa_user_sgpr_kernarg_segment_ptr 1
		.amdhsa_user_sgpr_dispatch_id 0
		.amdhsa_user_sgpr_private_segment_size 0
		.amdhsa_wavefront_size32 1
		.amdhsa_uses_dynamic_stack 0
		.amdhsa_enable_private_segment 0
		.amdhsa_system_sgpr_workgroup_id_x 1
		.amdhsa_system_sgpr_workgroup_id_y 0
		.amdhsa_system_sgpr_workgroup_id_z 1
		.amdhsa_system_sgpr_workgroup_info 0
		.amdhsa_system_vgpr_workitem_id 0
		.amdhsa_next_free_vgpr 11
		.amdhsa_next_free_sgpr 16
		.amdhsa_reserve_vcc 1
		.amdhsa_float_round_mode_32 0
		.amdhsa_float_round_mode_16_64 0
		.amdhsa_float_denorm_mode_32 3
		.amdhsa_float_denorm_mode_16_64 3
		.amdhsa_dx10_clamp 1
		.amdhsa_ieee_mode 1
		.amdhsa_fp16_overflow 0
		.amdhsa_workgroup_processor_mode 1
		.amdhsa_memory_ordered 1
		.amdhsa_forward_progress 0
		.amdhsa_shared_vgpr_count 0
		.amdhsa_exception_fp_ieee_invalid_op 0
		.amdhsa_exception_fp_denorm_src 0
		.amdhsa_exception_fp_ieee_div_zero 0
		.amdhsa_exception_fp_ieee_overflow 0
		.amdhsa_exception_fp_ieee_underflow 0
		.amdhsa_exception_fp_ieee_inexact 0
		.amdhsa_exception_int_div_zero 0
	.end_amdhsa_kernel
	.section	.text._ZL24rocblas_dot_kernel_magsqIiLb0ELi512ELi2ELb0EdPKPKddEviT5_lT_liPT6_PT4_,"axG",@progbits,_ZL24rocblas_dot_kernel_magsqIiLb0ELi512ELi2ELb0EdPKPKddEviT5_lT_liPT6_PT4_,comdat
.Lfunc_end201:
	.size	_ZL24rocblas_dot_kernel_magsqIiLb0ELi512ELi2ELb0EdPKPKddEviT5_lT_liPT6_PT4_, .Lfunc_end201-_ZL24rocblas_dot_kernel_magsqIiLb0ELi512ELi2ELb0EdPKPKddEviT5_lT_liPT6_PT4_
                                        ; -- End function
	.section	.AMDGPU.csdata,"",@progbits
; Kernel info:
; codeLenInByte = 988
; NumSgprs: 18
; NumVgprs: 11
; ScratchSize: 0
; MemoryBound: 0
; FloatMode: 240
; IeeeMode: 1
; LDSByteSize: 256 bytes/workgroup (compile time only)
; SGPRBlocks: 2
; VGPRBlocks: 1
; NumSGPRsForWavesPerEU: 18
; NumVGPRsForWavesPerEU: 11
; Occupancy: 16
; WaveLimiterHint : 1
; COMPUTE_PGM_RSRC2:SCRATCH_EN: 0
; COMPUTE_PGM_RSRC2:USER_SGPR: 14
; COMPUTE_PGM_RSRC2:TRAP_HANDLER: 0
; COMPUTE_PGM_RSRC2:TGID_X_EN: 1
; COMPUTE_PGM_RSRC2:TGID_Y_EN: 0
; COMPUTE_PGM_RSRC2:TGID_Z_EN: 1
; COMPUTE_PGM_RSRC2:TIDIG_COMP_CNT: 0
	.section	.text._ZL28rocblas_dot_batched_4_kernelIlLi32ELi4ELb0EddPKPKdEviT5_lT_lS4_lS5_liPT4_,"axG",@progbits,_ZL28rocblas_dot_batched_4_kernelIlLi32ELi4ELb0EddPKPKdEviT5_lT_lS4_lS5_liPT4_,comdat
	.globl	_ZL28rocblas_dot_batched_4_kernelIlLi32ELi4ELb0EddPKPKdEviT5_lT_lS4_lS5_liPT4_ ; -- Begin function _ZL28rocblas_dot_batched_4_kernelIlLi32ELi4ELb0EddPKPKdEviT5_lT_lS4_lS5_liPT4_
	.p2align	8
	.type	_ZL28rocblas_dot_batched_4_kernelIlLi32ELi4ELb0EddPKPKdEviT5_lT_lS4_lS5_liPT4_,@function
_ZL28rocblas_dot_batched_4_kernelIlLi32ELi4ELb0EddPKPKdEviT5_lT_lS4_lS5_liPT4_: ; @_ZL28rocblas_dot_batched_4_kernelIlLi32ELi4ELb0EddPKPKdEviT5_lT_lS4_lS5_liPT4_
; %bb.0:
	s_load_b32 s2, s[0:1], 0x48
	v_bfe_u32 v1, v0, 10, 10
	s_delay_alu instid0(VALU_DEP_1) | instskip(SKIP_1) | instid1(VALU_DEP_1)
	v_lshl_add_u32 v4, s15, 2, v1
	s_waitcnt lgkmcnt(0)
	v_cmp_gt_u32_e32 vcc_lo, s2, v4
	s_and_saveexec_b32 s2, vcc_lo
	s_cbranch_execz .LBB202_7
; %bb.1:
	s_clause 0x1
	s_load_b32 s10, s[0:1], 0x0
	s_load_b64 s[8:9], s[0:1], 0x50
	v_dual_mov_b32 v5, 0 :: v_dual_and_b32 v8, 0x3ff, v0
	v_mov_b32_e32 v2, 0
	v_mov_b32_e32 v3, 0
	s_mov_b32 s11, exec_lo
	s_delay_alu instid0(VALU_DEP_3)
	v_lshlrev_b64 v[0:1], 3, v[4:5]
	s_waitcnt lgkmcnt(0)
	v_cmpx_gt_i32_e64 s10, v8
	s_cbranch_execz .LBB202_5
; %bb.2:
	s_clause 0x3
	s_load_b64 s[12:13], s[0:1], 0x8
	s_load_b64 s[14:15], s[0:1], 0x28
	s_load_b128 s[4:7], s[0:1], 0x10
	s_load_b128 s[0:3], s[0:1], 0x30
	s_waitcnt lgkmcnt(0)
	v_add_co_u32 v2, vcc_lo, s12, v0
	v_add_co_ci_u32_e32 v3, vcc_lo, s13, v1, vcc_lo
	v_add_co_u32 v4, vcc_lo, s14, v0
	v_add_co_ci_u32_e32 v5, vcc_lo, s15, v1, vcc_lo
	s_lshl_b64 s[4:5], s[4:5], 3
	global_load_b64 v[6:7], v[2:3], off
	global_load_b64 v[9:10], v[4:5], off
	v_mad_u64_u32 v[2:3], null, s6, v8, 0
	v_mad_u64_u32 v[4:5], null, s2, v8, 0
	s_lshl_b64 s[0:1], s[0:1], 3
	s_delay_alu instid0(VALU_DEP_1) | instskip(NEXT) | instid1(VALU_DEP_1)
	v_mad_u64_u32 v[11:12], null, s7, v8, v[3:4]
	v_mov_b32_e32 v3, v11
	s_waitcnt vmcnt(1)
	s_delay_alu instid0(VALU_DEP_3) | instskip(SKIP_1) | instid1(VALU_DEP_1)
	v_mad_u64_u32 v[12:13], null, s3, v8, v[5:6]
	s_lshl_b64 s[2:3], s[2:3], 8
	v_mov_b32_e32 v5, v12
	v_lshlrev_b64 v[11:12], 3, v[2:3]
	v_mov_b32_e32 v2, 0
	v_mov_b32_e32 v3, 0
	s_delay_alu instid0(VALU_DEP_4) | instskip(NEXT) | instid1(VALU_DEP_4)
	v_lshlrev_b64 v[4:5], 3, v[4:5]
	v_add_co_u32 v11, vcc_lo, v11, s4
	v_add_co_ci_u32_e32 v12, vcc_lo, s5, v12, vcc_lo
	s_delay_alu instid0(VALU_DEP_3) | instskip(NEXT) | instid1(VALU_DEP_4)
	v_add_co_u32 v13, vcc_lo, v4, s0
	v_add_co_ci_u32_e32 v14, vcc_lo, s1, v5, vcc_lo
	s_delay_alu instid0(VALU_DEP_4) | instskip(NEXT) | instid1(VALU_DEP_4)
	v_add_co_u32 v4, vcc_lo, v6, v11
	v_add_co_ci_u32_e32 v5, vcc_lo, v7, v12, vcc_lo
	s_waitcnt vmcnt(0)
	v_add_co_u32 v6, vcc_lo, v9, v13
	v_add_co_ci_u32_e32 v7, vcc_lo, v10, v14, vcc_lo
	v_mov_b32_e32 v9, v8
	s_lshl_b64 s[4:5], s[6:7], 8
	s_mov_b32 s1, 0
	.p2align	6
.LBB202_3:                              ; =>This Inner Loop Header: Depth=1
	global_load_b64 v[10:11], v[4:5], off
	global_load_b64 v[12:13], v[6:7], off
	v_add_nc_u32_e32 v9, 32, v9
	v_add_co_u32 v4, vcc_lo, v4, s4
	v_add_co_ci_u32_e32 v5, vcc_lo, s5, v5, vcc_lo
	s_delay_alu instid0(VALU_DEP_3) | instskip(SKIP_1) | instid1(VALU_DEP_1)
	v_cmp_le_i32_e32 vcc_lo, s10, v9
	v_add_co_u32 v6, s0, v6, s2
	v_add_co_ci_u32_e64 v7, s0, s3, v7, s0
	s_or_b32 s1, vcc_lo, s1
	s_waitcnt vmcnt(0)
	v_fma_f64 v[2:3], v[10:11], v[12:13], v[2:3]
	s_and_not1_b32 exec_lo, exec_lo, s1
	s_cbranch_execnz .LBB202_3
; %bb.4:
	s_or_b32 exec_lo, exec_lo, s1
.LBB202_5:
	s_delay_alu instid0(SALU_CYCLE_1)
	s_or_b32 exec_lo, exec_lo, s11
	v_mbcnt_lo_u32_b32 v6, -1, 0
	s_barrier
	buffer_gl0_inv
	v_cmp_gt_u32_e32 vcc_lo, 16, v6
	v_cndmask_b32_e64 v4, 0, 1, vcc_lo
	v_cmp_gt_u32_e32 vcc_lo, 24, v6
	s_delay_alu instid0(VALU_DEP_2) | instskip(NEXT) | instid1(VALU_DEP_1)
	v_lshlrev_b32_e32 v4, 4, v4
	v_add_lshl_u32 v5, v4, v6, 2
	ds_bpermute_b32 v4, v5, v2
	ds_bpermute_b32 v5, v5, v3
	s_waitcnt lgkmcnt(0)
	v_add_f64 v[2:3], v[2:3], v[4:5]
	v_cndmask_b32_e64 v4, 0, 1, vcc_lo
	v_cmp_gt_u32_e32 vcc_lo, 28, v6
	s_delay_alu instid0(VALU_DEP_2) | instskip(NEXT) | instid1(VALU_DEP_1)
	v_lshlrev_b32_e32 v4, 3, v4
	v_add_lshl_u32 v5, v4, v6, 2
	ds_bpermute_b32 v4, v5, v2
	ds_bpermute_b32 v5, v5, v3
	s_waitcnt lgkmcnt(0)
	v_add_f64 v[2:3], v[2:3], v[4:5]
	;; [unrolled: 9-line block ×3, first 2 shown]
	v_cndmask_b32_e64 v4, 0, 1, vcc_lo
	v_cmp_ne_u32_e32 vcc_lo, 31, v6
	s_delay_alu instid0(VALU_DEP_2) | instskip(NEXT) | instid1(VALU_DEP_1)
	v_lshlrev_b32_e32 v4, 1, v4
	v_add_lshl_u32 v5, v4, v6, 2
	ds_bpermute_b32 v4, v5, v2
	ds_bpermute_b32 v5, v5, v3
	s_waitcnt lgkmcnt(0)
	v_add_f64 v[2:3], v[2:3], v[4:5]
	v_add_co_ci_u32_e32 v4, vcc_lo, 0, v6, vcc_lo
	v_cmp_eq_u32_e32 vcc_lo, 0, v8
	s_delay_alu instid0(VALU_DEP_2)
	v_lshlrev_b32_e32 v5, 2, v4
	ds_bpermute_b32 v4, v5, v2
	ds_bpermute_b32 v5, v5, v3
	s_and_b32 exec_lo, exec_lo, vcc_lo
	s_cbranch_execz .LBB202_7
; %bb.6:
	s_waitcnt lgkmcnt(0)
	v_add_f64 v[2:3], v[2:3], v[4:5]
	v_add_co_u32 v0, vcc_lo, s8, v0
	v_add_co_ci_u32_e32 v1, vcc_lo, s9, v1, vcc_lo
	global_store_b64 v[0:1], v[2:3], off
.LBB202_7:
	s_nop 0
	s_sendmsg sendmsg(MSG_DEALLOC_VGPRS)
	s_endpgm
	.section	.rodata,"a",@progbits
	.p2align	6, 0x0
	.amdhsa_kernel _ZL28rocblas_dot_batched_4_kernelIlLi32ELi4ELb0EddPKPKdEviT5_lT_lS4_lS5_liPT4_
		.amdhsa_group_segment_fixed_size 0
		.amdhsa_private_segment_fixed_size 0
		.amdhsa_kernarg_size 88
		.amdhsa_user_sgpr_count 15
		.amdhsa_user_sgpr_dispatch_ptr 0
		.amdhsa_user_sgpr_queue_ptr 0
		.amdhsa_user_sgpr_kernarg_segment_ptr 1
		.amdhsa_user_sgpr_dispatch_id 0
		.amdhsa_user_sgpr_private_segment_size 0
		.amdhsa_wavefront_size32 1
		.amdhsa_uses_dynamic_stack 0
		.amdhsa_enable_private_segment 0
		.amdhsa_system_sgpr_workgroup_id_x 1
		.amdhsa_system_sgpr_workgroup_id_y 0
		.amdhsa_system_sgpr_workgroup_id_z 0
		.amdhsa_system_sgpr_workgroup_info 0
		.amdhsa_system_vgpr_workitem_id 1
		.amdhsa_next_free_vgpr 15
		.amdhsa_next_free_sgpr 16
		.amdhsa_reserve_vcc 1
		.amdhsa_float_round_mode_32 0
		.amdhsa_float_round_mode_16_64 0
		.amdhsa_float_denorm_mode_32 3
		.amdhsa_float_denorm_mode_16_64 3
		.amdhsa_dx10_clamp 1
		.amdhsa_ieee_mode 1
		.amdhsa_fp16_overflow 0
		.amdhsa_workgroup_processor_mode 1
		.amdhsa_memory_ordered 1
		.amdhsa_forward_progress 0
		.amdhsa_shared_vgpr_count 0
		.amdhsa_exception_fp_ieee_invalid_op 0
		.amdhsa_exception_fp_denorm_src 0
		.amdhsa_exception_fp_ieee_div_zero 0
		.amdhsa_exception_fp_ieee_overflow 0
		.amdhsa_exception_fp_ieee_underflow 0
		.amdhsa_exception_fp_ieee_inexact 0
		.amdhsa_exception_int_div_zero 0
	.end_amdhsa_kernel
	.section	.text._ZL28rocblas_dot_batched_4_kernelIlLi32ELi4ELb0EddPKPKdEviT5_lT_lS4_lS5_liPT4_,"axG",@progbits,_ZL28rocblas_dot_batched_4_kernelIlLi32ELi4ELb0EddPKPKdEviT5_lT_lS4_lS5_liPT4_,comdat
.Lfunc_end202:
	.size	_ZL28rocblas_dot_batched_4_kernelIlLi32ELi4ELb0EddPKPKdEviT5_lT_lS4_lS5_liPT4_, .Lfunc_end202-_ZL28rocblas_dot_batched_4_kernelIlLi32ELi4ELb0EddPKPKdEviT5_lT_lS4_lS5_liPT4_
                                        ; -- End function
	.section	.AMDGPU.csdata,"",@progbits
; Kernel info:
; codeLenInByte = 784
; NumSgprs: 18
; NumVgprs: 15
; ScratchSize: 0
; MemoryBound: 0
; FloatMode: 240
; IeeeMode: 1
; LDSByteSize: 0 bytes/workgroup (compile time only)
; SGPRBlocks: 2
; VGPRBlocks: 1
; NumSGPRsForWavesPerEU: 18
; NumVGPRsForWavesPerEU: 15
; Occupancy: 16
; WaveLimiterHint : 0
; COMPUTE_PGM_RSRC2:SCRATCH_EN: 0
; COMPUTE_PGM_RSRC2:USER_SGPR: 15
; COMPUTE_PGM_RSRC2:TRAP_HANDLER: 0
; COMPUTE_PGM_RSRC2:TGID_X_EN: 1
; COMPUTE_PGM_RSRC2:TGID_Y_EN: 0
; COMPUTE_PGM_RSRC2:TGID_Z_EN: 0
; COMPUTE_PGM_RSRC2:TIDIG_COMP_CNT: 1
	.section	.text._ZL28rocblas_dot_batched_4_kernelIlLi64ELi4ELb0EddPKPKdEviT5_lT_lS4_lS5_liPT4_,"axG",@progbits,_ZL28rocblas_dot_batched_4_kernelIlLi64ELi4ELb0EddPKPKdEviT5_lT_lS4_lS5_liPT4_,comdat
	.globl	_ZL28rocblas_dot_batched_4_kernelIlLi64ELi4ELb0EddPKPKdEviT5_lT_lS4_lS5_liPT4_ ; -- Begin function _ZL28rocblas_dot_batched_4_kernelIlLi64ELi4ELb0EddPKPKdEviT5_lT_lS4_lS5_liPT4_
	.p2align	8
	.type	_ZL28rocblas_dot_batched_4_kernelIlLi64ELi4ELb0EddPKPKdEviT5_lT_lS4_lS5_liPT4_,@function
_ZL28rocblas_dot_batched_4_kernelIlLi64ELi4ELb0EddPKPKdEviT5_lT_lS4_lS5_liPT4_: ; @_ZL28rocblas_dot_batched_4_kernelIlLi64ELi4ELb0EddPKPKdEviT5_lT_lS4_lS5_liPT4_
; %bb.0:
	s_load_b32 s2, s[0:1], 0x48
	v_bfe_u32 v1, v0, 10, 10
	s_delay_alu instid0(VALU_DEP_1) | instskip(SKIP_1) | instid1(VALU_DEP_1)
	v_lshl_add_u32 v4, s15, 2, v1
	s_waitcnt lgkmcnt(0)
	v_cmp_gt_u32_e32 vcc_lo, s2, v4
	s_and_saveexec_b32 s2, vcc_lo
	s_cbranch_execz .LBB203_7
; %bb.1:
	s_clause 0x1
	s_load_b32 s10, s[0:1], 0x0
	s_load_b64 s[8:9], s[0:1], 0x50
	v_dual_mov_b32 v5, 0 :: v_dual_and_b32 v8, 0x3ff, v0
	v_mov_b32_e32 v2, 0
	v_mov_b32_e32 v3, 0
	s_mov_b32 s11, exec_lo
	s_delay_alu instid0(VALU_DEP_3)
	v_lshlrev_b64 v[0:1], 3, v[4:5]
	s_waitcnt lgkmcnt(0)
	v_cmpx_gt_i32_e64 s10, v8
	s_cbranch_execz .LBB203_5
; %bb.2:
	s_clause 0x3
	s_load_b64 s[12:13], s[0:1], 0x8
	s_load_b64 s[14:15], s[0:1], 0x28
	s_load_b128 s[4:7], s[0:1], 0x10
	s_load_b128 s[0:3], s[0:1], 0x30
	s_waitcnt lgkmcnt(0)
	v_add_co_u32 v2, vcc_lo, s12, v0
	v_add_co_ci_u32_e32 v3, vcc_lo, s13, v1, vcc_lo
	v_add_co_u32 v4, vcc_lo, s14, v0
	v_add_co_ci_u32_e32 v5, vcc_lo, s15, v1, vcc_lo
	s_lshl_b64 s[4:5], s[4:5], 3
	global_load_b64 v[6:7], v[2:3], off
	global_load_b64 v[9:10], v[4:5], off
	v_mad_u64_u32 v[2:3], null, s6, v8, 0
	v_mad_u64_u32 v[4:5], null, s2, v8, 0
	s_lshl_b64 s[0:1], s[0:1], 3
	s_delay_alu instid0(VALU_DEP_1) | instskip(NEXT) | instid1(VALU_DEP_1)
	v_mad_u64_u32 v[11:12], null, s7, v8, v[3:4]
	v_mov_b32_e32 v3, v11
	s_waitcnt vmcnt(1)
	s_delay_alu instid0(VALU_DEP_3) | instskip(SKIP_1) | instid1(VALU_DEP_1)
	v_mad_u64_u32 v[12:13], null, s3, v8, v[5:6]
	s_lshl_b64 s[2:3], s[2:3], 9
	v_mov_b32_e32 v5, v12
	v_lshlrev_b64 v[11:12], 3, v[2:3]
	v_mov_b32_e32 v2, 0
	v_mov_b32_e32 v3, 0
	s_delay_alu instid0(VALU_DEP_4) | instskip(NEXT) | instid1(VALU_DEP_4)
	v_lshlrev_b64 v[4:5], 3, v[4:5]
	v_add_co_u32 v11, vcc_lo, v11, s4
	v_add_co_ci_u32_e32 v12, vcc_lo, s5, v12, vcc_lo
	s_delay_alu instid0(VALU_DEP_3) | instskip(NEXT) | instid1(VALU_DEP_4)
	v_add_co_u32 v13, vcc_lo, v4, s0
	v_add_co_ci_u32_e32 v14, vcc_lo, s1, v5, vcc_lo
	s_delay_alu instid0(VALU_DEP_4) | instskip(NEXT) | instid1(VALU_DEP_4)
	v_add_co_u32 v4, vcc_lo, v6, v11
	v_add_co_ci_u32_e32 v5, vcc_lo, v7, v12, vcc_lo
	s_waitcnt vmcnt(0)
	v_add_co_u32 v6, vcc_lo, v9, v13
	v_add_co_ci_u32_e32 v7, vcc_lo, v10, v14, vcc_lo
	v_mov_b32_e32 v9, v8
	s_lshl_b64 s[4:5], s[6:7], 9
	s_mov_b32 s1, 0
	.p2align	6
.LBB203_3:                              ; =>This Inner Loop Header: Depth=1
	global_load_b64 v[10:11], v[4:5], off
	global_load_b64 v[12:13], v[6:7], off
	v_add_nc_u32_e32 v9, 64, v9
	v_add_co_u32 v4, vcc_lo, v4, s4
	v_add_co_ci_u32_e32 v5, vcc_lo, s5, v5, vcc_lo
	s_delay_alu instid0(VALU_DEP_3) | instskip(SKIP_1) | instid1(VALU_DEP_1)
	v_cmp_le_i32_e32 vcc_lo, s10, v9
	v_add_co_u32 v6, s0, v6, s2
	v_add_co_ci_u32_e64 v7, s0, s3, v7, s0
	s_or_b32 s1, vcc_lo, s1
	s_waitcnt vmcnt(0)
	v_fma_f64 v[2:3], v[10:11], v[12:13], v[2:3]
	s_and_not1_b32 exec_lo, exec_lo, s1
	s_cbranch_execnz .LBB203_3
; %bb.4:
	s_or_b32 exec_lo, exec_lo, s1
.LBB203_5:
	s_delay_alu instid0(SALU_CYCLE_1)
	s_or_b32 exec_lo, exec_lo, s11
	v_mbcnt_lo_u32_b32 v6, -1, 0
	s_barrier
	buffer_gl0_inv
	v_lshlrev_b32_e32 v5, 2, v6
	v_cmp_gt_u32_e32 vcc_lo, 16, v6
	ds_bpermute_b32 v4, v5, v2
	ds_bpermute_b32 v5, v5, v3
	s_waitcnt lgkmcnt(0)
	v_add_f64 v[2:3], v[2:3], v[4:5]
	v_cndmask_b32_e64 v4, 0, 1, vcc_lo
	v_cmp_gt_u32_e32 vcc_lo, 24, v6
	s_delay_alu instid0(VALU_DEP_2) | instskip(NEXT) | instid1(VALU_DEP_1)
	v_lshlrev_b32_e32 v4, 4, v4
	v_add_lshl_u32 v5, v4, v6, 2
	ds_bpermute_b32 v4, v5, v2
	ds_bpermute_b32 v5, v5, v3
	s_waitcnt lgkmcnt(0)
	v_add_f64 v[2:3], v[2:3], v[4:5]
	v_cndmask_b32_e64 v4, 0, 1, vcc_lo
	v_cmp_gt_u32_e32 vcc_lo, 28, v6
	s_delay_alu instid0(VALU_DEP_2) | instskip(NEXT) | instid1(VALU_DEP_1)
	v_lshlrev_b32_e32 v4, 3, v4
	v_add_lshl_u32 v5, v4, v6, 2
	;; [unrolled: 9-line block ×3, first 2 shown]
	ds_bpermute_b32 v4, v5, v2
	ds_bpermute_b32 v5, v5, v3
	s_waitcnt lgkmcnt(0)
	v_add_f64 v[2:3], v[2:3], v[4:5]
	v_cndmask_b32_e64 v4, 0, 1, vcc_lo
	v_cmp_ne_u32_e32 vcc_lo, 31, v6
	s_delay_alu instid0(VALU_DEP_2) | instskip(NEXT) | instid1(VALU_DEP_1)
	v_lshlrev_b32_e32 v4, 1, v4
	v_add_lshl_u32 v5, v4, v6, 2
	ds_bpermute_b32 v4, v5, v2
	ds_bpermute_b32 v5, v5, v3
	s_waitcnt lgkmcnt(0)
	v_add_f64 v[2:3], v[2:3], v[4:5]
	v_add_co_ci_u32_e32 v4, vcc_lo, 0, v6, vcc_lo
	v_cmp_eq_u32_e32 vcc_lo, 0, v8
	s_delay_alu instid0(VALU_DEP_2)
	v_lshlrev_b32_e32 v5, 2, v4
	ds_bpermute_b32 v4, v5, v2
	ds_bpermute_b32 v5, v5, v3
	s_and_b32 exec_lo, exec_lo, vcc_lo
	s_cbranch_execz .LBB203_7
; %bb.6:
	s_waitcnt lgkmcnt(0)
	v_add_f64 v[2:3], v[2:3], v[4:5]
	v_add_co_u32 v0, vcc_lo, s8, v0
	v_add_co_ci_u32_e32 v1, vcc_lo, s9, v1, vcc_lo
	global_store_b64 v[0:1], v[2:3], off
.LBB203_7:
	s_nop 0
	s_sendmsg sendmsg(MSG_DEALLOC_VGPRS)
	s_endpgm
	.section	.rodata,"a",@progbits
	.p2align	6, 0x0
	.amdhsa_kernel _ZL28rocblas_dot_batched_4_kernelIlLi64ELi4ELb0EddPKPKdEviT5_lT_lS4_lS5_liPT4_
		.amdhsa_group_segment_fixed_size 0
		.amdhsa_private_segment_fixed_size 0
		.amdhsa_kernarg_size 88
		.amdhsa_user_sgpr_count 15
		.amdhsa_user_sgpr_dispatch_ptr 0
		.amdhsa_user_sgpr_queue_ptr 0
		.amdhsa_user_sgpr_kernarg_segment_ptr 1
		.amdhsa_user_sgpr_dispatch_id 0
		.amdhsa_user_sgpr_private_segment_size 0
		.amdhsa_wavefront_size32 1
		.amdhsa_uses_dynamic_stack 0
		.amdhsa_enable_private_segment 0
		.amdhsa_system_sgpr_workgroup_id_x 1
		.amdhsa_system_sgpr_workgroup_id_y 0
		.amdhsa_system_sgpr_workgroup_id_z 0
		.amdhsa_system_sgpr_workgroup_info 0
		.amdhsa_system_vgpr_workitem_id 1
		.amdhsa_next_free_vgpr 15
		.amdhsa_next_free_sgpr 16
		.amdhsa_reserve_vcc 1
		.amdhsa_float_round_mode_32 0
		.amdhsa_float_round_mode_16_64 0
		.amdhsa_float_denorm_mode_32 3
		.amdhsa_float_denorm_mode_16_64 3
		.amdhsa_dx10_clamp 1
		.amdhsa_ieee_mode 1
		.amdhsa_fp16_overflow 0
		.amdhsa_workgroup_processor_mode 1
		.amdhsa_memory_ordered 1
		.amdhsa_forward_progress 0
		.amdhsa_shared_vgpr_count 0
		.amdhsa_exception_fp_ieee_invalid_op 0
		.amdhsa_exception_fp_denorm_src 0
		.amdhsa_exception_fp_ieee_div_zero 0
		.amdhsa_exception_fp_ieee_overflow 0
		.amdhsa_exception_fp_ieee_underflow 0
		.amdhsa_exception_fp_ieee_inexact 0
		.amdhsa_exception_int_div_zero 0
	.end_amdhsa_kernel
	.section	.text._ZL28rocblas_dot_batched_4_kernelIlLi64ELi4ELb0EddPKPKdEviT5_lT_lS4_lS5_liPT4_,"axG",@progbits,_ZL28rocblas_dot_batched_4_kernelIlLi64ELi4ELb0EddPKPKdEviT5_lT_lS4_lS5_liPT4_,comdat
.Lfunc_end203:
	.size	_ZL28rocblas_dot_batched_4_kernelIlLi64ELi4ELb0EddPKPKdEviT5_lT_lS4_lS5_liPT4_, .Lfunc_end203-_ZL28rocblas_dot_batched_4_kernelIlLi64ELi4ELb0EddPKPKdEviT5_lT_lS4_lS5_liPT4_
                                        ; -- End function
	.section	.AMDGPU.csdata,"",@progbits
; Kernel info:
; codeLenInByte = 816
; NumSgprs: 18
; NumVgprs: 15
; ScratchSize: 0
; MemoryBound: 0
; FloatMode: 240
; IeeeMode: 1
; LDSByteSize: 0 bytes/workgroup (compile time only)
; SGPRBlocks: 2
; VGPRBlocks: 1
; NumSGPRsForWavesPerEU: 18
; NumVGPRsForWavesPerEU: 15
; Occupancy: 16
; WaveLimiterHint : 0
; COMPUTE_PGM_RSRC2:SCRATCH_EN: 0
; COMPUTE_PGM_RSRC2:USER_SGPR: 15
; COMPUTE_PGM_RSRC2:TRAP_HANDLER: 0
; COMPUTE_PGM_RSRC2:TGID_X_EN: 1
; COMPUTE_PGM_RSRC2:TGID_Y_EN: 0
; COMPUTE_PGM_RSRC2:TGID_Z_EN: 0
; COMPUTE_PGM_RSRC2:TIDIG_COMP_CNT: 1
	.section	.text._ZL18rocblas_dot_kernelIlLb1ELi1024ELi32ELb0EdPKPKddEviT5_lT_lS4_lS5_liPT6_PT4_,"axG",@progbits,_ZL18rocblas_dot_kernelIlLb1ELi1024ELi32ELb0EdPKPKddEviT5_lT_lS4_lS5_liPT6_PT4_,comdat
	.globl	_ZL18rocblas_dot_kernelIlLb1ELi1024ELi32ELb0EdPKPKddEviT5_lT_lS4_lS5_liPT6_PT4_ ; -- Begin function _ZL18rocblas_dot_kernelIlLb1ELi1024ELi32ELb0EdPKPKddEviT5_lT_lS4_lS5_liPT6_PT4_
	.p2align	8
	.type	_ZL18rocblas_dot_kernelIlLb1ELi1024ELi32ELb0EdPKPKddEviT5_lT_lS4_lS5_liPT6_PT4_,@function
_ZL18rocblas_dot_kernelIlLb1ELi1024ELi32ELb0EdPKPKddEviT5_lT_lS4_lS5_liPT6_PT4_: ; @_ZL18rocblas_dot_kernelIlLb1ELi1024ELi32ELb0EdPKPKddEviT5_lT_lS4_lS5_liPT6_PT4_
; %bb.0:
	s_clause 0x1
	s_load_b32 s14, s[0:1], 0x0
	s_load_b64 s[2:3], s[0:1], 0x58
	v_mov_b32_e32 v1, 0
	v_mov_b32_e32 v2, 0
	s_mov_b32 s12, s15
	s_mov_b32 s13, 0
	s_mov_b32 s15, exec_lo
	s_waitcnt lgkmcnt(0)
	v_cmpx_gt_i32_e64 s14, v0
	s_cbranch_execz .LBB204_4
; %bb.1:
	s_clause 0x4
	s_load_b64 s[16:17], s[0:1], 0x8
	s_load_b128 s[8:11], s[0:1], 0x10
	s_load_b128 s[4:7], s[0:1], 0x30
	s_load_b64 s[18:19], s[0:1], 0x28
	s_load_b32 s20, s[0:1], 0x60
	s_lshl_b64 s[0:1], s[12:13], 3
	s_waitcnt lgkmcnt(0)
	s_add_u32 s16, s16, s0
	s_addc_u32 s17, s17, s1
	v_mad_u64_u32 v[3:4], null, s10, v0, 0
	s_load_b64 s[16:17], s[16:17], 0x0
	v_mad_u64_u32 v[5:6], null, s6, v0, 0
	s_add_u32 s18, s18, s0
	s_addc_u32 s19, s19, s1
	s_lshl_b32 s1, s20, 10
	s_load_b64 s[18:19], s[18:19], 0x0
	v_or_b32_e32 v7, s1, v0
	s_lshl_b64 s[8:9], s[8:9], 3
	s_delay_alu instid0(VALU_DEP_2) | instskip(SKIP_1) | instid1(VALU_DEP_3)
	v_mad_u64_u32 v[8:9], null, s11, v0, v[4:5]
	v_mov_b32_e32 v1, 0
	v_mad_u64_u32 v[9:10], null, s7, v0, v[6:7]
	s_mul_hi_u32 s0, s10, s1
	s_mul_i32 s11, s11, s1
	s_mul_i32 s20, s10, s1
	s_delay_alu instid0(VALU_DEP_3)
	v_mov_b32_e32 v4, v8
	s_mul_hi_u32 s23, s6, s1
	s_mul_i32 s22, s6, s1
	s_waitcnt lgkmcnt(0)
	s_add_u32 s16, s16, s8
	v_mov_b32_e32 v6, v9
	s_addc_u32 s17, s17, s9
	s_ashr_i32 s24, s1, 31
	s_lshl_b64 s[8:9], s[4:5], 3
	s_mul_i32 s4, s10, s24
	v_lshlrev_b64 v[3:4], 3, v[3:4]
	s_add_i32 s0, s0, s4
	v_lshlrev_b64 v[5:6], 3, v[5:6]
	s_add_i32 s21, s0, s11
	s_mul_i32 s0, s6, s24
	s_lshl_b64 s[4:5], s[20:21], 3
	v_add_co_u32 v3, vcc_lo, s16, v3
	s_add_u32 s6, s18, s8
	v_add_co_ci_u32_e32 v4, vcc_lo, s17, v4, vcc_lo
	s_addc_u32 s8, s19, s9
	v_add_co_u32 v5, vcc_lo, s6, v5
	s_mul_i32 s7, s7, s1
	s_add_i32 s0, s23, s0
	v_mov_b32_e32 v2, 0
	v_add_co_ci_u32_e32 v6, vcc_lo, s8, v6, vcc_lo
	s_add_i32 s23, s0, s7
	s_mov_b32 s8, s13
	s_lshl_b64 s[6:7], s[22:23], 3
	s_mov_b32 s9, s13
	.p2align	6
.LBB204_2:                              ; =>This Inner Loop Header: Depth=1
	global_load_b64 v[8:9], v[5:6], off
	global_load_b64 v[10:11], v[3:4], off
	s_add_i32 s10, s9, 1
	v_cmp_le_i32_e32 vcc_lo, s14, v7
	v_add_co_u32 v3, s0, v3, s4
	s_cmp_gt_u32 s9, 30
	v_add_co_ci_u32_e64 v4, s0, s5, v4, s0
	s_cselect_b32 s9, -1, 0
	v_add_co_u32 v5, s0, v5, s6
	s_or_b32 s9, s9, vcc_lo
	v_add_nc_u32_e32 v7, s1, v7
	v_add_co_ci_u32_e64 v6, vcc_lo, s7, v6, s0
	s_and_b32 s0, exec_lo, s9
	s_mov_b32 s9, s10
	s_or_b32 s8, s0, s8
	s_waitcnt vmcnt(0)
	v_fma_f64 v[1:2], v[8:9], v[10:11], v[1:2]
	s_and_not1_b32 exec_lo, exec_lo, s8
	s_cbranch_execnz .LBB204_2
; %bb.3:
	s_or_b32 exec_lo, exec_lo, s8
.LBB204_4:
	s_delay_alu instid0(SALU_CYCLE_1) | instskip(SKIP_2) | instid1(VALU_DEP_2)
	s_or_b32 exec_lo, exec_lo, s15
	v_and_b32_e32 v11, 31, v0
	v_cmp_gt_u32_e32 vcc_lo, 32, v0
	v_lshlrev_b32_e32 v5, 3, v11
	s_and_saveexec_b32 s0, vcc_lo
	s_cbranch_execz .LBB204_6
; %bb.5:
	v_mov_b32_e32 v3, 0
	s_delay_alu instid0(VALU_DEP_1)
	v_mov_b32_e32 v4, v3
	ds_store_b64 v5, v[3:4]
.LBB204_6:
	s_or_b32 exec_lo, exec_lo, s0
	v_mbcnt_lo_u32_b32 v10, -1, 0
	s_mov_b32 s1, exec_lo
	s_waitcnt lgkmcnt(0)
	s_barrier
	buffer_gl0_inv
	v_cmp_gt_u32_e64 s0, 16, v10
	s_delay_alu instid0(VALU_DEP_1) | instskip(SKIP_1) | instid1(VALU_DEP_2)
	v_cndmask_b32_e64 v3, 0, 1, s0
	v_cmp_gt_u32_e64 s0, 24, v10
	v_lshlrev_b32_e32 v3, 4, v3
	s_delay_alu instid0(VALU_DEP_1)
	v_add_lshl_u32 v6, v3, v10, 2
	ds_bpermute_b32 v3, v6, v1
	ds_bpermute_b32 v4, v6, v2
	s_waitcnt lgkmcnt(0)
	v_add_f64 v[1:2], v[1:2], v[3:4]
	v_cndmask_b32_e64 v3, 0, 1, s0
	v_cmp_gt_u32_e64 s0, 28, v10
	s_delay_alu instid0(VALU_DEP_2) | instskip(NEXT) | instid1(VALU_DEP_1)
	v_lshlrev_b32_e32 v3, 3, v3
	v_add_lshl_u32 v7, v3, v10, 2
	ds_bpermute_b32 v3, v7, v1
	ds_bpermute_b32 v4, v7, v2
	s_waitcnt lgkmcnt(0)
	v_add_f64 v[1:2], v[1:2], v[3:4]
	v_cndmask_b32_e64 v3, 0, 1, s0
	v_cmp_gt_u32_e64 s0, 30, v10
	s_delay_alu instid0(VALU_DEP_2) | instskip(NEXT) | instid1(VALU_DEP_1)
	v_lshlrev_b32_e32 v3, 2, v3
	v_add_lshl_u32 v8, v3, v10, 2
	ds_bpermute_b32 v3, v8, v1
	ds_bpermute_b32 v4, v8, v2
	s_waitcnt lgkmcnt(0)
	v_add_f64 v[1:2], v[1:2], v[3:4]
	v_cndmask_b32_e64 v3, 0, 1, s0
	v_cmp_ne_u32_e64 s0, 31, v10
	s_delay_alu instid0(VALU_DEP_2) | instskip(NEXT) | instid1(VALU_DEP_1)
	v_lshlrev_b32_e32 v3, 1, v3
	v_add_lshl_u32 v9, v3, v10, 2
	ds_bpermute_b32 v3, v9, v1
	ds_bpermute_b32 v4, v9, v2
	s_waitcnt lgkmcnt(0)
	v_add_f64 v[1:2], v[1:2], v[3:4]
	v_add_co_ci_u32_e64 v3, s0, 0, v10, s0
	s_delay_alu instid0(VALU_DEP_1)
	v_lshlrev_b32_e32 v10, 2, v3
	ds_bpermute_b32 v3, v10, v1
	ds_bpermute_b32 v4, v10, v2
	v_cmpx_eq_u32_e32 0, v11
	s_cbranch_execz .LBB204_8
; %bb.7:
	s_waitcnt lgkmcnt(0)
	v_add_f64 v[1:2], v[1:2], v[3:4]
	v_lshrrev_b32_e32 v3, 2, v0
	s_delay_alu instid0(VALU_DEP_1)
	v_and_b32_e32 v3, 0xf8, v3
	ds_store_b64 v3, v[1:2]
.LBB204_8:
	s_or_b32 exec_lo, exec_lo, s1
	v_mov_b32_e32 v1, 0
	v_mov_b32_e32 v2, 0
	s_waitcnt lgkmcnt(0)
	s_barrier
	buffer_gl0_inv
	s_and_saveexec_b32 s0, vcc_lo
	s_cbranch_execz .LBB204_10
; %bb.9:
	ds_load_b64 v[1:2], v5
.LBB204_10:
	s_or_b32 exec_lo, exec_lo, s0
	s_and_saveexec_b32 s0, vcc_lo
	s_cbranch_execz .LBB204_12
; %bb.11:
	s_waitcnt lgkmcnt(0)
	ds_bpermute_b32 v3, v6, v1
	ds_bpermute_b32 v4, v6, v2
	s_waitcnt lgkmcnt(0)
	v_add_f64 v[1:2], v[1:2], v[3:4]
	ds_bpermute_b32 v3, v7, v1
	ds_bpermute_b32 v4, v7, v2
	s_waitcnt lgkmcnt(0)
	v_add_f64 v[1:2], v[1:2], v[3:4]
	;; [unrolled: 4-line block ×5, first 2 shown]
.LBB204_12:
	s_or_b32 exec_lo, exec_lo, s0
	s_delay_alu instid0(SALU_CYCLE_1)
	s_mov_b32 s0, exec_lo
	v_cmpx_eq_u32_e32 0, v0
	s_cbranch_execz .LBB204_14
; %bb.13:
	s_lshl_b64 s[0:1], s[12:13], 3
	v_mov_b32_e32 v0, 0
	s_add_u32 s0, s2, s0
	s_addc_u32 s1, s3, s1
	s_waitcnt lgkmcnt(0)
	global_store_b64 v0, v[1:2], s[0:1]
.LBB204_14:
	s_nop 0
	s_sendmsg sendmsg(MSG_DEALLOC_VGPRS)
	s_endpgm
	.section	.rodata,"a",@progbits
	.p2align	6, 0x0
	.amdhsa_kernel _ZL18rocblas_dot_kernelIlLb1ELi1024ELi32ELb0EdPKPKddEviT5_lT_lS4_lS5_liPT6_PT4_
		.amdhsa_group_segment_fixed_size 256
		.amdhsa_private_segment_fixed_size 0
		.amdhsa_kernarg_size 352
		.amdhsa_user_sgpr_count 14
		.amdhsa_user_sgpr_dispatch_ptr 0
		.amdhsa_user_sgpr_queue_ptr 0
		.amdhsa_user_sgpr_kernarg_segment_ptr 1
		.amdhsa_user_sgpr_dispatch_id 0
		.amdhsa_user_sgpr_private_segment_size 0
		.amdhsa_wavefront_size32 1
		.amdhsa_uses_dynamic_stack 0
		.amdhsa_enable_private_segment 0
		.amdhsa_system_sgpr_workgroup_id_x 1
		.amdhsa_system_sgpr_workgroup_id_y 0
		.amdhsa_system_sgpr_workgroup_id_z 1
		.amdhsa_system_sgpr_workgroup_info 0
		.amdhsa_system_vgpr_workitem_id 0
		.amdhsa_next_free_vgpr 12
		.amdhsa_next_free_sgpr 25
		.amdhsa_reserve_vcc 1
		.amdhsa_float_round_mode_32 0
		.amdhsa_float_round_mode_16_64 0
		.amdhsa_float_denorm_mode_32 3
		.amdhsa_float_denorm_mode_16_64 3
		.amdhsa_dx10_clamp 1
		.amdhsa_ieee_mode 1
		.amdhsa_fp16_overflow 0
		.amdhsa_workgroup_processor_mode 1
		.amdhsa_memory_ordered 1
		.amdhsa_forward_progress 0
		.amdhsa_shared_vgpr_count 0
		.amdhsa_exception_fp_ieee_invalid_op 0
		.amdhsa_exception_fp_denorm_src 0
		.amdhsa_exception_fp_ieee_div_zero 0
		.amdhsa_exception_fp_ieee_overflow 0
		.amdhsa_exception_fp_ieee_underflow 0
		.amdhsa_exception_fp_ieee_inexact 0
		.amdhsa_exception_int_div_zero 0
	.end_amdhsa_kernel
	.section	.text._ZL18rocblas_dot_kernelIlLb1ELi1024ELi32ELb0EdPKPKddEviT5_lT_lS4_lS5_liPT6_PT4_,"axG",@progbits,_ZL18rocblas_dot_kernelIlLb1ELi1024ELi32ELb0EdPKPKddEviT5_lT_lS4_lS5_liPT6_PT4_,comdat
.Lfunc_end204:
	.size	_ZL18rocblas_dot_kernelIlLb1ELi1024ELi32ELb0EdPKPKddEviT5_lT_lS4_lS5_liPT6_PT4_, .Lfunc_end204-_ZL18rocblas_dot_kernelIlLb1ELi1024ELi32ELb0EdPKPKddEviT5_lT_lS4_lS5_liPT6_PT4_
                                        ; -- End function
	.section	.AMDGPU.csdata,"",@progbits
; Kernel info:
; codeLenInByte = 1116
; NumSgprs: 27
; NumVgprs: 12
; ScratchSize: 0
; MemoryBound: 0
; FloatMode: 240
; IeeeMode: 1
; LDSByteSize: 256 bytes/workgroup (compile time only)
; SGPRBlocks: 3
; VGPRBlocks: 1
; NumSGPRsForWavesPerEU: 27
; NumVGPRsForWavesPerEU: 12
; Occupancy: 16
; WaveLimiterHint : 0
; COMPUTE_PGM_RSRC2:SCRATCH_EN: 0
; COMPUTE_PGM_RSRC2:USER_SGPR: 14
; COMPUTE_PGM_RSRC2:TRAP_HANDLER: 0
; COMPUTE_PGM_RSRC2:TGID_X_EN: 1
; COMPUTE_PGM_RSRC2:TGID_Y_EN: 0
; COMPUTE_PGM_RSRC2:TGID_Z_EN: 1
; COMPUTE_PGM_RSRC2:TIDIG_COMP_CNT: 0
	.section	.text._ZL24rocblas_dot_kernel_magsqIlLb1ELi1024ELi32ELb0EdPKPKddEviT5_lT_liPT6_PT4_,"axG",@progbits,_ZL24rocblas_dot_kernel_magsqIlLb1ELi1024ELi32ELb0EdPKPKddEviT5_lT_liPT6_PT4_,comdat
	.globl	_ZL24rocblas_dot_kernel_magsqIlLb1ELi1024ELi32ELb0EdPKPKddEviT5_lT_liPT6_PT4_ ; -- Begin function _ZL24rocblas_dot_kernel_magsqIlLb1ELi1024ELi32ELb0EdPKPKddEviT5_lT_liPT6_PT4_
	.p2align	8
	.type	_ZL24rocblas_dot_kernel_magsqIlLb1ELi1024ELi32ELb0EdPKPKddEviT5_lT_liPT6_PT4_,@function
_ZL24rocblas_dot_kernel_magsqIlLb1ELi1024ELi32ELb0EdPKPKddEviT5_lT_liPT6_PT4_: ; @_ZL24rocblas_dot_kernel_magsqIlLb1ELi1024ELi32ELb0EdPKPKddEviT5_lT_liPT6_PT4_
; %bb.0:
	s_clause 0x1
	s_load_b32 s10, s[0:1], 0x0
	s_load_b64 s[2:3], s[0:1], 0x38
	v_mov_b32_e32 v1, 0
	v_mov_b32_e32 v2, 0
	s_mov_b32 s8, s15
	s_mov_b32 s9, 0
	s_mov_b32 s11, exec_lo
	s_waitcnt lgkmcnt(0)
	v_cmpx_gt_i32_e64 s10, v0
	s_cbranch_execz .LBB205_4
; %bb.1:
	s_clause 0x1
	s_load_b64 s[12:13], s[0:1], 0x8
	s_load_b128 s[4:7], s[0:1], 0x10
	s_lshl_b64 s[14:15], s[8:9], 3
	s_load_b32 s16, s[0:1], 0x40
	s_waitcnt lgkmcnt(0)
	s_add_u32 s0, s12, s14
	v_mad_u64_u32 v[3:4], null, s6, v0, 0
	s_addc_u32 s1, s13, s15
	s_lshl_b64 s[4:5], s[4:5], 3
	s_load_b64 s[12:13], s[0:1], 0x0
	s_lshl_b32 s1, s16, 10
	s_delay_alu instid0(SALU_CYCLE_1) | instskip(NEXT) | instid1(VALU_DEP_1)
	s_mul_hi_u32 s0, s6, s1
	v_mov_b32_e32 v1, v4
	s_delay_alu instid0(VALU_DEP_1) | instskip(SKIP_3) | instid1(VALU_DEP_4)
	v_mad_u64_u32 v[4:5], null, s7, v0, v[1:2]
	v_mov_b32_e32 v1, 0
	v_mov_b32_e32 v2, 0
	v_or_b32_e32 v5, s1, v0
	v_lshlrev_b64 v[3:4], 3, v[3:4]
	s_waitcnt lgkmcnt(0)
	s_add_u32 s12, s12, s4
	s_addc_u32 s13, s13, s5
	s_ashr_i32 s4, s1, 31
	s_delay_alu instid0(VALU_DEP_1)
	v_add_co_u32 v3, vcc_lo, s12, v3
	s_mul_i32 s4, s6, s4
	s_mul_i32 s5, s7, s1
	s_add_i32 s0, s0, s4
	v_add_co_ci_u32_e32 v4, vcc_lo, s13, v4, vcc_lo
	s_mul_i32 s4, s6, s1
	s_add_i32 s5, s0, s5
	s_mov_b32 s6, s9
	s_lshl_b64 s[4:5], s[4:5], 3
	s_mov_b32 s7, s9
	.p2align	6
.LBB205_2:                              ; =>This Inner Loop Header: Depth=1
	global_load_b64 v[6:7], v[3:4], off
	s_add_i32 s12, s7, 1
	v_cmp_le_i32_e32 vcc_lo, s10, v5
	s_cmp_gt_u32 s7, 30
	v_add_co_u32 v3, s0, v3, s4
	s_cselect_b32 s7, -1, 0
	v_add_nc_u32_e32 v5, s1, v5
	s_or_b32 s7, s7, vcc_lo
	v_add_co_ci_u32_e64 v4, vcc_lo, s5, v4, s0
	s_and_b32 s0, exec_lo, s7
	s_mov_b32 s7, s12
	s_or_b32 s6, s0, s6
	s_waitcnt vmcnt(0)
	v_fma_f64 v[1:2], v[6:7], v[6:7], v[1:2]
	s_and_not1_b32 exec_lo, exec_lo, s6
	s_cbranch_execnz .LBB205_2
; %bb.3:
	s_or_b32 exec_lo, exec_lo, s6
.LBB205_4:
	s_delay_alu instid0(SALU_CYCLE_1) | instskip(SKIP_2) | instid1(VALU_DEP_2)
	s_or_b32 exec_lo, exec_lo, s11
	v_and_b32_e32 v11, 31, v0
	v_cmp_gt_u32_e32 vcc_lo, 32, v0
	v_lshlrev_b32_e32 v5, 3, v11
	s_and_saveexec_b32 s0, vcc_lo
	s_cbranch_execz .LBB205_6
; %bb.5:
	v_mov_b32_e32 v3, 0
	s_delay_alu instid0(VALU_DEP_1)
	v_mov_b32_e32 v4, v3
	ds_store_b64 v5, v[3:4]
.LBB205_6:
	s_or_b32 exec_lo, exec_lo, s0
	v_mbcnt_lo_u32_b32 v10, -1, 0
	s_mov_b32 s1, exec_lo
	s_waitcnt lgkmcnt(0)
	s_barrier
	buffer_gl0_inv
	v_cmp_gt_u32_e64 s0, 16, v10
	s_delay_alu instid0(VALU_DEP_1) | instskip(SKIP_1) | instid1(VALU_DEP_2)
	v_cndmask_b32_e64 v3, 0, 1, s0
	v_cmp_gt_u32_e64 s0, 24, v10
	v_lshlrev_b32_e32 v3, 4, v3
	s_delay_alu instid0(VALU_DEP_1)
	v_add_lshl_u32 v6, v3, v10, 2
	ds_bpermute_b32 v3, v6, v1
	ds_bpermute_b32 v4, v6, v2
	s_waitcnt lgkmcnt(0)
	v_add_f64 v[1:2], v[1:2], v[3:4]
	v_cndmask_b32_e64 v3, 0, 1, s0
	v_cmp_gt_u32_e64 s0, 28, v10
	s_delay_alu instid0(VALU_DEP_2) | instskip(NEXT) | instid1(VALU_DEP_1)
	v_lshlrev_b32_e32 v3, 3, v3
	v_add_lshl_u32 v7, v3, v10, 2
	ds_bpermute_b32 v3, v7, v1
	ds_bpermute_b32 v4, v7, v2
	s_waitcnt lgkmcnt(0)
	v_add_f64 v[1:2], v[1:2], v[3:4]
	v_cndmask_b32_e64 v3, 0, 1, s0
	v_cmp_gt_u32_e64 s0, 30, v10
	s_delay_alu instid0(VALU_DEP_2) | instskip(NEXT) | instid1(VALU_DEP_1)
	v_lshlrev_b32_e32 v3, 2, v3
	v_add_lshl_u32 v8, v3, v10, 2
	ds_bpermute_b32 v3, v8, v1
	ds_bpermute_b32 v4, v8, v2
	s_waitcnt lgkmcnt(0)
	v_add_f64 v[1:2], v[1:2], v[3:4]
	v_cndmask_b32_e64 v3, 0, 1, s0
	v_cmp_ne_u32_e64 s0, 31, v10
	s_delay_alu instid0(VALU_DEP_2) | instskip(NEXT) | instid1(VALU_DEP_1)
	v_lshlrev_b32_e32 v3, 1, v3
	v_add_lshl_u32 v9, v3, v10, 2
	ds_bpermute_b32 v3, v9, v1
	ds_bpermute_b32 v4, v9, v2
	s_waitcnt lgkmcnt(0)
	v_add_f64 v[1:2], v[1:2], v[3:4]
	v_add_co_ci_u32_e64 v3, s0, 0, v10, s0
	s_delay_alu instid0(VALU_DEP_1)
	v_lshlrev_b32_e32 v10, 2, v3
	ds_bpermute_b32 v3, v10, v1
	ds_bpermute_b32 v4, v10, v2
	v_cmpx_eq_u32_e32 0, v11
	s_cbranch_execz .LBB205_8
; %bb.7:
	s_waitcnt lgkmcnt(0)
	v_add_f64 v[1:2], v[1:2], v[3:4]
	v_lshrrev_b32_e32 v3, 2, v0
	s_delay_alu instid0(VALU_DEP_1)
	v_and_b32_e32 v3, 0xf8, v3
	ds_store_b64 v3, v[1:2]
.LBB205_8:
	s_or_b32 exec_lo, exec_lo, s1
	v_mov_b32_e32 v1, 0
	v_mov_b32_e32 v2, 0
	s_waitcnt lgkmcnt(0)
	s_barrier
	buffer_gl0_inv
	s_and_saveexec_b32 s0, vcc_lo
	s_cbranch_execz .LBB205_10
; %bb.9:
	ds_load_b64 v[1:2], v5
.LBB205_10:
	s_or_b32 exec_lo, exec_lo, s0
	s_and_saveexec_b32 s0, vcc_lo
	s_cbranch_execz .LBB205_12
; %bb.11:
	s_waitcnt lgkmcnt(0)
	ds_bpermute_b32 v3, v6, v1
	ds_bpermute_b32 v4, v6, v2
	s_waitcnt lgkmcnt(0)
	v_add_f64 v[1:2], v[1:2], v[3:4]
	ds_bpermute_b32 v3, v7, v1
	ds_bpermute_b32 v4, v7, v2
	s_waitcnt lgkmcnt(0)
	v_add_f64 v[1:2], v[1:2], v[3:4]
	;; [unrolled: 4-line block ×5, first 2 shown]
.LBB205_12:
	s_or_b32 exec_lo, exec_lo, s0
	s_delay_alu instid0(SALU_CYCLE_1)
	s_mov_b32 s0, exec_lo
	v_cmpx_eq_u32_e32 0, v0
	s_cbranch_execz .LBB205_14
; %bb.13:
	s_lshl_b64 s[0:1], s[8:9], 3
	v_mov_b32_e32 v0, 0
	s_add_u32 s0, s2, s0
	s_addc_u32 s1, s3, s1
	s_waitcnt lgkmcnt(0)
	global_store_b64 v0, v[1:2], s[0:1]
.LBB205_14:
	s_nop 0
	s_sendmsg sendmsg(MSG_DEALLOC_VGPRS)
	s_endpgm
	.section	.rodata,"a",@progbits
	.p2align	6, 0x0
	.amdhsa_kernel _ZL24rocblas_dot_kernel_magsqIlLb1ELi1024ELi32ELb0EdPKPKddEviT5_lT_liPT6_PT4_
		.amdhsa_group_segment_fixed_size 256
		.amdhsa_private_segment_fixed_size 0
		.amdhsa_kernarg_size 320
		.amdhsa_user_sgpr_count 14
		.amdhsa_user_sgpr_dispatch_ptr 0
		.amdhsa_user_sgpr_queue_ptr 0
		.amdhsa_user_sgpr_kernarg_segment_ptr 1
		.amdhsa_user_sgpr_dispatch_id 0
		.amdhsa_user_sgpr_private_segment_size 0
		.amdhsa_wavefront_size32 1
		.amdhsa_uses_dynamic_stack 0
		.amdhsa_enable_private_segment 0
		.amdhsa_system_sgpr_workgroup_id_x 1
		.amdhsa_system_sgpr_workgroup_id_y 0
		.amdhsa_system_sgpr_workgroup_id_z 1
		.amdhsa_system_sgpr_workgroup_info 0
		.amdhsa_system_vgpr_workitem_id 0
		.amdhsa_next_free_vgpr 12
		.amdhsa_next_free_sgpr 17
		.amdhsa_reserve_vcc 1
		.amdhsa_float_round_mode_32 0
		.amdhsa_float_round_mode_16_64 0
		.amdhsa_float_denorm_mode_32 3
		.amdhsa_float_denorm_mode_16_64 3
		.amdhsa_dx10_clamp 1
		.amdhsa_ieee_mode 1
		.amdhsa_fp16_overflow 0
		.amdhsa_workgroup_processor_mode 1
		.amdhsa_memory_ordered 1
		.amdhsa_forward_progress 0
		.amdhsa_shared_vgpr_count 0
		.amdhsa_exception_fp_ieee_invalid_op 0
		.amdhsa_exception_fp_denorm_src 0
		.amdhsa_exception_fp_ieee_div_zero 0
		.amdhsa_exception_fp_ieee_overflow 0
		.amdhsa_exception_fp_ieee_underflow 0
		.amdhsa_exception_fp_ieee_inexact 0
		.amdhsa_exception_int_div_zero 0
	.end_amdhsa_kernel
	.section	.text._ZL24rocblas_dot_kernel_magsqIlLb1ELi1024ELi32ELb0EdPKPKddEviT5_lT_liPT6_PT4_,"axG",@progbits,_ZL24rocblas_dot_kernel_magsqIlLb1ELi1024ELi32ELb0EdPKPKddEviT5_lT_liPT6_PT4_,comdat
.Lfunc_end205:
	.size	_ZL24rocblas_dot_kernel_magsqIlLb1ELi1024ELi32ELb0EdPKPKddEviT5_lT_liPT6_PT4_, .Lfunc_end205-_ZL24rocblas_dot_kernel_magsqIlLb1ELi1024ELi32ELb0EdPKPKddEviT5_lT_liPT6_PT4_
                                        ; -- End function
	.section	.AMDGPU.csdata,"",@progbits
; Kernel info:
; codeLenInByte = 984
; NumSgprs: 19
; NumVgprs: 12
; ScratchSize: 0
; MemoryBound: 0
; FloatMode: 240
; IeeeMode: 1
; LDSByteSize: 256 bytes/workgroup (compile time only)
; SGPRBlocks: 2
; VGPRBlocks: 1
; NumSGPRsForWavesPerEU: 19
; NumVGPRsForWavesPerEU: 12
; Occupancy: 16
; WaveLimiterHint : 0
; COMPUTE_PGM_RSRC2:SCRATCH_EN: 0
; COMPUTE_PGM_RSRC2:USER_SGPR: 14
; COMPUTE_PGM_RSRC2:TRAP_HANDLER: 0
; COMPUTE_PGM_RSRC2:TGID_X_EN: 1
; COMPUTE_PGM_RSRC2:TGID_Y_EN: 0
; COMPUTE_PGM_RSRC2:TGID_Z_EN: 1
; COMPUTE_PGM_RSRC2:TIDIG_COMP_CNT: 0
	.section	.text._ZL38rocblas_dot_kernel_gfx942_float_doubleIlLi1024EdPKPKddEviT2_lT_lS4_lS5_lPT3_PT1_,"axG",@progbits,_ZL38rocblas_dot_kernel_gfx942_float_doubleIlLi1024EdPKPKddEviT2_lT_lS4_lS5_lPT3_PT1_,comdat
	.globl	_ZL38rocblas_dot_kernel_gfx942_float_doubleIlLi1024EdPKPKddEviT2_lT_lS4_lS5_lPT3_PT1_ ; -- Begin function _ZL38rocblas_dot_kernel_gfx942_float_doubleIlLi1024EdPKPKddEviT2_lT_lS4_lS5_lPT3_PT1_
	.p2align	8
	.type	_ZL38rocblas_dot_kernel_gfx942_float_doubleIlLi1024EdPKPKddEviT2_lT_lS4_lS5_lPT3_PT1_,@function
_ZL38rocblas_dot_kernel_gfx942_float_doubleIlLi1024EdPKPKddEviT2_lT_lS4_lS5_lPT3_PT1_: ; @_ZL38rocblas_dot_kernel_gfx942_float_doubleIlLi1024EdPKPKddEviT2_lT_lS4_lS5_lPT3_PT1_
; %bb.0:
	s_endpgm
	.section	.rodata,"a",@progbits
	.p2align	6, 0x0
	.amdhsa_kernel _ZL38rocblas_dot_kernel_gfx942_float_doubleIlLi1024EdPKPKddEviT2_lT_lS4_lS5_lPT3_PT1_
		.amdhsa_group_segment_fixed_size 0
		.amdhsa_private_segment_fixed_size 0
		.amdhsa_kernarg_size 88
		.amdhsa_user_sgpr_count 15
		.amdhsa_user_sgpr_dispatch_ptr 0
		.amdhsa_user_sgpr_queue_ptr 0
		.amdhsa_user_sgpr_kernarg_segment_ptr 1
		.amdhsa_user_sgpr_dispatch_id 0
		.amdhsa_user_sgpr_private_segment_size 0
		.amdhsa_wavefront_size32 1
		.amdhsa_uses_dynamic_stack 0
		.amdhsa_enable_private_segment 0
		.amdhsa_system_sgpr_workgroup_id_x 1
		.amdhsa_system_sgpr_workgroup_id_y 0
		.amdhsa_system_sgpr_workgroup_id_z 0
		.amdhsa_system_sgpr_workgroup_info 0
		.amdhsa_system_vgpr_workitem_id 0
		.amdhsa_next_free_vgpr 1
		.amdhsa_next_free_sgpr 1
		.amdhsa_reserve_vcc 0
		.amdhsa_float_round_mode_32 0
		.amdhsa_float_round_mode_16_64 0
		.amdhsa_float_denorm_mode_32 3
		.amdhsa_float_denorm_mode_16_64 3
		.amdhsa_dx10_clamp 1
		.amdhsa_ieee_mode 1
		.amdhsa_fp16_overflow 0
		.amdhsa_workgroup_processor_mode 1
		.amdhsa_memory_ordered 1
		.amdhsa_forward_progress 0
		.amdhsa_shared_vgpr_count 0
		.amdhsa_exception_fp_ieee_invalid_op 0
		.amdhsa_exception_fp_denorm_src 0
		.amdhsa_exception_fp_ieee_div_zero 0
		.amdhsa_exception_fp_ieee_overflow 0
		.amdhsa_exception_fp_ieee_underflow 0
		.amdhsa_exception_fp_ieee_inexact 0
		.amdhsa_exception_int_div_zero 0
	.end_amdhsa_kernel
	.section	.text._ZL38rocblas_dot_kernel_gfx942_float_doubleIlLi1024EdPKPKddEviT2_lT_lS4_lS5_lPT3_PT1_,"axG",@progbits,_ZL38rocblas_dot_kernel_gfx942_float_doubleIlLi1024EdPKPKddEviT2_lT_lS4_lS5_lPT3_PT1_,comdat
.Lfunc_end206:
	.size	_ZL38rocblas_dot_kernel_gfx942_float_doubleIlLi1024EdPKPKddEviT2_lT_lS4_lS5_lPT3_PT1_, .Lfunc_end206-_ZL38rocblas_dot_kernel_gfx942_float_doubleIlLi1024EdPKPKddEviT2_lT_lS4_lS5_lPT3_PT1_
                                        ; -- End function
	.section	.AMDGPU.csdata,"",@progbits
; Kernel info:
; codeLenInByte = 4
; NumSgprs: 0
; NumVgprs: 0
; ScratchSize: 0
; MemoryBound: 0
; FloatMode: 240
; IeeeMode: 1
; LDSByteSize: 0 bytes/workgroup (compile time only)
; SGPRBlocks: 0
; VGPRBlocks: 0
; NumSGPRsForWavesPerEU: 1
; NumVGPRsForWavesPerEU: 1
; Occupancy: 16
; WaveLimiterHint : 0
; COMPUTE_PGM_RSRC2:SCRATCH_EN: 0
; COMPUTE_PGM_RSRC2:USER_SGPR: 15
; COMPUTE_PGM_RSRC2:TRAP_HANDLER: 0
; COMPUTE_PGM_RSRC2:TGID_X_EN: 1
; COMPUTE_PGM_RSRC2:TGID_Y_EN: 0
; COMPUTE_PGM_RSRC2:TGID_Z_EN: 0
; COMPUTE_PGM_RSRC2:TIDIG_COMP_CNT: 0
	.section	.text._ZL18rocblas_dot_kernelIlLb0ELi512ELi2ELb0EdPKPKddEviT5_lT_lS4_lS5_liPT6_PT4_,"axG",@progbits,_ZL18rocblas_dot_kernelIlLb0ELi512ELi2ELb0EdPKPKddEviT5_lT_lS4_lS5_liPT6_PT4_,comdat
	.globl	_ZL18rocblas_dot_kernelIlLb0ELi512ELi2ELb0EdPKPKddEviT5_lT_lS4_lS5_liPT6_PT4_ ; -- Begin function _ZL18rocblas_dot_kernelIlLb0ELi512ELi2ELb0EdPKPKddEviT5_lT_lS4_lS5_liPT6_PT4_
	.p2align	8
	.type	_ZL18rocblas_dot_kernelIlLb0ELi512ELi2ELb0EdPKPKddEviT5_lT_lS4_lS5_liPT6_PT4_,@function
_ZL18rocblas_dot_kernelIlLb0ELi512ELi2ELb0EdPKPKddEviT5_lT_lS4_lS5_liPT6_PT4_: ; @_ZL18rocblas_dot_kernelIlLb0ELi512ELi2ELb0EdPKPKddEviT5_lT_lS4_lS5_liPT6_PT4_
; %bb.0:
	s_mov_b32 s12, s15
	s_clause 0x1
	s_load_b32 s15, s[0:1], 0x0
	s_load_b32 s3, s[0:1], 0x60
	v_mov_b32_e32 v1, 0
	v_lshl_or_b32 v3, s14, 9, v0
	v_mov_b32_e32 v2, 0
	s_mov_b32 s13, 0
	s_mov_b32 s2, exec_lo
	s_waitcnt lgkmcnt(0)
	v_cmpx_gt_i32_e64 s15, v3
	s_cbranch_execz .LBB207_4
; %bb.1:
	s_clause 0x1
	s_load_b64 s[8:9], s[0:1], 0x8
	s_load_b128 s[4:7], s[0:1], 0x10
	s_lshl_b64 s[16:17], s[12:13], 3
	v_ashrrev_i32_e32 v4, 31, v3
	s_waitcnt lgkmcnt(0)
	s_add_u32 s18, s8, s16
	s_addc_u32 s19, s9, s17
	s_load_b128 s[8:11], s[0:1], 0x30
	s_load_b64 s[18:19], s[18:19], 0x0
	s_load_b64 s[20:21], s[0:1], 0x28
	s_lshl_b64 s[4:5], s[4:5], 3
	v_mul_lo_u32 v8, v3, s7
	v_mul_lo_u32 v9, v4, s6
	s_waitcnt lgkmcnt(0)
	v_mul_lo_u32 v6, v3, s11
	s_add_u32 s4, s18, s4
	s_addc_u32 s5, s19, s5
	s_add_u32 s16, s20, s16
	s_addc_u32 s17, s21, s17
	v_mul_lo_u32 v7, v4, s10
	s_load_b64 s[16:17], s[16:17], 0x0
	v_mad_u64_u32 v[1:2], null, v3, s10, 0
	v_mad_u64_u32 v[4:5], null, v3, s6, 0
	s_lshl_b64 s[8:9], s[8:9], 3
	s_delay_alu instid0(VALU_DEP_2) | instskip(NEXT) | instid1(VALU_DEP_2)
	v_add3_u32 v2, v2, v6, v7
	v_add3_u32 v5, v5, v8, v9
	s_delay_alu instid0(VALU_DEP_2) | instskip(NEXT) | instid1(VALU_DEP_2)
	v_lshlrev_b64 v[1:2], 3, v[1:2]
	v_lshlrev_b64 v[3:4], 3, v[4:5]
	s_waitcnt lgkmcnt(0)
	s_add_u32 s8, s16, s8
	s_addc_u32 s9, s17, s9
	s_delay_alu instid0(VALU_DEP_2)
	v_add_co_u32 v1, vcc_lo, s8, v1
	v_add_co_ci_u32_e32 v2, vcc_lo, s9, v2, vcc_lo
	v_add_co_u32 v3, vcc_lo, s4, v3
	v_add_co_ci_u32_e32 v4, vcc_lo, s5, v4, vcc_lo
	s_add_i32 s16, s14, s3
	global_load_b64 v[1:2], v[1:2], off
	global_load_b64 v[3:4], v[3:4], off
	s_waitcnt vmcnt(0)
	v_fma_f64 v[1:2], v[1:2], v[3:4], 0
	v_lshl_or_b32 v3, s16, 9, v0
	s_delay_alu instid0(VALU_DEP_1)
	v_cmp_gt_i32_e32 vcc_lo, s15, v3
	s_and_saveexec_b32 s15, vcc_lo
	s_cbranch_execz .LBB207_3
; %bb.2:
	v_ashrrev_i32_e32 v8, 31, v3
	v_mul_lo_u32 v9, v3, s11
	v_mad_u64_u32 v[4:5], null, v3, s10, 0
	v_mul_lo_u32 v11, v3, s7
	s_delay_alu instid0(VALU_DEP_4) | instskip(SKIP_2) | instid1(VALU_DEP_3)
	v_mul_lo_u32 v10, v8, s10
	v_mad_u64_u32 v[6:7], null, v3, s6, 0
	v_mul_lo_u32 v3, v8, s6
	v_add3_u32 v5, v5, v9, v10
	s_delay_alu instid0(VALU_DEP_2) | instskip(NEXT) | instid1(VALU_DEP_2)
	v_add3_u32 v7, v7, v11, v3
	v_lshlrev_b64 v[3:4], 3, v[4:5]
	s_delay_alu instid0(VALU_DEP_2) | instskip(NEXT) | instid1(VALU_DEP_2)
	v_lshlrev_b64 v[5:6], 3, v[6:7]
	v_add_co_u32 v3, vcc_lo, s8, v3
	s_delay_alu instid0(VALU_DEP_3) | instskip(NEXT) | instid1(VALU_DEP_3)
	v_add_co_ci_u32_e32 v4, vcc_lo, s9, v4, vcc_lo
	v_add_co_u32 v5, vcc_lo, s4, v5
	s_delay_alu instid0(VALU_DEP_4)
	v_add_co_ci_u32_e32 v6, vcc_lo, s5, v6, vcc_lo
	global_load_b64 v[3:4], v[3:4], off
	global_load_b64 v[5:6], v[5:6], off
	s_waitcnt vmcnt(0)
	v_fma_f64 v[1:2], v[3:4], v[5:6], v[1:2]
.LBB207_3:
	s_or_b32 exec_lo, exec_lo, s15
.LBB207_4:
	s_delay_alu instid0(SALU_CYCLE_1) | instskip(SKIP_2) | instid1(VALU_DEP_2)
	s_or_b32 exec_lo, exec_lo, s2
	v_and_b32_e32 v10, 31, v0
	v_cmp_gt_u32_e32 vcc_lo, 32, v0
	v_lshlrev_b32_e32 v5, 3, v10
	s_and_saveexec_b32 s2, vcc_lo
	s_cbranch_execz .LBB207_6
; %bb.5:
	v_mov_b32_e32 v3, 0
	s_delay_alu instid0(VALU_DEP_1)
	v_mov_b32_e32 v4, v3
	ds_store_b64 v5, v[3:4]
.LBB207_6:
	s_or_b32 exec_lo, exec_lo, s2
	v_mbcnt_lo_u32_b32 v9, -1, 0
	s_mov_b32 s4, exec_lo
	s_waitcnt lgkmcnt(0)
	s_barrier
	buffer_gl0_inv
	v_cmp_gt_u32_e64 s2, 16, v9
	s_delay_alu instid0(VALU_DEP_1) | instskip(SKIP_1) | instid1(VALU_DEP_2)
	v_cndmask_b32_e64 v3, 0, 1, s2
	v_cmp_gt_u32_e64 s2, 24, v9
	v_lshlrev_b32_e32 v3, 4, v3
	s_delay_alu instid0(VALU_DEP_1)
	v_add_lshl_u32 v4, v3, v9, 2
	ds_bpermute_b32 v3, v4, v1
	ds_bpermute_b32 v4, v4, v2
	s_waitcnt lgkmcnt(0)
	v_add_f64 v[1:2], v[1:2], v[3:4]
	v_cndmask_b32_e64 v3, 0, 1, s2
	v_cmp_gt_u32_e64 s2, 28, v9
	s_delay_alu instid0(VALU_DEP_2) | instskip(NEXT) | instid1(VALU_DEP_1)
	v_lshlrev_b32_e32 v3, 3, v3
	v_add_lshl_u32 v6, v3, v9, 2
	ds_bpermute_b32 v3, v6, v1
	ds_bpermute_b32 v4, v6, v2
	s_waitcnt lgkmcnt(0)
	v_add_f64 v[1:2], v[1:2], v[3:4]
	v_cndmask_b32_e64 v3, 0, 1, s2
	v_cmp_gt_u32_e64 s2, 30, v9
	s_delay_alu instid0(VALU_DEP_2) | instskip(NEXT) | instid1(VALU_DEP_1)
	v_lshlrev_b32_e32 v3, 2, v3
	v_add_lshl_u32 v7, v3, v9, 2
	ds_bpermute_b32 v3, v7, v1
	ds_bpermute_b32 v4, v7, v2
	s_waitcnt lgkmcnt(0)
	v_add_f64 v[1:2], v[1:2], v[3:4]
	v_cndmask_b32_e64 v3, 0, 1, s2
	v_cmp_ne_u32_e64 s2, 31, v9
	s_delay_alu instid0(VALU_DEP_2) | instskip(NEXT) | instid1(VALU_DEP_1)
	v_lshlrev_b32_e32 v3, 1, v3
	v_add_lshl_u32 v8, v3, v9, 2
	ds_bpermute_b32 v3, v8, v1
	ds_bpermute_b32 v4, v8, v2
	s_waitcnt lgkmcnt(0)
	v_add_f64 v[1:2], v[1:2], v[3:4]
	v_add_co_ci_u32_e64 v3, s2, 0, v9, s2
	s_delay_alu instid0(VALU_DEP_1)
	v_lshlrev_b32_e32 v9, 2, v3
	ds_bpermute_b32 v3, v9, v1
	ds_bpermute_b32 v4, v9, v2
	v_cmpx_eq_u32_e32 0, v10
	s_cbranch_execz .LBB207_8
; %bb.7:
	s_waitcnt lgkmcnt(0)
	v_add_f64 v[1:2], v[1:2], v[3:4]
	v_lshrrev_b32_e32 v3, 2, v0
	s_delay_alu instid0(VALU_DEP_1)
	v_and_b32_e32 v3, 0x78, v3
	ds_store_b64 v3, v[1:2]
.LBB207_8:
	s_or_b32 exec_lo, exec_lo, s4
	v_mov_b32_e32 v1, 0
	v_mov_b32_e32 v2, 0
	s_mov_b32 s4, exec_lo
	s_waitcnt lgkmcnt(0)
	s_barrier
	buffer_gl0_inv
	v_cmpx_gt_u32_e32 16, v0
	s_cbranch_execz .LBB207_10
; %bb.9:
	ds_load_b64 v[1:2], v5
.LBB207_10:
	s_or_b32 exec_lo, exec_lo, s4
	s_and_saveexec_b32 s2, vcc_lo
	s_cbranch_execz .LBB207_12
; %bb.11:
	s_waitcnt lgkmcnt(0)
	ds_bpermute_b32 v3, v6, v1
	ds_bpermute_b32 v4, v6, v2
	s_waitcnt lgkmcnt(0)
	v_add_f64 v[1:2], v[1:2], v[3:4]
	ds_bpermute_b32 v3, v7, v1
	ds_bpermute_b32 v4, v7, v2
	s_waitcnt lgkmcnt(0)
	v_add_f64 v[1:2], v[1:2], v[3:4]
	;; [unrolled: 4-line block ×4, first 2 shown]
.LBB207_12:
	s_or_b32 exec_lo, exec_lo, s2
	s_delay_alu instid0(SALU_CYCLE_1)
	s_mov_b32 s2, exec_lo
	v_cmpx_eq_u32_e32 0, v0
	s_cbranch_execz .LBB207_18
; %bb.13:
	s_cmp_lg_u32 s3, 1
	s_cbranch_scc0 .LBB207_15
; %bb.14:
	s_load_b64 s[4:5], s[0:1], 0x50
	s_mul_hi_u32 s7, s3, s12
	s_mul_i32 s6, s3, s12
	s_mov_b32 s15, 0
	s_lshl_b64 s[2:3], s[6:7], 3
	s_waitcnt lgkmcnt(0)
	s_add_u32 s4, s4, s2
	s_addc_u32 s5, s5, s3
	s_lshl_b64 s[2:3], s[14:15], 3
	s_delay_alu instid0(SALU_CYCLE_1)
	s_add_u32 s2, s4, s2
	s_addc_u32 s3, s5, s3
	s_cbranch_execz .LBB207_16
	s_branch .LBB207_17
.LBB207_15:
                                        ; implicit-def: $sgpr2_sgpr3
.LBB207_16:
	s_load_b64 s[0:1], s[0:1], 0x58
	s_lshl_b64 s[2:3], s[12:13], 3
	s_waitcnt lgkmcnt(0)
	s_add_u32 s2, s0, s2
	s_addc_u32 s3, s1, s3
.LBB207_17:
	v_mov_b32_e32 v0, 0
	s_waitcnt lgkmcnt(0)
	global_store_b64 v0, v[1:2], s[2:3]
.LBB207_18:
	s_nop 0
	s_sendmsg sendmsg(MSG_DEALLOC_VGPRS)
	s_endpgm
	.section	.rodata,"a",@progbits
	.p2align	6, 0x0
	.amdhsa_kernel _ZL18rocblas_dot_kernelIlLb0ELi512ELi2ELb0EdPKPKddEviT5_lT_lS4_lS5_liPT6_PT4_
		.amdhsa_group_segment_fixed_size 256
		.amdhsa_private_segment_fixed_size 0
		.amdhsa_kernarg_size 352
		.amdhsa_user_sgpr_count 14
		.amdhsa_user_sgpr_dispatch_ptr 0
		.amdhsa_user_sgpr_queue_ptr 0
		.amdhsa_user_sgpr_kernarg_segment_ptr 1
		.amdhsa_user_sgpr_dispatch_id 0
		.amdhsa_user_sgpr_private_segment_size 0
		.amdhsa_wavefront_size32 1
		.amdhsa_uses_dynamic_stack 0
		.amdhsa_enable_private_segment 0
		.amdhsa_system_sgpr_workgroup_id_x 1
		.amdhsa_system_sgpr_workgroup_id_y 0
		.amdhsa_system_sgpr_workgroup_id_z 1
		.amdhsa_system_sgpr_workgroup_info 0
		.amdhsa_system_vgpr_workitem_id 0
		.amdhsa_next_free_vgpr 12
		.amdhsa_next_free_sgpr 22
		.amdhsa_reserve_vcc 1
		.amdhsa_float_round_mode_32 0
		.amdhsa_float_round_mode_16_64 0
		.amdhsa_float_denorm_mode_32 3
		.amdhsa_float_denorm_mode_16_64 3
		.amdhsa_dx10_clamp 1
		.amdhsa_ieee_mode 1
		.amdhsa_fp16_overflow 0
		.amdhsa_workgroup_processor_mode 1
		.amdhsa_memory_ordered 1
		.amdhsa_forward_progress 0
		.amdhsa_shared_vgpr_count 0
		.amdhsa_exception_fp_ieee_invalid_op 0
		.amdhsa_exception_fp_denorm_src 0
		.amdhsa_exception_fp_ieee_div_zero 0
		.amdhsa_exception_fp_ieee_overflow 0
		.amdhsa_exception_fp_ieee_underflow 0
		.amdhsa_exception_fp_ieee_inexact 0
		.amdhsa_exception_int_div_zero 0
	.end_amdhsa_kernel
	.section	.text._ZL18rocblas_dot_kernelIlLb0ELi512ELi2ELb0EdPKPKddEviT5_lT_lS4_lS5_liPT6_PT4_,"axG",@progbits,_ZL18rocblas_dot_kernelIlLb0ELi512ELi2ELb0EdPKPKddEviT5_lT_lS4_lS5_liPT6_PT4_,comdat
.Lfunc_end207:
	.size	_ZL18rocblas_dot_kernelIlLb0ELi512ELi2ELb0EdPKPKddEviT5_lT_lS4_lS5_liPT6_PT4_, .Lfunc_end207-_ZL18rocblas_dot_kernelIlLb0ELi512ELi2ELb0EdPKPKddEviT5_lT_lS4_lS5_liPT6_PT4_
                                        ; -- End function
	.section	.AMDGPU.csdata,"",@progbits
; Kernel info:
; codeLenInByte = 1232
; NumSgprs: 24
; NumVgprs: 12
; ScratchSize: 0
; MemoryBound: 0
; FloatMode: 240
; IeeeMode: 1
; LDSByteSize: 256 bytes/workgroup (compile time only)
; SGPRBlocks: 2
; VGPRBlocks: 1
; NumSGPRsForWavesPerEU: 24
; NumVGPRsForWavesPerEU: 12
; Occupancy: 16
; WaveLimiterHint : 1
; COMPUTE_PGM_RSRC2:SCRATCH_EN: 0
; COMPUTE_PGM_RSRC2:USER_SGPR: 14
; COMPUTE_PGM_RSRC2:TRAP_HANDLER: 0
; COMPUTE_PGM_RSRC2:TGID_X_EN: 1
; COMPUTE_PGM_RSRC2:TGID_Y_EN: 0
; COMPUTE_PGM_RSRC2:TGID_Z_EN: 1
; COMPUTE_PGM_RSRC2:TIDIG_COMP_CNT: 0
	.section	.text._ZL24rocblas_dot_kernel_magsqIlLb0ELi512ELi2ELb0EdPKPKddEviT5_lT_liPT6_PT4_,"axG",@progbits,_ZL24rocblas_dot_kernel_magsqIlLb0ELi512ELi2ELb0EdPKPKddEviT5_lT_liPT6_PT4_,comdat
	.globl	_ZL24rocblas_dot_kernel_magsqIlLb0ELi512ELi2ELb0EdPKPKddEviT5_lT_liPT6_PT4_ ; -- Begin function _ZL24rocblas_dot_kernel_magsqIlLb0ELi512ELi2ELb0EdPKPKddEviT5_lT_liPT6_PT4_
	.p2align	8
	.type	_ZL24rocblas_dot_kernel_magsqIlLb0ELi512ELi2ELb0EdPKPKddEviT5_lT_liPT6_PT4_,@function
_ZL24rocblas_dot_kernel_magsqIlLb0ELi512ELi2ELb0EdPKPKddEviT5_lT_liPT6_PT4_: ; @_ZL24rocblas_dot_kernel_magsqIlLb0ELi512ELi2ELb0EdPKPKddEviT5_lT_liPT6_PT4_
; %bb.0:
	s_clause 0x1
	s_load_b32 s10, s[0:1], 0x0
	s_load_b32 s3, s[0:1], 0x40
	v_mov_b32_e32 v1, 0
	v_lshl_or_b32 v3, s14, 9, v0
	v_mov_b32_e32 v2, 0
	s_mov_b32 s8, s15
	s_mov_b32 s9, 0
	s_mov_b32 s2, exec_lo
	s_waitcnt lgkmcnt(0)
	v_cmpx_gt_i32_e64 s10, v3
	s_cbranch_execz .LBB208_4
; %bb.1:
	s_clause 0x1
	s_load_b64 s[12:13], s[0:1], 0x8
	s_load_b128 s[4:7], s[0:1], 0x10
	s_lshl_b64 s[16:17], s[8:9], 3
	v_ashrrev_i32_e32 v1, 31, v3
	s_waitcnt lgkmcnt(0)
	s_add_u32 s12, s12, s16
	s_addc_u32 s13, s13, s17
	v_mul_lo_u32 v4, v3, s7
	s_load_b64 s[12:13], s[12:13], 0x0
	v_mul_lo_u32 v5, v1, s6
	v_mad_u64_u32 v[1:2], null, v3, s6, 0
	s_lshl_b64 s[4:5], s[4:5], 3
	s_delay_alu instid0(VALU_DEP_1) | instskip(NEXT) | instid1(VALU_DEP_1)
	v_add3_u32 v2, v2, v4, v5
	v_lshlrev_b64 v[1:2], 3, v[1:2]
	s_waitcnt lgkmcnt(0)
	s_add_u32 s4, s12, s4
	s_addc_u32 s5, s13, s5
	s_delay_alu instid0(VALU_DEP_1) | instskip(NEXT) | instid1(VALU_DEP_2)
	v_add_co_u32 v1, vcc_lo, s4, v1
	v_add_co_ci_u32_e32 v2, vcc_lo, s5, v2, vcc_lo
	s_add_i32 s11, s14, s3
	s_delay_alu instid0(SALU_CYCLE_1)
	v_lshl_or_b32 v3, s11, 9, v0
	global_load_b64 v[1:2], v[1:2], off
	v_cmp_gt_i32_e32 vcc_lo, s10, v3
	s_waitcnt vmcnt(0)
	v_mul_f64 v[1:2], v[1:2], v[1:2]
	s_and_saveexec_b32 s10, vcc_lo
	s_cbranch_execz .LBB208_3
; %bb.2:
	v_ashrrev_i32_e32 v6, 31, v3
	v_mul_lo_u32 v7, v3, s7
	v_mad_u64_u32 v[4:5], null, v3, s6, 0
	s_delay_alu instid0(VALU_DEP_3) | instskip(NEXT) | instid1(VALU_DEP_1)
	v_mul_lo_u32 v3, v6, s6
	v_add3_u32 v5, v5, v7, v3
	s_delay_alu instid0(VALU_DEP_1) | instskip(NEXT) | instid1(VALU_DEP_1)
	v_lshlrev_b64 v[3:4], 3, v[4:5]
	v_add_co_u32 v3, vcc_lo, s4, v3
	s_delay_alu instid0(VALU_DEP_2)
	v_add_co_ci_u32_e32 v4, vcc_lo, s5, v4, vcc_lo
	global_load_b64 v[3:4], v[3:4], off
	s_waitcnt vmcnt(0)
	v_fma_f64 v[1:2], v[3:4], v[3:4], v[1:2]
.LBB208_3:
	s_or_b32 exec_lo, exec_lo, s10
.LBB208_4:
	s_delay_alu instid0(SALU_CYCLE_1) | instskip(SKIP_2) | instid1(VALU_DEP_2)
	s_or_b32 exec_lo, exec_lo, s2
	v_and_b32_e32 v10, 31, v0
	v_cmp_gt_u32_e32 vcc_lo, 32, v0
	v_lshlrev_b32_e32 v5, 3, v10
	s_and_saveexec_b32 s2, vcc_lo
	s_cbranch_execz .LBB208_6
; %bb.5:
	v_mov_b32_e32 v3, 0
	s_delay_alu instid0(VALU_DEP_1)
	v_mov_b32_e32 v4, v3
	ds_store_b64 v5, v[3:4]
.LBB208_6:
	s_or_b32 exec_lo, exec_lo, s2
	v_mbcnt_lo_u32_b32 v9, -1, 0
	s_mov_b32 s4, exec_lo
	s_waitcnt lgkmcnt(0)
	s_barrier
	buffer_gl0_inv
	v_cmp_gt_u32_e64 s2, 16, v9
	s_delay_alu instid0(VALU_DEP_1) | instskip(SKIP_1) | instid1(VALU_DEP_2)
	v_cndmask_b32_e64 v3, 0, 1, s2
	v_cmp_gt_u32_e64 s2, 24, v9
	v_lshlrev_b32_e32 v3, 4, v3
	s_delay_alu instid0(VALU_DEP_1)
	v_add_lshl_u32 v4, v3, v9, 2
	ds_bpermute_b32 v3, v4, v1
	ds_bpermute_b32 v4, v4, v2
	s_waitcnt lgkmcnt(0)
	v_add_f64 v[1:2], v[1:2], v[3:4]
	v_cndmask_b32_e64 v3, 0, 1, s2
	v_cmp_gt_u32_e64 s2, 28, v9
	s_delay_alu instid0(VALU_DEP_2) | instskip(NEXT) | instid1(VALU_DEP_1)
	v_lshlrev_b32_e32 v3, 3, v3
	v_add_lshl_u32 v6, v3, v9, 2
	ds_bpermute_b32 v3, v6, v1
	ds_bpermute_b32 v4, v6, v2
	s_waitcnt lgkmcnt(0)
	v_add_f64 v[1:2], v[1:2], v[3:4]
	v_cndmask_b32_e64 v3, 0, 1, s2
	v_cmp_gt_u32_e64 s2, 30, v9
	s_delay_alu instid0(VALU_DEP_2) | instskip(NEXT) | instid1(VALU_DEP_1)
	v_lshlrev_b32_e32 v3, 2, v3
	v_add_lshl_u32 v7, v3, v9, 2
	ds_bpermute_b32 v3, v7, v1
	ds_bpermute_b32 v4, v7, v2
	s_waitcnt lgkmcnt(0)
	v_add_f64 v[1:2], v[1:2], v[3:4]
	v_cndmask_b32_e64 v3, 0, 1, s2
	v_cmp_ne_u32_e64 s2, 31, v9
	s_delay_alu instid0(VALU_DEP_2) | instskip(NEXT) | instid1(VALU_DEP_1)
	v_lshlrev_b32_e32 v3, 1, v3
	v_add_lshl_u32 v8, v3, v9, 2
	ds_bpermute_b32 v3, v8, v1
	ds_bpermute_b32 v4, v8, v2
	s_waitcnt lgkmcnt(0)
	v_add_f64 v[1:2], v[1:2], v[3:4]
	v_add_co_ci_u32_e64 v3, s2, 0, v9, s2
	s_delay_alu instid0(VALU_DEP_1)
	v_lshlrev_b32_e32 v9, 2, v3
	ds_bpermute_b32 v3, v9, v1
	ds_bpermute_b32 v4, v9, v2
	v_cmpx_eq_u32_e32 0, v10
	s_cbranch_execz .LBB208_8
; %bb.7:
	s_waitcnt lgkmcnt(0)
	v_add_f64 v[1:2], v[1:2], v[3:4]
	v_lshrrev_b32_e32 v3, 2, v0
	s_delay_alu instid0(VALU_DEP_1)
	v_and_b32_e32 v3, 0x78, v3
	ds_store_b64 v3, v[1:2]
.LBB208_8:
	s_or_b32 exec_lo, exec_lo, s4
	v_mov_b32_e32 v1, 0
	v_mov_b32_e32 v2, 0
	s_mov_b32 s4, exec_lo
	s_waitcnt lgkmcnt(0)
	s_barrier
	buffer_gl0_inv
	v_cmpx_gt_u32_e32 16, v0
	s_cbranch_execz .LBB208_10
; %bb.9:
	ds_load_b64 v[1:2], v5
.LBB208_10:
	s_or_b32 exec_lo, exec_lo, s4
	s_and_saveexec_b32 s2, vcc_lo
	s_cbranch_execz .LBB208_12
; %bb.11:
	s_waitcnt lgkmcnt(0)
	ds_bpermute_b32 v3, v6, v1
	ds_bpermute_b32 v4, v6, v2
	s_waitcnt lgkmcnt(0)
	v_add_f64 v[1:2], v[1:2], v[3:4]
	ds_bpermute_b32 v3, v7, v1
	ds_bpermute_b32 v4, v7, v2
	s_waitcnt lgkmcnt(0)
	v_add_f64 v[1:2], v[1:2], v[3:4]
	;; [unrolled: 4-line block ×4, first 2 shown]
.LBB208_12:
	s_or_b32 exec_lo, exec_lo, s2
	s_delay_alu instid0(SALU_CYCLE_1)
	s_mov_b32 s2, exec_lo
	v_cmpx_eq_u32_e32 0, v0
	s_cbranch_execz .LBB208_18
; %bb.13:
	s_cmp_lg_u32 s3, 1
	s_cbranch_scc0 .LBB208_15
; %bb.14:
	s_load_b64 s[4:5], s[0:1], 0x30
	s_mul_hi_u32 s7, s3, s8
	s_mul_i32 s6, s3, s8
	s_mov_b32 s15, 0
	s_lshl_b64 s[2:3], s[6:7], 3
	s_waitcnt lgkmcnt(0)
	s_add_u32 s4, s4, s2
	s_addc_u32 s5, s5, s3
	s_lshl_b64 s[2:3], s[14:15], 3
	s_delay_alu instid0(SALU_CYCLE_1)
	s_add_u32 s2, s4, s2
	s_addc_u32 s3, s5, s3
	s_cbranch_execz .LBB208_16
	s_branch .LBB208_17
.LBB208_15:
                                        ; implicit-def: $sgpr2_sgpr3
.LBB208_16:
	s_load_b64 s[0:1], s[0:1], 0x38
	s_lshl_b64 s[2:3], s[8:9], 3
	s_waitcnt lgkmcnt(0)
	s_add_u32 s2, s0, s2
	s_addc_u32 s3, s1, s3
.LBB208_17:
	v_mov_b32_e32 v0, 0
	s_waitcnt lgkmcnt(0)
	global_store_b64 v0, v[1:2], s[2:3]
.LBB208_18:
	s_nop 0
	s_sendmsg sendmsg(MSG_DEALLOC_VGPRS)
	s_endpgm
	.section	.rodata,"a",@progbits
	.p2align	6, 0x0
	.amdhsa_kernel _ZL24rocblas_dot_kernel_magsqIlLb0ELi512ELi2ELb0EdPKPKddEviT5_lT_liPT6_PT4_
		.amdhsa_group_segment_fixed_size 256
		.amdhsa_private_segment_fixed_size 0
		.amdhsa_kernarg_size 320
		.amdhsa_user_sgpr_count 14
		.amdhsa_user_sgpr_dispatch_ptr 0
		.amdhsa_user_sgpr_queue_ptr 0
		.amdhsa_user_sgpr_kernarg_segment_ptr 1
		.amdhsa_user_sgpr_dispatch_id 0
		.amdhsa_user_sgpr_private_segment_size 0
		.amdhsa_wavefront_size32 1
		.amdhsa_uses_dynamic_stack 0
		.amdhsa_enable_private_segment 0
		.amdhsa_system_sgpr_workgroup_id_x 1
		.amdhsa_system_sgpr_workgroup_id_y 0
		.amdhsa_system_sgpr_workgroup_id_z 1
		.amdhsa_system_sgpr_workgroup_info 0
		.amdhsa_system_vgpr_workitem_id 0
		.amdhsa_next_free_vgpr 11
		.amdhsa_next_free_sgpr 18
		.amdhsa_reserve_vcc 1
		.amdhsa_float_round_mode_32 0
		.amdhsa_float_round_mode_16_64 0
		.amdhsa_float_denorm_mode_32 3
		.amdhsa_float_denorm_mode_16_64 3
		.amdhsa_dx10_clamp 1
		.amdhsa_ieee_mode 1
		.amdhsa_fp16_overflow 0
		.amdhsa_workgroup_processor_mode 1
		.amdhsa_memory_ordered 1
		.amdhsa_forward_progress 0
		.amdhsa_shared_vgpr_count 0
		.amdhsa_exception_fp_ieee_invalid_op 0
		.amdhsa_exception_fp_denorm_src 0
		.amdhsa_exception_fp_ieee_div_zero 0
		.amdhsa_exception_fp_ieee_overflow 0
		.amdhsa_exception_fp_ieee_underflow 0
		.amdhsa_exception_fp_ieee_inexact 0
		.amdhsa_exception_int_div_zero 0
	.end_amdhsa_kernel
	.section	.text._ZL24rocblas_dot_kernel_magsqIlLb0ELi512ELi2ELb0EdPKPKddEviT5_lT_liPT6_PT4_,"axG",@progbits,_ZL24rocblas_dot_kernel_magsqIlLb0ELi512ELi2ELb0EdPKPKddEviT5_lT_liPT6_PT4_,comdat
.Lfunc_end208:
	.size	_ZL24rocblas_dot_kernel_magsqIlLb0ELi512ELi2ELb0EdPKPKddEviT5_lT_liPT6_PT4_, .Lfunc_end208-_ZL24rocblas_dot_kernel_magsqIlLb0ELi512ELi2ELb0EdPKPKddEviT5_lT_liPT6_PT4_
                                        ; -- End function
	.section	.AMDGPU.csdata,"",@progbits
; Kernel info:
; codeLenInByte = 1052
; NumSgprs: 20
; NumVgprs: 11
; ScratchSize: 0
; MemoryBound: 0
; FloatMode: 240
; IeeeMode: 1
; LDSByteSize: 256 bytes/workgroup (compile time only)
; SGPRBlocks: 2
; VGPRBlocks: 1
; NumSGPRsForWavesPerEU: 20
; NumVGPRsForWavesPerEU: 11
; Occupancy: 16
; WaveLimiterHint : 1
; COMPUTE_PGM_RSRC2:SCRATCH_EN: 0
; COMPUTE_PGM_RSRC2:USER_SGPR: 14
; COMPUTE_PGM_RSRC2:TRAP_HANDLER: 0
; COMPUTE_PGM_RSRC2:TGID_X_EN: 1
; COMPUTE_PGM_RSRC2:TGID_Y_EN: 0
; COMPUTE_PGM_RSRC2:TGID_Z_EN: 1
; COMPUTE_PGM_RSRC2:TIDIG_COMP_CNT: 0
	.section	.text._ZL28rocblas_dot_batched_4_kernelIiLi32ELi4ELb0E19rocblas_complex_numIfES1_PKPKS1_EviT5_lT_lS6_lS7_liPT4_,"axG",@progbits,_ZL28rocblas_dot_batched_4_kernelIiLi32ELi4ELb0E19rocblas_complex_numIfES1_PKPKS1_EviT5_lT_lS6_lS7_liPT4_,comdat
	.globl	_ZL28rocblas_dot_batched_4_kernelIiLi32ELi4ELb0E19rocblas_complex_numIfES1_PKPKS1_EviT5_lT_lS6_lS7_liPT4_ ; -- Begin function _ZL28rocblas_dot_batched_4_kernelIiLi32ELi4ELb0E19rocblas_complex_numIfES1_PKPKS1_EviT5_lT_lS6_lS7_liPT4_
	.p2align	8
	.type	_ZL28rocblas_dot_batched_4_kernelIiLi32ELi4ELb0E19rocblas_complex_numIfES1_PKPKS1_EviT5_lT_lS6_lS7_liPT4_,@function
_ZL28rocblas_dot_batched_4_kernelIiLi32ELi4ELb0E19rocblas_complex_numIfES1_PKPKS1_EviT5_lT_lS6_lS7_liPT4_: ; @_ZL28rocblas_dot_batched_4_kernelIiLi32ELi4ELb0E19rocblas_complex_numIfES1_PKPKS1_EviT5_lT_lS6_lS7_liPT4_
; %bb.0:
	s_load_b32 s2, s[0:1], 0x48
	v_bfe_u32 v1, v0, 10, 10
	s_delay_alu instid0(VALU_DEP_1) | instskip(SKIP_1) | instid1(VALU_DEP_1)
	v_lshl_add_u32 v1, s15, 2, v1
	s_waitcnt lgkmcnt(0)
	v_cmp_gt_u32_e32 vcc_lo, s2, v1
	s_and_saveexec_b32 s2, vcc_lo
	s_cbranch_execz .LBB209_7
; %bb.1:
	s_clause 0x1
	s_load_b32 s12, s[0:1], 0x0
	s_load_b64 s[2:3], s[0:1], 0x50
	v_dual_mov_b32 v2, 0 :: v_dual_and_b32 v7, 0x3ff, v0
	s_mov_b32 s13, exec_lo
	s_delay_alu instid0(VALU_DEP_1)
	v_lshlrev_b64 v[0:1], 3, v[1:2]
	v_mov_b32_e32 v8, v2
	s_waitcnt lgkmcnt(0)
	v_cmpx_gt_i32_e64 s12, v7
	s_cbranch_execz .LBB209_5
; %bb.2:
	s_clause 0x3
	s_load_b128 s[8:11], s[0:1], 0x28
	s_load_b128 s[4:7], s[0:1], 0x8
	s_load_b32 s14, s[0:1], 0x18
	s_load_b32 s0, s[0:1], 0x38
	v_mov_b32_e32 v9, v7
	s_waitcnt lgkmcnt(0)
	v_add_co_u32 v2, vcc_lo, s8, v0
	v_add_co_ci_u32_e32 v3, vcc_lo, s9, v1, vcc_lo
	v_add_co_u32 v4, vcc_lo, s4, v0
	v_add_co_ci_u32_e32 v5, vcc_lo, s5, v1, vcc_lo
	global_load_b64 v[10:11], v[2:3], off
	global_load_b64 v[3:4], v[4:5], off
	v_mad_i64_i32 v[5:6], null, s0, v7, 0
	v_mad_i64_i32 v[12:13], null, s14, v7, 0
	s_lshl_b64 s[4:5], s[10:11], 3
	s_lshl_b64 s[6:7], s[6:7], 3
	v_mov_b32_e32 v2, 0
	s_ashr_i32 s15, s14, 31
	s_delay_alu instid0(VALU_DEP_3) | instskip(SKIP_1) | instid1(VALU_DEP_3)
	v_lshlrev_b64 v[5:6], 3, v[5:6]
	s_ashr_i32 s1, s0, 31
	v_lshlrev_b64 v[12:13], 3, v[12:13]
	s_delay_alu instid0(VALU_DEP_2) | instskip(NEXT) | instid1(VALU_DEP_3)
	v_add_co_u32 v5, vcc_lo, v5, s4
	v_add_co_ci_u32_e32 v6, vcc_lo, s5, v6, vcc_lo
	s_delay_alu instid0(VALU_DEP_3) | instskip(NEXT) | instid1(VALU_DEP_4)
	v_add_co_u32 v8, vcc_lo, v12, s6
	v_add_co_ci_u32_e32 v12, vcc_lo, s7, v13, vcc_lo
	s_lshl_b64 s[4:5], s[0:1], 8
	s_lshl_b64 s[6:7], s[14:15], 8
	s_mov_b32 s1, 0
	s_waitcnt vmcnt(1)
	v_add_co_u32 v5, vcc_lo, v5, v10
	v_add_co_ci_u32_e32 v6, vcc_lo, v6, v11, vcc_lo
	s_waitcnt vmcnt(0)
	v_add_co_u32 v8, vcc_lo, v8, v3
	v_add_co_ci_u32_e32 v10, vcc_lo, v12, v4, vcc_lo
	v_add_co_u32 v3, vcc_lo, v5, 4
	v_add_co_ci_u32_e32 v4, vcc_lo, 0, v6, vcc_lo
	s_delay_alu instid0(VALU_DEP_4) | instskip(NEXT) | instid1(VALU_DEP_4)
	v_add_co_u32 v5, vcc_lo, v8, 4
	v_add_co_ci_u32_e32 v6, vcc_lo, 0, v10, vcc_lo
	v_mov_b32_e32 v8, 0
	.p2align	6
.LBB209_3:                              ; =>This Inner Loop Header: Depth=1
	global_load_b64 v[10:11], v[5:6], off offset:-4
	global_load_b64 v[12:13], v[3:4], off offset:-4
	v_add_co_u32 v3, vcc_lo, v3, s4
	v_add_co_ci_u32_e32 v4, vcc_lo, s5, v4, vcc_lo
	v_add_co_u32 v5, vcc_lo, v5, s6
	v_add_co_ci_u32_e32 v6, vcc_lo, s7, v6, vcc_lo
	s_waitcnt vmcnt(0)
	v_mul_f32_e32 v14, v11, v13
	v_mul_f32_e32 v13, v10, v13
	s_delay_alu instid0(VALU_DEP_2) | instskip(SKIP_1) | instid1(VALU_DEP_2)
	v_fma_f32 v10, v10, v12, -v14
	v_add_nc_u32_e32 v9, 32, v9
	v_dual_fmac_f32 v13, v11, v12 :: v_dual_add_f32 v2, v2, v10
	s_delay_alu instid0(VALU_DEP_2) | instskip(NEXT) | instid1(VALU_DEP_2)
	v_cmp_le_i32_e64 s0, s12, v9
	v_add_f32_e32 v8, v8, v13
	s_delay_alu instid0(VALU_DEP_2) | instskip(NEXT) | instid1(SALU_CYCLE_1)
	s_or_b32 s1, s0, s1
	s_and_not1_b32 exec_lo, exec_lo, s1
	s_cbranch_execnz .LBB209_3
; %bb.4:
	s_or_b32 exec_lo, exec_lo, s1
.LBB209_5:
	s_delay_alu instid0(SALU_CYCLE_1)
	s_or_b32 exec_lo, exec_lo, s13
	v_mbcnt_lo_u32_b32 v3, -1, 0
	s_barrier
	buffer_gl0_inv
	v_cmp_gt_u32_e32 vcc_lo, 16, v3
	v_cndmask_b32_e64 v4, 0, 1, vcc_lo
	v_cmp_gt_u32_e32 vcc_lo, 24, v3
	s_delay_alu instid0(VALU_DEP_2) | instskip(SKIP_2) | instid1(VALU_DEP_3)
	v_lshlrev_b32_e32 v4, 4, v4
	v_cndmask_b32_e64 v6, 0, 1, vcc_lo
	v_cmp_gt_u32_e32 vcc_lo, 28, v3
	v_add_lshl_u32 v4, v4, v3, 2
	s_delay_alu instid0(VALU_DEP_3)
	v_lshlrev_b32_e32 v6, 3, v6
	ds_bpermute_b32 v5, v4, v2
	ds_bpermute_b32 v4, v4, v8
	v_add_lshl_u32 v6, v6, v3, 2
	s_waitcnt lgkmcnt(1)
	v_add_f32_e32 v2, v2, v5
	s_waitcnt lgkmcnt(0)
	v_add_f32_e32 v4, v8, v4
	v_cndmask_b32_e64 v8, 0, 1, vcc_lo
	v_cmp_gt_u32_e32 vcc_lo, 30, v3
	ds_bpermute_b32 v5, v6, v2
	ds_bpermute_b32 v6, v6, v4
	v_lshlrev_b32_e32 v8, 2, v8
	s_delay_alu instid0(VALU_DEP_1)
	v_add_lshl_u32 v8, v8, v3, 2
	s_waitcnt lgkmcnt(1)
	v_add_f32_e32 v2, v2, v5
	s_waitcnt lgkmcnt(0)
	v_add_f32_e32 v4, v4, v6
	ds_bpermute_b32 v5, v8, v2
	ds_bpermute_b32 v6, v8, v4
	v_cndmask_b32_e64 v8, 0, 1, vcc_lo
	v_cmp_ne_u32_e32 vcc_lo, 31, v3
	s_delay_alu instid0(VALU_DEP_2) | instskip(NEXT) | instid1(VALU_DEP_1)
	v_lshlrev_b32_e32 v8, 1, v8
	v_add_lshl_u32 v8, v8, v3, 2
	v_add_co_ci_u32_e32 v3, vcc_lo, 0, v3, vcc_lo
	v_cmp_eq_u32_e32 vcc_lo, 0, v7
	s_waitcnt lgkmcnt(1)
	v_add_f32_e32 v2, v2, v5
	s_waitcnt lgkmcnt(0)
	v_add_f32_e32 v4, v4, v6
	ds_bpermute_b32 v5, v8, v2
	ds_bpermute_b32 v6, v8, v4
	v_lshlrev_b32_e32 v8, 2, v3
	s_waitcnt lgkmcnt(0)
	v_dual_add_f32 v2, v2, v5 :: v_dual_add_f32 v3, v4, v6
	ds_bpermute_b32 v4, v8, v2
	ds_bpermute_b32 v5, v8, v3
	s_and_b32 exec_lo, exec_lo, vcc_lo
	s_cbranch_execz .LBB209_7
; %bb.6:
	v_add_co_u32 v0, vcc_lo, s2, v0
	v_add_co_ci_u32_e32 v1, vcc_lo, s3, v1, vcc_lo
	s_waitcnt lgkmcnt(0)
	v_dual_add_f32 v3, v3, v5 :: v_dual_add_f32 v2, v2, v4
	global_store_b64 v[0:1], v[2:3], off
.LBB209_7:
	s_nop 0
	s_sendmsg sendmsg(MSG_DEALLOC_VGPRS)
	s_endpgm
	.section	.rodata,"a",@progbits
	.p2align	6, 0x0
	.amdhsa_kernel _ZL28rocblas_dot_batched_4_kernelIiLi32ELi4ELb0E19rocblas_complex_numIfES1_PKPKS1_EviT5_lT_lS6_lS7_liPT4_
		.amdhsa_group_segment_fixed_size 0
		.amdhsa_private_segment_fixed_size 0
		.amdhsa_kernarg_size 88
		.amdhsa_user_sgpr_count 15
		.amdhsa_user_sgpr_dispatch_ptr 0
		.amdhsa_user_sgpr_queue_ptr 0
		.amdhsa_user_sgpr_kernarg_segment_ptr 1
		.amdhsa_user_sgpr_dispatch_id 0
		.amdhsa_user_sgpr_private_segment_size 0
		.amdhsa_wavefront_size32 1
		.amdhsa_uses_dynamic_stack 0
		.amdhsa_enable_private_segment 0
		.amdhsa_system_sgpr_workgroup_id_x 1
		.amdhsa_system_sgpr_workgroup_id_y 0
		.amdhsa_system_sgpr_workgroup_id_z 0
		.amdhsa_system_sgpr_workgroup_info 0
		.amdhsa_system_vgpr_workitem_id 1
		.amdhsa_next_free_vgpr 15
		.amdhsa_next_free_sgpr 16
		.amdhsa_reserve_vcc 1
		.amdhsa_float_round_mode_32 0
		.amdhsa_float_round_mode_16_64 0
		.amdhsa_float_denorm_mode_32 3
		.amdhsa_float_denorm_mode_16_64 3
		.amdhsa_dx10_clamp 1
		.amdhsa_ieee_mode 1
		.amdhsa_fp16_overflow 0
		.amdhsa_workgroup_processor_mode 1
		.amdhsa_memory_ordered 1
		.amdhsa_forward_progress 0
		.amdhsa_shared_vgpr_count 0
		.amdhsa_exception_fp_ieee_invalid_op 0
		.amdhsa_exception_fp_denorm_src 0
		.amdhsa_exception_fp_ieee_div_zero 0
		.amdhsa_exception_fp_ieee_overflow 0
		.amdhsa_exception_fp_ieee_underflow 0
		.amdhsa_exception_fp_ieee_inexact 0
		.amdhsa_exception_int_div_zero 0
	.end_amdhsa_kernel
	.section	.text._ZL28rocblas_dot_batched_4_kernelIiLi32ELi4ELb0E19rocblas_complex_numIfES1_PKPKS1_EviT5_lT_lS6_lS7_liPT4_,"axG",@progbits,_ZL28rocblas_dot_batched_4_kernelIiLi32ELi4ELb0E19rocblas_complex_numIfES1_PKPKS1_EviT5_lT_lS6_lS7_liPT4_,comdat
.Lfunc_end209:
	.size	_ZL28rocblas_dot_batched_4_kernelIiLi32ELi4ELb0E19rocblas_complex_numIfES1_PKPKS1_EviT5_lT_lS6_lS7_liPT4_, .Lfunc_end209-_ZL28rocblas_dot_batched_4_kernelIiLi32ELi4ELb0E19rocblas_complex_numIfES1_PKPKS1_EviT5_lT_lS6_lS7_liPT4_
                                        ; -- End function
	.section	.AMDGPU.csdata,"",@progbits
; Kernel info:
; codeLenInByte = 820
; NumSgprs: 18
; NumVgprs: 15
; ScratchSize: 0
; MemoryBound: 0
; FloatMode: 240
; IeeeMode: 1
; LDSByteSize: 0 bytes/workgroup (compile time only)
; SGPRBlocks: 2
; VGPRBlocks: 1
; NumSGPRsForWavesPerEU: 18
; NumVGPRsForWavesPerEU: 15
; Occupancy: 16
; WaveLimiterHint : 0
; COMPUTE_PGM_RSRC2:SCRATCH_EN: 0
; COMPUTE_PGM_RSRC2:USER_SGPR: 15
; COMPUTE_PGM_RSRC2:TRAP_HANDLER: 0
; COMPUTE_PGM_RSRC2:TGID_X_EN: 1
; COMPUTE_PGM_RSRC2:TGID_Y_EN: 0
; COMPUTE_PGM_RSRC2:TGID_Z_EN: 0
; COMPUTE_PGM_RSRC2:TIDIG_COMP_CNT: 1
	.section	.text._ZL28rocblas_dot_batched_4_kernelIiLi64ELi4ELb0E19rocblas_complex_numIfES1_PKPKS1_EviT5_lT_lS6_lS7_liPT4_,"axG",@progbits,_ZL28rocblas_dot_batched_4_kernelIiLi64ELi4ELb0E19rocblas_complex_numIfES1_PKPKS1_EviT5_lT_lS6_lS7_liPT4_,comdat
	.globl	_ZL28rocblas_dot_batched_4_kernelIiLi64ELi4ELb0E19rocblas_complex_numIfES1_PKPKS1_EviT5_lT_lS6_lS7_liPT4_ ; -- Begin function _ZL28rocblas_dot_batched_4_kernelIiLi64ELi4ELb0E19rocblas_complex_numIfES1_PKPKS1_EviT5_lT_lS6_lS7_liPT4_
	.p2align	8
	.type	_ZL28rocblas_dot_batched_4_kernelIiLi64ELi4ELb0E19rocblas_complex_numIfES1_PKPKS1_EviT5_lT_lS6_lS7_liPT4_,@function
_ZL28rocblas_dot_batched_4_kernelIiLi64ELi4ELb0E19rocblas_complex_numIfES1_PKPKS1_EviT5_lT_lS6_lS7_liPT4_: ; @_ZL28rocblas_dot_batched_4_kernelIiLi64ELi4ELb0E19rocblas_complex_numIfES1_PKPKS1_EviT5_lT_lS6_lS7_liPT4_
; %bb.0:
	s_load_b32 s2, s[0:1], 0x48
	v_bfe_u32 v1, v0, 10, 10
	s_delay_alu instid0(VALU_DEP_1) | instskip(SKIP_1) | instid1(VALU_DEP_1)
	v_lshl_add_u32 v1, s15, 2, v1
	s_waitcnt lgkmcnt(0)
	v_cmp_gt_u32_e32 vcc_lo, s2, v1
	s_and_saveexec_b32 s2, vcc_lo
	s_cbranch_execz .LBB210_7
; %bb.1:
	s_clause 0x1
	s_load_b32 s12, s[0:1], 0x0
	s_load_b64 s[2:3], s[0:1], 0x50
	v_dual_mov_b32 v2, 0 :: v_dual_and_b32 v7, 0x3ff, v0
	s_mov_b32 s13, exec_lo
	s_delay_alu instid0(VALU_DEP_1)
	v_lshlrev_b64 v[0:1], 3, v[1:2]
	v_mov_b32_e32 v8, v2
	s_waitcnt lgkmcnt(0)
	v_cmpx_gt_i32_e64 s12, v7
	s_cbranch_execz .LBB210_5
; %bb.2:
	s_clause 0x3
	s_load_b128 s[8:11], s[0:1], 0x28
	s_load_b128 s[4:7], s[0:1], 0x8
	s_load_b32 s14, s[0:1], 0x18
	s_load_b32 s0, s[0:1], 0x38
	v_mov_b32_e32 v9, v7
	s_waitcnt lgkmcnt(0)
	v_add_co_u32 v2, vcc_lo, s8, v0
	v_add_co_ci_u32_e32 v3, vcc_lo, s9, v1, vcc_lo
	v_add_co_u32 v4, vcc_lo, s4, v0
	v_add_co_ci_u32_e32 v5, vcc_lo, s5, v1, vcc_lo
	global_load_b64 v[10:11], v[2:3], off
	global_load_b64 v[3:4], v[4:5], off
	v_mad_i64_i32 v[5:6], null, s0, v7, 0
	v_mad_i64_i32 v[12:13], null, s14, v7, 0
	s_lshl_b64 s[4:5], s[10:11], 3
	s_lshl_b64 s[6:7], s[6:7], 3
	v_mov_b32_e32 v2, 0
	s_ashr_i32 s15, s14, 31
	s_delay_alu instid0(VALU_DEP_3) | instskip(SKIP_1) | instid1(VALU_DEP_3)
	v_lshlrev_b64 v[5:6], 3, v[5:6]
	s_ashr_i32 s1, s0, 31
	v_lshlrev_b64 v[12:13], 3, v[12:13]
	s_delay_alu instid0(VALU_DEP_2) | instskip(NEXT) | instid1(VALU_DEP_3)
	v_add_co_u32 v5, vcc_lo, v5, s4
	v_add_co_ci_u32_e32 v6, vcc_lo, s5, v6, vcc_lo
	s_delay_alu instid0(VALU_DEP_3) | instskip(NEXT) | instid1(VALU_DEP_4)
	v_add_co_u32 v8, vcc_lo, v12, s6
	v_add_co_ci_u32_e32 v12, vcc_lo, s7, v13, vcc_lo
	s_lshl_b64 s[4:5], s[0:1], 9
	s_lshl_b64 s[6:7], s[14:15], 9
	s_mov_b32 s1, 0
	s_waitcnt vmcnt(1)
	v_add_co_u32 v5, vcc_lo, v5, v10
	v_add_co_ci_u32_e32 v6, vcc_lo, v6, v11, vcc_lo
	s_waitcnt vmcnt(0)
	v_add_co_u32 v8, vcc_lo, v8, v3
	v_add_co_ci_u32_e32 v10, vcc_lo, v12, v4, vcc_lo
	v_add_co_u32 v3, vcc_lo, v5, 4
	v_add_co_ci_u32_e32 v4, vcc_lo, 0, v6, vcc_lo
	s_delay_alu instid0(VALU_DEP_4) | instskip(NEXT) | instid1(VALU_DEP_4)
	v_add_co_u32 v5, vcc_lo, v8, 4
	v_add_co_ci_u32_e32 v6, vcc_lo, 0, v10, vcc_lo
	v_mov_b32_e32 v8, 0
	.p2align	6
.LBB210_3:                              ; =>This Inner Loop Header: Depth=1
	global_load_b64 v[10:11], v[5:6], off offset:-4
	global_load_b64 v[12:13], v[3:4], off offset:-4
	v_add_co_u32 v3, vcc_lo, v3, s4
	v_add_co_ci_u32_e32 v4, vcc_lo, s5, v4, vcc_lo
	v_add_co_u32 v5, vcc_lo, v5, s6
	v_add_co_ci_u32_e32 v6, vcc_lo, s7, v6, vcc_lo
	s_waitcnt vmcnt(0)
	v_mul_f32_e32 v14, v11, v13
	v_mul_f32_e32 v13, v10, v13
	s_delay_alu instid0(VALU_DEP_2) | instskip(SKIP_1) | instid1(VALU_DEP_2)
	v_fma_f32 v10, v10, v12, -v14
	v_add_nc_u32_e32 v9, 64, v9
	v_dual_fmac_f32 v13, v11, v12 :: v_dual_add_f32 v2, v2, v10
	s_delay_alu instid0(VALU_DEP_2) | instskip(NEXT) | instid1(VALU_DEP_2)
	v_cmp_le_i32_e64 s0, s12, v9
	v_add_f32_e32 v8, v8, v13
	s_delay_alu instid0(VALU_DEP_2) | instskip(NEXT) | instid1(SALU_CYCLE_1)
	s_or_b32 s1, s0, s1
	s_and_not1_b32 exec_lo, exec_lo, s1
	s_cbranch_execnz .LBB210_3
; %bb.4:
	s_or_b32 exec_lo, exec_lo, s1
.LBB210_5:
	s_delay_alu instid0(SALU_CYCLE_1)
	s_or_b32 exec_lo, exec_lo, s13
	v_mbcnt_lo_u32_b32 v3, -1, 0
	s_barrier
	buffer_gl0_inv
	v_lshlrev_b32_e32 v4, 2, v3
	v_cmp_gt_u32_e32 vcc_lo, 16, v3
	ds_bpermute_b32 v5, v4, v2
	ds_bpermute_b32 v4, v4, v8
	v_cndmask_b32_e64 v6, 0, 1, vcc_lo
	v_cmp_gt_u32_e32 vcc_lo, 24, v3
	s_delay_alu instid0(VALU_DEP_2) | instskip(NEXT) | instid1(VALU_DEP_1)
	v_lshlrev_b32_e32 v6, 4, v6
	v_add_lshl_u32 v6, v6, v3, 2
	s_waitcnt lgkmcnt(1)
	v_add_f32_e32 v2, v2, v5
	s_waitcnt lgkmcnt(0)
	v_add_f32_e32 v4, v8, v4
	v_cndmask_b32_e64 v8, 0, 1, vcc_lo
	v_cmp_gt_u32_e32 vcc_lo, 28, v3
	ds_bpermute_b32 v5, v6, v2
	ds_bpermute_b32 v6, v6, v4
	v_lshlrev_b32_e32 v8, 3, v8
	s_delay_alu instid0(VALU_DEP_1)
	v_add_lshl_u32 v8, v8, v3, 2
	s_waitcnt lgkmcnt(1)
	v_add_f32_e32 v2, v2, v5
	s_waitcnt lgkmcnt(0)
	v_add_f32_e32 v4, v4, v6
	ds_bpermute_b32 v5, v8, v2
	ds_bpermute_b32 v6, v8, v4
	v_cndmask_b32_e64 v8, 0, 1, vcc_lo
	v_cmp_gt_u32_e32 vcc_lo, 30, v3
	s_delay_alu instid0(VALU_DEP_2) | instskip(NEXT) | instid1(VALU_DEP_1)
	v_lshlrev_b32_e32 v8, 2, v8
	v_add_lshl_u32 v8, v8, v3, 2
	s_waitcnt lgkmcnt(1)
	v_add_f32_e32 v2, v2, v5
	s_waitcnt lgkmcnt(0)
	v_add_f32_e32 v4, v4, v6
	ds_bpermute_b32 v5, v8, v2
	ds_bpermute_b32 v6, v8, v4
	v_cndmask_b32_e64 v8, 0, 1, vcc_lo
	v_cmp_ne_u32_e32 vcc_lo, 31, v3
	s_delay_alu instid0(VALU_DEP_2) | instskip(NEXT) | instid1(VALU_DEP_1)
	v_lshlrev_b32_e32 v8, 1, v8
	v_add_lshl_u32 v8, v8, v3, 2
	v_add_co_ci_u32_e32 v3, vcc_lo, 0, v3, vcc_lo
	v_cmp_eq_u32_e32 vcc_lo, 0, v7
	s_waitcnt lgkmcnt(1)
	v_add_f32_e32 v2, v2, v5
	s_waitcnt lgkmcnt(0)
	v_add_f32_e32 v4, v4, v6
	ds_bpermute_b32 v5, v8, v2
	ds_bpermute_b32 v6, v8, v4
	v_lshlrev_b32_e32 v8, 2, v3
	s_waitcnt lgkmcnt(0)
	v_dual_add_f32 v2, v2, v5 :: v_dual_add_f32 v3, v4, v6
	ds_bpermute_b32 v4, v8, v2
	ds_bpermute_b32 v5, v8, v3
	s_and_b32 exec_lo, exec_lo, vcc_lo
	s_cbranch_execz .LBB210_7
; %bb.6:
	v_add_co_u32 v0, vcc_lo, s2, v0
	v_add_co_ci_u32_e32 v1, vcc_lo, s3, v1, vcc_lo
	s_waitcnt lgkmcnt(0)
	v_dual_add_f32 v3, v3, v5 :: v_dual_add_f32 v2, v2, v4
	global_store_b64 v[0:1], v[2:3], off
.LBB210_7:
	s_nop 0
	s_sendmsg sendmsg(MSG_DEALLOC_VGPRS)
	s_endpgm
	.section	.rodata,"a",@progbits
	.p2align	6, 0x0
	.amdhsa_kernel _ZL28rocblas_dot_batched_4_kernelIiLi64ELi4ELb0E19rocblas_complex_numIfES1_PKPKS1_EviT5_lT_lS6_lS7_liPT4_
		.amdhsa_group_segment_fixed_size 0
		.amdhsa_private_segment_fixed_size 0
		.amdhsa_kernarg_size 88
		.amdhsa_user_sgpr_count 15
		.amdhsa_user_sgpr_dispatch_ptr 0
		.amdhsa_user_sgpr_queue_ptr 0
		.amdhsa_user_sgpr_kernarg_segment_ptr 1
		.amdhsa_user_sgpr_dispatch_id 0
		.amdhsa_user_sgpr_private_segment_size 0
		.amdhsa_wavefront_size32 1
		.amdhsa_uses_dynamic_stack 0
		.amdhsa_enable_private_segment 0
		.amdhsa_system_sgpr_workgroup_id_x 1
		.amdhsa_system_sgpr_workgroup_id_y 0
		.amdhsa_system_sgpr_workgroup_id_z 0
		.amdhsa_system_sgpr_workgroup_info 0
		.amdhsa_system_vgpr_workitem_id 1
		.amdhsa_next_free_vgpr 15
		.amdhsa_next_free_sgpr 16
		.amdhsa_reserve_vcc 1
		.amdhsa_float_round_mode_32 0
		.amdhsa_float_round_mode_16_64 0
		.amdhsa_float_denorm_mode_32 3
		.amdhsa_float_denorm_mode_16_64 3
		.amdhsa_dx10_clamp 1
		.amdhsa_ieee_mode 1
		.amdhsa_fp16_overflow 0
		.amdhsa_workgroup_processor_mode 1
		.amdhsa_memory_ordered 1
		.amdhsa_forward_progress 0
		.amdhsa_shared_vgpr_count 0
		.amdhsa_exception_fp_ieee_invalid_op 0
		.amdhsa_exception_fp_denorm_src 0
		.amdhsa_exception_fp_ieee_div_zero 0
		.amdhsa_exception_fp_ieee_overflow 0
		.amdhsa_exception_fp_ieee_underflow 0
		.amdhsa_exception_fp_ieee_inexact 0
		.amdhsa_exception_int_div_zero 0
	.end_amdhsa_kernel
	.section	.text._ZL28rocblas_dot_batched_4_kernelIiLi64ELi4ELb0E19rocblas_complex_numIfES1_PKPKS1_EviT5_lT_lS6_lS7_liPT4_,"axG",@progbits,_ZL28rocblas_dot_batched_4_kernelIiLi64ELi4ELb0E19rocblas_complex_numIfES1_PKPKS1_EviT5_lT_lS6_lS7_liPT4_,comdat
.Lfunc_end210:
	.size	_ZL28rocblas_dot_batched_4_kernelIiLi64ELi4ELb0E19rocblas_complex_numIfES1_PKPKS1_EviT5_lT_lS6_lS7_liPT4_, .Lfunc_end210-_ZL28rocblas_dot_batched_4_kernelIiLi64ELi4ELb0E19rocblas_complex_numIfES1_PKPKS1_EviT5_lT_lS6_lS7_liPT4_
                                        ; -- End function
	.section	.AMDGPU.csdata,"",@progbits
; Kernel info:
; codeLenInByte = 856
; NumSgprs: 18
; NumVgprs: 15
; ScratchSize: 0
; MemoryBound: 0
; FloatMode: 240
; IeeeMode: 1
; LDSByteSize: 0 bytes/workgroup (compile time only)
; SGPRBlocks: 2
; VGPRBlocks: 1
; NumSGPRsForWavesPerEU: 18
; NumVGPRsForWavesPerEU: 15
; Occupancy: 16
; WaveLimiterHint : 0
; COMPUTE_PGM_RSRC2:SCRATCH_EN: 0
; COMPUTE_PGM_RSRC2:USER_SGPR: 15
; COMPUTE_PGM_RSRC2:TRAP_HANDLER: 0
; COMPUTE_PGM_RSRC2:TGID_X_EN: 1
; COMPUTE_PGM_RSRC2:TGID_Y_EN: 0
; COMPUTE_PGM_RSRC2:TGID_Z_EN: 0
; COMPUTE_PGM_RSRC2:TIDIG_COMP_CNT: 1
	.section	.text._ZL26rocblas_dot_kernel_inc1by2ILb1ELi1024ELi32ELb0E19rocblas_complex_numIfEPKPKS1_S1_EviT4_llS6_lliPT5_PT3_,"axG",@progbits,_ZL26rocblas_dot_kernel_inc1by2ILb1ELi1024ELi32ELb0E19rocblas_complex_numIfEPKPKS1_S1_EviT4_llS6_lliPT5_PT3_,comdat
	.globl	_ZL26rocblas_dot_kernel_inc1by2ILb1ELi1024ELi32ELb0E19rocblas_complex_numIfEPKPKS1_S1_EviT4_llS6_lliPT5_PT3_ ; -- Begin function _ZL26rocblas_dot_kernel_inc1by2ILb1ELi1024ELi32ELb0E19rocblas_complex_numIfEPKPKS1_S1_EviT4_llS6_lliPT5_PT3_
	.p2align	8
	.type	_ZL26rocblas_dot_kernel_inc1by2ILb1ELi1024ELi32ELb0E19rocblas_complex_numIfEPKPKS1_S1_EviT4_llS6_lliPT5_PT3_,@function
_ZL26rocblas_dot_kernel_inc1by2ILb1ELi1024ELi32ELb0E19rocblas_complex_numIfEPKPKS1_S1_EviT4_llS6_lliPT5_PT3_: ; @_ZL26rocblas_dot_kernel_inc1by2ILb1ELi1024ELi32ELb0E19rocblas_complex_numIfEPKPKS1_S1_EviT4_llS6_lliPT5_PT3_
; %bb.0:
	s_clause 0x1
	s_load_b32 s6, s[0:1], 0x0
	s_load_b64 s[2:3], s[0:1], 0x48
	v_dual_mov_b32 v5, 0 :: v_dual_mov_b32 v6, 0
	s_mov_b32 s4, s15
	s_mov_b32 s5, 0
	s_mov_b32 s7, exec_lo
	s_waitcnt lgkmcnt(0)
	v_cmpx_gt_i32_e64 s6, v0
	s_cbranch_execz .LBB211_4
; %bb.1:
	s_clause 0x1
	s_load_b128 s[8:11], s[0:1], 0x8
	s_load_b128 s[12:15], s[0:1], 0x20
	s_lshl_b64 s[0:1], s[4:5], 3
	v_dual_mov_b32 v6, 0 :: v_dual_lshlrev_b32 v1, 3, v0
	v_or_b32_e32 v7, 0x400, v0
	v_mov_b32_e32 v5, 0
	s_waitcnt lgkmcnt(0)
	s_add_u32 s8, s8, s0
	s_addc_u32 s9, s9, s1
	s_add_u32 s0, s12, s0
	s_addc_u32 s1, s13, s1
	s_lshl_b64 s[12:13], s[14:15], 3
	s_load_b64 s[0:1], s[0:1], 0x0
	s_load_b64 s[8:9], s[8:9], 0x0
	s_waitcnt lgkmcnt(0)
	s_add_u32 s12, s0, s12
	s_addc_u32 s13, s1, s13
	s_lshl_b64 s[0:1], s[10:11], 3
	s_delay_alu instid0(SALU_CYCLE_1) | instskip(SKIP_2) | instid1(VALU_DEP_1)
	s_add_u32 s0, s8, s0
	s_addc_u32 s1, s9, s1
	v_add_co_u32 v3, s0, s0, v1
	v_add_co_ci_u32_e64 v4, null, s1, 0, s0
	v_add_co_u32 v1, s0, s12, v1
	s_delay_alu instid0(VALU_DEP_3) | instskip(SKIP_1) | instid1(VALU_DEP_4)
	v_add_co_u32 v3, vcc_lo, v3, 4
	v_add_co_ci_u32_e64 v2, null, s13, 0, s0
	v_add_co_ci_u32_e32 v4, vcc_lo, 0, v4, vcc_lo
	s_mov_b32 s1, s5
	s_mov_b32 s8, s5
	s_set_inst_prefetch_distance 0x1
	.p2align	6
.LBB211_2:                              ; =>This Inner Loop Header: Depth=1
	global_load_b64 v[8:9], v[1:2], off
	global_load_b64 v[10:11], v[3:4], off offset:-4
	v_cmp_le_i32_e32 vcc_lo, s6, v7
	v_add_nc_u32_e32 v7, 0x400, v7
	v_add_co_u32 v1, s0, 0x2000, v1
	s_delay_alu instid0(VALU_DEP_1)
	v_add_co_ci_u32_e64 v2, s0, 0, v2, s0
	s_add_i32 s9, s8, 1
	v_add_co_u32 v3, s0, 0x2000, v3
	s_cmp_gt_u32 s8, 30
	v_add_co_ci_u32_e64 v4, s0, 0, v4, s0
	s_cselect_b32 s0, -1, 0
	s_mov_b32 s8, s9
	s_or_b32 s0, s0, vcc_lo
	s_delay_alu instid0(SALU_CYCLE_1) | instskip(NEXT) | instid1(SALU_CYCLE_1)
	s_and_b32 s0, exec_lo, s0
	s_or_b32 s1, s0, s1
	s_waitcnt vmcnt(0)
	v_mul_f32_e32 v12, v11, v9
	v_mul_f32_e32 v9, v10, v9
	s_delay_alu instid0(VALU_DEP_2) | instskip(NEXT) | instid1(VALU_DEP_1)
	v_fma_f32 v10, v10, v8, -v12
	v_dual_fmac_f32 v9, v11, v8 :: v_dual_add_f32 v6, v6, v10
	s_delay_alu instid0(VALU_DEP_1)
	v_add_f32_e32 v5, v5, v9
	s_and_not1_b32 exec_lo, exec_lo, s1
	s_cbranch_execnz .LBB211_2
; %bb.3:
	s_set_inst_prefetch_distance 0x2
	s_or_b32 exec_lo, exec_lo, s1
.LBB211_4:
	s_delay_alu instid0(SALU_CYCLE_1) | instskip(SKIP_2) | instid1(VALU_DEP_2)
	s_or_b32 exec_lo, exec_lo, s7
	v_and_b32_e32 v1, 31, v0
	v_cmp_gt_u32_e32 vcc_lo, 32, v0
	v_lshlrev_b32_e32 v3, 3, v1
	s_and_saveexec_b32 s0, vcc_lo
	s_cbranch_execz .LBB211_6
; %bb.5:
	v_mov_b32_e32 v7, 0
	s_delay_alu instid0(VALU_DEP_1)
	v_mov_b32_e32 v8, v7
	ds_store_b64 v3, v[7:8]
.LBB211_6:
	s_or_b32 exec_lo, exec_lo, s0
	v_mbcnt_lo_u32_b32 v2, -1, 0
	s_mov_b32 s1, exec_lo
	s_waitcnt lgkmcnt(0)
	s_barrier
	buffer_gl0_inv
	v_cmp_gt_u32_e64 s0, 16, v2
	s_delay_alu instid0(VALU_DEP_1) | instskip(SKIP_1) | instid1(VALU_DEP_2)
	v_cndmask_b32_e64 v4, 0, 1, s0
	v_cmp_gt_u32_e64 s0, 24, v2
	v_lshlrev_b32_e32 v4, 4, v4
	s_delay_alu instid0(VALU_DEP_2) | instskip(SKIP_1) | instid1(VALU_DEP_3)
	v_cndmask_b32_e64 v7, 0, 1, s0
	v_cmp_gt_u32_e64 s0, 28, v2
	v_add_lshl_u32 v4, v4, v2, 2
	ds_bpermute_b32 v8, v4, v6
	ds_bpermute_b32 v9, v4, v5
	s_waitcnt lgkmcnt(1)
	v_dual_add_f32 v6, v6, v8 :: v_dual_lshlrev_b32 v7, 3, v7
	s_delay_alu instid0(VALU_DEP_1)
	v_add_lshl_u32 v7, v7, v2, 2
	s_waitcnt lgkmcnt(0)
	v_add_f32_e32 v8, v5, v9
	v_cndmask_b32_e64 v5, 0, 1, s0
	v_cmp_gt_u32_e64 s0, 30, v2
	ds_bpermute_b32 v9, v7, v6
	ds_bpermute_b32 v10, v7, v8
	v_lshlrev_b32_e32 v5, 2, v5
	s_waitcnt lgkmcnt(0)
	v_dual_add_f32 v9, v6, v9 :: v_dual_add_f32 v8, v8, v10
	s_delay_alu instid0(VALU_DEP_2)
	v_add_lshl_u32 v5, v5, v2, 2
	v_cndmask_b32_e64 v6, 0, 1, s0
	v_cmp_ne_u32_e64 s0, 31, v2
	ds_bpermute_b32 v10, v5, v9
	ds_bpermute_b32 v11, v5, v8
	v_lshlrev_b32_e32 v6, 1, v6
	s_delay_alu instid0(VALU_DEP_1) | instskip(SKIP_3) | instid1(VALU_DEP_2)
	v_add_lshl_u32 v6, v6, v2, 2
	v_add_co_ci_u32_e64 v2, s0, 0, v2, s0
	s_waitcnt lgkmcnt(0)
	v_dual_add_f32 v9, v9, v10 :: v_dual_add_f32 v10, v8, v11
	v_lshlrev_b32_e32 v8, 2, v2
	ds_bpermute_b32 v11, v6, v9
	ds_bpermute_b32 v12, v6, v10
	s_waitcnt lgkmcnt(0)
	v_dual_add_f32 v2, v9, v11 :: v_dual_add_f32 v9, v10, v12
	ds_bpermute_b32 v10, v8, v2
	ds_bpermute_b32 v11, v8, v9
	v_cmpx_eq_u32_e32 0, v1
	s_cbranch_execz .LBB211_8
; %bb.7:
	v_lshrrev_b32_e32 v12, 2, v0
	s_waitcnt lgkmcnt(0)
	v_dual_add_f32 v1, v2, v10 :: v_dual_add_f32 v2, v9, v11
	s_delay_alu instid0(VALU_DEP_2)
	v_and_b32_e32 v9, 0xf8, v12
	ds_store_b64 v9, v[1:2]
.LBB211_8:
	s_or_b32 exec_lo, exec_lo, s1
	v_dual_mov_b32 v2, 0 :: v_dual_mov_b32 v1, 0
	s_waitcnt lgkmcnt(0)
	s_barrier
	buffer_gl0_inv
	s_and_saveexec_b32 s0, vcc_lo
	s_cbranch_execz .LBB211_10
; %bb.9:
	ds_load_b64 v[1:2], v3
.LBB211_10:
	s_or_b32 exec_lo, exec_lo, s0
	s_and_saveexec_b32 s0, vcc_lo
	s_cbranch_execz .LBB211_12
; %bb.11:
	s_waitcnt lgkmcnt(0)
	ds_bpermute_b32 v3, v4, v1
	ds_bpermute_b32 v4, v4, v2
	s_waitcnt lgkmcnt(0)
	v_dual_add_f32 v1, v1, v3 :: v_dual_add_f32 v2, v2, v4
	ds_bpermute_b32 v3, v7, v1
	ds_bpermute_b32 v4, v7, v2
	s_waitcnt lgkmcnt(0)
	v_dual_add_f32 v1, v1, v3 :: v_dual_add_f32 v2, v2, v4
	;; [unrolled: 4-line block ×5, first 2 shown]
.LBB211_12:
	s_or_b32 exec_lo, exec_lo, s0
	s_delay_alu instid0(SALU_CYCLE_1)
	s_mov_b32 s0, exec_lo
	v_cmpx_eq_u32_e32 0, v0
	s_cbranch_execz .LBB211_14
; %bb.13:
	s_lshl_b64 s[0:1], s[4:5], 3
	v_mov_b32_e32 v0, 0
	s_add_u32 s0, s2, s0
	s_addc_u32 s1, s3, s1
	s_waitcnt lgkmcnt(0)
	global_store_b64 v0, v[1:2], s[0:1]
.LBB211_14:
	s_nop 0
	s_sendmsg sendmsg(MSG_DEALLOC_VGPRS)
	s_endpgm
	.section	.rodata,"a",@progbits
	.p2align	6, 0x0
	.amdhsa_kernel _ZL26rocblas_dot_kernel_inc1by2ILb1ELi1024ELi32ELb0E19rocblas_complex_numIfEPKPKS1_S1_EviT4_llS6_lliPT5_PT3_
		.amdhsa_group_segment_fixed_size 256
		.amdhsa_private_segment_fixed_size 0
		.amdhsa_kernarg_size 80
		.amdhsa_user_sgpr_count 14
		.amdhsa_user_sgpr_dispatch_ptr 0
		.amdhsa_user_sgpr_queue_ptr 0
		.amdhsa_user_sgpr_kernarg_segment_ptr 1
		.amdhsa_user_sgpr_dispatch_id 0
		.amdhsa_user_sgpr_private_segment_size 0
		.amdhsa_wavefront_size32 1
		.amdhsa_uses_dynamic_stack 0
		.amdhsa_enable_private_segment 0
		.amdhsa_system_sgpr_workgroup_id_x 1
		.amdhsa_system_sgpr_workgroup_id_y 0
		.amdhsa_system_sgpr_workgroup_id_z 1
		.amdhsa_system_sgpr_workgroup_info 0
		.amdhsa_system_vgpr_workitem_id 0
		.amdhsa_next_free_vgpr 13
		.amdhsa_next_free_sgpr 16
		.amdhsa_reserve_vcc 1
		.amdhsa_float_round_mode_32 0
		.amdhsa_float_round_mode_16_64 0
		.amdhsa_float_denorm_mode_32 3
		.amdhsa_float_denorm_mode_16_64 3
		.amdhsa_dx10_clamp 1
		.amdhsa_ieee_mode 1
		.amdhsa_fp16_overflow 0
		.amdhsa_workgroup_processor_mode 1
		.amdhsa_memory_ordered 1
		.amdhsa_forward_progress 0
		.amdhsa_shared_vgpr_count 0
		.amdhsa_exception_fp_ieee_invalid_op 0
		.amdhsa_exception_fp_denorm_src 0
		.amdhsa_exception_fp_ieee_div_zero 0
		.amdhsa_exception_fp_ieee_overflow 0
		.amdhsa_exception_fp_ieee_underflow 0
		.amdhsa_exception_fp_ieee_inexact 0
		.amdhsa_exception_int_div_zero 0
	.end_amdhsa_kernel
	.section	.text._ZL26rocblas_dot_kernel_inc1by2ILb1ELi1024ELi32ELb0E19rocblas_complex_numIfEPKPKS1_S1_EviT4_llS6_lliPT5_PT3_,"axG",@progbits,_ZL26rocblas_dot_kernel_inc1by2ILb1ELi1024ELi32ELb0E19rocblas_complex_numIfEPKPKS1_S1_EviT4_llS6_lliPT5_PT3_,comdat
.Lfunc_end211:
	.size	_ZL26rocblas_dot_kernel_inc1by2ILb1ELi1024ELi32ELb0E19rocblas_complex_numIfEPKPKS1_S1_EviT4_llS6_lliPT5_PT3_, .Lfunc_end211-_ZL26rocblas_dot_kernel_inc1by2ILb1ELi1024ELi32ELb0E19rocblas_complex_numIfEPKPKS1_S1_EviT4_llS6_lliPT5_PT3_
                                        ; -- End function
	.section	.AMDGPU.csdata,"",@progbits
; Kernel info:
; codeLenInByte = 1056
; NumSgprs: 18
; NumVgprs: 13
; ScratchSize: 0
; MemoryBound: 0
; FloatMode: 240
; IeeeMode: 1
; LDSByteSize: 256 bytes/workgroup (compile time only)
; SGPRBlocks: 2
; VGPRBlocks: 1
; NumSGPRsForWavesPerEU: 18
; NumVGPRsForWavesPerEU: 13
; Occupancy: 16
; WaveLimiterHint : 0
; COMPUTE_PGM_RSRC2:SCRATCH_EN: 0
; COMPUTE_PGM_RSRC2:USER_SGPR: 14
; COMPUTE_PGM_RSRC2:TRAP_HANDLER: 0
; COMPUTE_PGM_RSRC2:TGID_X_EN: 1
; COMPUTE_PGM_RSRC2:TGID_Y_EN: 0
; COMPUTE_PGM_RSRC2:TGID_Z_EN: 1
; COMPUTE_PGM_RSRC2:TIDIG_COMP_CNT: 0
	.section	.text._ZL18rocblas_dot_kernelIiLb1ELi1024ELi32ELb0E19rocblas_complex_numIfEPKPKS1_S1_EviT5_lT_lS6_lS7_liPT6_PT4_,"axG",@progbits,_ZL18rocblas_dot_kernelIiLb1ELi1024ELi32ELb0E19rocblas_complex_numIfEPKPKS1_S1_EviT5_lT_lS6_lS7_liPT6_PT4_,comdat
	.globl	_ZL18rocblas_dot_kernelIiLb1ELi1024ELi32ELb0E19rocblas_complex_numIfEPKPKS1_S1_EviT5_lT_lS6_lS7_liPT6_PT4_ ; -- Begin function _ZL18rocblas_dot_kernelIiLb1ELi1024ELi32ELb0E19rocblas_complex_numIfEPKPKS1_S1_EviT5_lT_lS6_lS7_liPT6_PT4_
	.p2align	8
	.type	_ZL18rocblas_dot_kernelIiLb1ELi1024ELi32ELb0E19rocblas_complex_numIfEPKPKS1_S1_EviT5_lT_lS6_lS7_liPT6_PT4_,@function
_ZL18rocblas_dot_kernelIiLb1ELi1024ELi32ELb0E19rocblas_complex_numIfEPKPKS1_S1_EviT5_lT_lS6_lS7_liPT6_PT4_: ; @_ZL18rocblas_dot_kernelIiLb1ELi1024ELi32ELb0E19rocblas_complex_numIfEPKPKS1_S1_EviT5_lT_lS6_lS7_liPT6_PT4_
; %bb.0:
	s_clause 0x1
	s_load_b32 s14, s[0:1], 0x0
	s_load_b64 s[2:3], s[0:1], 0x58
	v_dual_mov_b32 v5, 0 :: v_dual_mov_b32 v6, 0
	s_mov_b32 s12, s15
	s_mov_b32 s13, 0
	s_mov_b32 s15, exec_lo
	s_waitcnt lgkmcnt(0)
	v_cmpx_gt_i32_e64 s14, v0
	s_cbranch_execz .LBB212_4
; %bb.1:
	s_clause 0x4
	s_load_b128 s[8:11], s[0:1], 0x8
	s_load_b128 s[4:7], s[0:1], 0x28
	s_load_b32 s18, s[0:1], 0x18
	s_load_b32 s20, s[0:1], 0x38
	;; [unrolled: 1-line block ×3, first 2 shown]
	s_lshl_b64 s[0:1], s[12:13], 3
	v_mov_b32_e32 v5, 0
	s_waitcnt lgkmcnt(0)
	s_add_u32 s8, s8, s0
	s_addc_u32 s9, s9, s1
	s_add_u32 s0, s4, s0
	s_load_b64 s[8:9], s[8:9], 0x0
	s_addc_u32 s1, s5, s1
	v_mad_i64_i32 v[1:2], null, s18, v0, 0
	s_load_b64 s[16:17], s[0:1], 0x0
	v_mad_i64_i32 v[3:4], null, s20, v0, 0
	s_lshl_b32 s1, s19, 10
	s_lshl_b64 s[4:5], s[10:11], 3
	s_mul_hi_i32 s11, s18, s1
	s_delay_alu instid0(VALU_DEP_2) | instskip(SKIP_2) | instid1(VALU_DEP_3)
	v_lshlrev_b64 v[1:2], 3, v[1:2]
	s_mul_i32 s10, s18, s1
	v_or_b32_e32 v7, s1, v0
	v_lshlrev_b64 v[3:4], 3, v[3:4]
	s_mul_hi_i32 s19, s20, s1
	s_mul_i32 s18, s20, s1
	s_waitcnt lgkmcnt(0)
	s_add_u32 s0, s8, s4
	s_addc_u32 s8, s9, s5
	s_lshl_b64 s[6:7], s[6:7], 3
	s_lshl_b64 s[4:5], s[10:11], 3
	v_add_co_u32 v6, vcc_lo, s0, v1
	s_add_u32 s0, s16, s6
	v_add_co_ci_u32_e32 v8, vcc_lo, s8, v2, vcc_lo
	s_addc_u32 s6, s17, s7
	v_add_co_u32 v1, vcc_lo, s0, v3
	v_add_co_ci_u32_e32 v2, vcc_lo, s6, v4, vcc_lo
	v_add_co_u32 v3, vcc_lo, v6, 4
	v_mov_b32_e32 v6, 0
	v_add_co_ci_u32_e32 v4, vcc_lo, 0, v8, vcc_lo
	s_lshl_b64 s[6:7], s[18:19], 3
	s_mov_b32 s8, s13
	s_mov_b32 s9, s13
	.p2align	6
.LBB212_2:                              ; =>This Inner Loop Header: Depth=1
	global_load_b64 v[8:9], v[1:2], off
	global_load_b64 v[10:11], v[3:4], off offset:-4
	v_cmp_le_i32_e32 vcc_lo, s14, v7
	v_add_nc_u32_e32 v7, s1, v7
	v_add_co_u32 v3, s0, v3, s4
	s_delay_alu instid0(VALU_DEP_1)
	v_add_co_ci_u32_e64 v4, s0, s5, v4, s0
	s_add_i32 s10, s9, 1
	v_add_co_u32 v1, s0, v1, s6
	s_cmp_gt_u32 s9, 30
	v_add_co_ci_u32_e64 v2, s0, s7, v2, s0
	s_cselect_b32 s0, -1, 0
	s_mov_b32 s9, s10
	s_or_b32 s0, s0, vcc_lo
	s_delay_alu instid0(SALU_CYCLE_1) | instskip(NEXT) | instid1(SALU_CYCLE_1)
	s_and_b32 s0, exec_lo, s0
	s_or_b32 s8, s0, s8
	s_waitcnt vmcnt(0)
	v_mul_f32_e32 v12, v11, v9
	v_mul_f32_e32 v9, v10, v9
	s_delay_alu instid0(VALU_DEP_2) | instskip(NEXT) | instid1(VALU_DEP_1)
	v_fma_f32 v10, v10, v8, -v12
	v_dual_fmac_f32 v9, v11, v8 :: v_dual_add_f32 v6, v6, v10
	s_delay_alu instid0(VALU_DEP_1)
	v_add_f32_e32 v5, v5, v9
	s_and_not1_b32 exec_lo, exec_lo, s8
	s_cbranch_execnz .LBB212_2
; %bb.3:
	s_or_b32 exec_lo, exec_lo, s8
.LBB212_4:
	s_delay_alu instid0(SALU_CYCLE_1) | instskip(SKIP_2) | instid1(VALU_DEP_2)
	s_or_b32 exec_lo, exec_lo, s15
	v_and_b32_e32 v1, 31, v0
	v_cmp_gt_u32_e32 vcc_lo, 32, v0
	v_lshlrev_b32_e32 v3, 3, v1
	s_and_saveexec_b32 s0, vcc_lo
	s_cbranch_execz .LBB212_6
; %bb.5:
	v_mov_b32_e32 v7, 0
	s_delay_alu instid0(VALU_DEP_1)
	v_mov_b32_e32 v8, v7
	ds_store_b64 v3, v[7:8]
.LBB212_6:
	s_or_b32 exec_lo, exec_lo, s0
	v_mbcnt_lo_u32_b32 v2, -1, 0
	s_mov_b32 s1, exec_lo
	s_waitcnt lgkmcnt(0)
	s_barrier
	buffer_gl0_inv
	v_cmp_gt_u32_e64 s0, 16, v2
	s_delay_alu instid0(VALU_DEP_1) | instskip(SKIP_1) | instid1(VALU_DEP_2)
	v_cndmask_b32_e64 v4, 0, 1, s0
	v_cmp_gt_u32_e64 s0, 24, v2
	v_lshlrev_b32_e32 v4, 4, v4
	s_delay_alu instid0(VALU_DEP_2) | instskip(SKIP_1) | instid1(VALU_DEP_3)
	v_cndmask_b32_e64 v7, 0, 1, s0
	v_cmp_gt_u32_e64 s0, 28, v2
	v_add_lshl_u32 v4, v4, v2, 2
	ds_bpermute_b32 v8, v4, v6
	ds_bpermute_b32 v9, v4, v5
	s_waitcnt lgkmcnt(1)
	v_dual_add_f32 v6, v6, v8 :: v_dual_lshlrev_b32 v7, 3, v7
	s_delay_alu instid0(VALU_DEP_1)
	v_add_lshl_u32 v7, v7, v2, 2
	s_waitcnt lgkmcnt(0)
	v_add_f32_e32 v8, v5, v9
	v_cndmask_b32_e64 v5, 0, 1, s0
	v_cmp_gt_u32_e64 s0, 30, v2
	ds_bpermute_b32 v9, v7, v6
	ds_bpermute_b32 v10, v7, v8
	v_lshlrev_b32_e32 v5, 2, v5
	s_waitcnt lgkmcnt(0)
	v_dual_add_f32 v9, v6, v9 :: v_dual_add_f32 v8, v8, v10
	s_delay_alu instid0(VALU_DEP_2)
	v_add_lshl_u32 v5, v5, v2, 2
	v_cndmask_b32_e64 v6, 0, 1, s0
	v_cmp_ne_u32_e64 s0, 31, v2
	ds_bpermute_b32 v10, v5, v9
	ds_bpermute_b32 v11, v5, v8
	v_lshlrev_b32_e32 v6, 1, v6
	s_delay_alu instid0(VALU_DEP_1) | instskip(SKIP_3) | instid1(VALU_DEP_2)
	v_add_lshl_u32 v6, v6, v2, 2
	v_add_co_ci_u32_e64 v2, s0, 0, v2, s0
	s_waitcnt lgkmcnt(0)
	v_dual_add_f32 v9, v9, v10 :: v_dual_add_f32 v10, v8, v11
	v_lshlrev_b32_e32 v8, 2, v2
	ds_bpermute_b32 v11, v6, v9
	ds_bpermute_b32 v12, v6, v10
	s_waitcnt lgkmcnt(0)
	v_dual_add_f32 v2, v9, v11 :: v_dual_add_f32 v9, v10, v12
	ds_bpermute_b32 v10, v8, v2
	ds_bpermute_b32 v11, v8, v9
	v_cmpx_eq_u32_e32 0, v1
	s_cbranch_execz .LBB212_8
; %bb.7:
	v_lshrrev_b32_e32 v12, 2, v0
	s_waitcnt lgkmcnt(0)
	v_dual_add_f32 v1, v2, v10 :: v_dual_add_f32 v2, v9, v11
	s_delay_alu instid0(VALU_DEP_2)
	v_and_b32_e32 v9, 0xf8, v12
	ds_store_b64 v9, v[1:2]
.LBB212_8:
	s_or_b32 exec_lo, exec_lo, s1
	v_dual_mov_b32 v2, 0 :: v_dual_mov_b32 v1, 0
	s_waitcnt lgkmcnt(0)
	s_barrier
	buffer_gl0_inv
	s_and_saveexec_b32 s0, vcc_lo
	s_cbranch_execz .LBB212_10
; %bb.9:
	ds_load_b64 v[1:2], v3
.LBB212_10:
	s_or_b32 exec_lo, exec_lo, s0
	s_and_saveexec_b32 s0, vcc_lo
	s_cbranch_execz .LBB212_12
; %bb.11:
	s_waitcnt lgkmcnt(0)
	ds_bpermute_b32 v3, v4, v1
	ds_bpermute_b32 v4, v4, v2
	s_waitcnt lgkmcnt(0)
	v_dual_add_f32 v1, v1, v3 :: v_dual_add_f32 v2, v2, v4
	ds_bpermute_b32 v3, v7, v1
	ds_bpermute_b32 v4, v7, v2
	s_waitcnt lgkmcnt(0)
	v_dual_add_f32 v1, v1, v3 :: v_dual_add_f32 v2, v2, v4
	;; [unrolled: 4-line block ×5, first 2 shown]
.LBB212_12:
	s_or_b32 exec_lo, exec_lo, s0
	s_delay_alu instid0(SALU_CYCLE_1)
	s_mov_b32 s0, exec_lo
	v_cmpx_eq_u32_e32 0, v0
	s_cbranch_execz .LBB212_14
; %bb.13:
	s_lshl_b64 s[0:1], s[12:13], 3
	v_mov_b32_e32 v0, 0
	s_add_u32 s0, s2, s0
	s_addc_u32 s1, s3, s1
	s_waitcnt lgkmcnt(0)
	global_store_b64 v0, v[1:2], s[0:1]
.LBB212_14:
	s_nop 0
	s_sendmsg sendmsg(MSG_DEALLOC_VGPRS)
	s_endpgm
	.section	.rodata,"a",@progbits
	.p2align	6, 0x0
	.amdhsa_kernel _ZL18rocblas_dot_kernelIiLb1ELi1024ELi32ELb0E19rocblas_complex_numIfEPKPKS1_S1_EviT5_lT_lS6_lS7_liPT6_PT4_
		.amdhsa_group_segment_fixed_size 256
		.amdhsa_private_segment_fixed_size 0
		.amdhsa_kernarg_size 352
		.amdhsa_user_sgpr_count 14
		.amdhsa_user_sgpr_dispatch_ptr 0
		.amdhsa_user_sgpr_queue_ptr 0
		.amdhsa_user_sgpr_kernarg_segment_ptr 1
		.amdhsa_user_sgpr_dispatch_id 0
		.amdhsa_user_sgpr_private_segment_size 0
		.amdhsa_wavefront_size32 1
		.amdhsa_uses_dynamic_stack 0
		.amdhsa_enable_private_segment 0
		.amdhsa_system_sgpr_workgroup_id_x 1
		.amdhsa_system_sgpr_workgroup_id_y 0
		.amdhsa_system_sgpr_workgroup_id_z 1
		.amdhsa_system_sgpr_workgroup_info 0
		.amdhsa_system_vgpr_workitem_id 0
		.amdhsa_next_free_vgpr 13
		.amdhsa_next_free_sgpr 21
		.amdhsa_reserve_vcc 1
		.amdhsa_float_round_mode_32 0
		.amdhsa_float_round_mode_16_64 0
		.amdhsa_float_denorm_mode_32 3
		.amdhsa_float_denorm_mode_16_64 3
		.amdhsa_dx10_clamp 1
		.amdhsa_ieee_mode 1
		.amdhsa_fp16_overflow 0
		.amdhsa_workgroup_processor_mode 1
		.amdhsa_memory_ordered 1
		.amdhsa_forward_progress 0
		.amdhsa_shared_vgpr_count 0
		.amdhsa_exception_fp_ieee_invalid_op 0
		.amdhsa_exception_fp_denorm_src 0
		.amdhsa_exception_fp_ieee_div_zero 0
		.amdhsa_exception_fp_ieee_overflow 0
		.amdhsa_exception_fp_ieee_underflow 0
		.amdhsa_exception_fp_ieee_inexact 0
		.amdhsa_exception_int_div_zero 0
	.end_amdhsa_kernel
	.section	.text._ZL18rocblas_dot_kernelIiLb1ELi1024ELi32ELb0E19rocblas_complex_numIfEPKPKS1_S1_EviT5_lT_lS6_lS7_liPT6_PT4_,"axG",@progbits,_ZL18rocblas_dot_kernelIiLb1ELi1024ELi32ELb0E19rocblas_complex_numIfEPKPKS1_S1_EviT5_lT_lS6_lS7_liPT6_PT4_,comdat
.Lfunc_end212:
	.size	_ZL18rocblas_dot_kernelIiLb1ELi1024ELi32ELb0E19rocblas_complex_numIfEPKPKS1_S1_EviT5_lT_lS6_lS7_liPT6_PT4_, .Lfunc_end212-_ZL18rocblas_dot_kernelIiLb1ELi1024ELi32ELb0E19rocblas_complex_numIfEPKPKS1_S1_EviT5_lT_lS6_lS7_liPT6_PT4_
                                        ; -- End function
	.section	.AMDGPU.csdata,"",@progbits
; Kernel info:
; codeLenInByte = 1100
; NumSgprs: 23
; NumVgprs: 13
; ScratchSize: 0
; MemoryBound: 0
; FloatMode: 240
; IeeeMode: 1
; LDSByteSize: 256 bytes/workgroup (compile time only)
; SGPRBlocks: 2
; VGPRBlocks: 1
; NumSGPRsForWavesPerEU: 23
; NumVGPRsForWavesPerEU: 13
; Occupancy: 16
; WaveLimiterHint : 0
; COMPUTE_PGM_RSRC2:SCRATCH_EN: 0
; COMPUTE_PGM_RSRC2:USER_SGPR: 14
; COMPUTE_PGM_RSRC2:TRAP_HANDLER: 0
; COMPUTE_PGM_RSRC2:TGID_X_EN: 1
; COMPUTE_PGM_RSRC2:TGID_Y_EN: 0
; COMPUTE_PGM_RSRC2:TGID_Z_EN: 1
; COMPUTE_PGM_RSRC2:TIDIG_COMP_CNT: 0
	.section	.text._ZL24rocblas_dot_kernel_magsqIiLb1ELi1024ELi32ELb0E19rocblas_complex_numIfEPKPKS1_S1_EviT5_lT_liPT6_PT4_,"axG",@progbits,_ZL24rocblas_dot_kernel_magsqIiLb1ELi1024ELi32ELb0E19rocblas_complex_numIfEPKPKS1_S1_EviT5_lT_liPT6_PT4_,comdat
	.globl	_ZL24rocblas_dot_kernel_magsqIiLb1ELi1024ELi32ELb0E19rocblas_complex_numIfEPKPKS1_S1_EviT5_lT_liPT6_PT4_ ; -- Begin function _ZL24rocblas_dot_kernel_magsqIiLb1ELi1024ELi32ELb0E19rocblas_complex_numIfEPKPKS1_S1_EviT5_lT_liPT6_PT4_
	.p2align	8
	.type	_ZL24rocblas_dot_kernel_magsqIiLb1ELi1024ELi32ELb0E19rocblas_complex_numIfEPKPKS1_S1_EviT5_lT_liPT6_PT4_,@function
_ZL24rocblas_dot_kernel_magsqIiLb1ELi1024ELi32ELb0E19rocblas_complex_numIfEPKPKS1_S1_EviT5_lT_liPT6_PT4_: ; @_ZL24rocblas_dot_kernel_magsqIiLb1ELi1024ELi32ELb0E19rocblas_complex_numIfEPKPKS1_S1_EviT5_lT_liPT6_PT4_
; %bb.0:
	s_clause 0x1
	s_load_b32 s8, s[0:1], 0x0
	s_load_b64 s[2:3], s[0:1], 0x38
	v_mov_b32_e32 v3, 0
	v_mov_b32_e32 v5, 0
	s_mov_b32 s4, s15
	s_mov_b32 s5, 0
	s_mov_b32 s9, exec_lo
	s_waitcnt lgkmcnt(0)
	v_cmpx_gt_i32_e64 s8, v0
	s_cbranch_execz .LBB213_4
; %bb.1:
	s_clause 0x2
	s_load_b128 s[12:15], s[0:1], 0x8
	s_load_b32 s16, s[0:1], 0x18
	s_load_b32 s10, s[0:1], 0x40
	s_lshl_b64 s[0:1], s[4:5], 3
	v_mov_b32_e32 v3, 0
	v_mov_b32_e32 v5, 0
	s_waitcnt lgkmcnt(0)
	s_add_u32 s0, s12, s0
	s_addc_u32 s1, s13, s1
	v_mad_i64_i32 v[1:2], null, s16, v0, 0
	s_load_b64 s[6:7], s[0:1], 0x0
	s_lshl_b32 s1, s10, 10
	s_lshl_b64 s[10:11], s[14:15], 3
	v_or_b32_e32 v4, s1, v0
	s_mul_hi_i32 s13, s16, s1
	s_mul_i32 s12, s16, s1
	s_delay_alu instid0(VALU_DEP_2) | instskip(SKIP_3) | instid1(VALU_DEP_1)
	v_lshlrev_b64 v[1:2], 3, v[1:2]
	s_waitcnt lgkmcnt(0)
	s_add_u32 s0, s6, s10
	s_addc_u32 s6, s7, s11
	v_add_co_u32 v1, vcc_lo, s0, v1
	s_delay_alu instid0(VALU_DEP_2)
	v_add_co_ci_u32_e32 v2, vcc_lo, s6, v2, vcc_lo
	s_lshl_b64 s[6:7], s[12:13], 3
	s_mov_b32 s10, s5
	s_mov_b32 s11, s5
	.p2align	6
.LBB213_2:                              ; =>This Inner Loop Header: Depth=1
	global_load_b64 v[6:7], v[1:2], off
	s_add_i32 s12, s11, 1
	v_cmp_le_i32_e32 vcc_lo, s8, v4
	v_add_co_u32 v1, s0, v1, s6
	v_add_nc_u32_e32 v4, s1, v4
	s_cmp_gt_u32 s11, 30
	v_add_co_ci_u32_e64 v2, s0, s7, v2, s0
	s_cselect_b32 s0, -1, 0
	s_mov_b32 s11, s12
	s_or_b32 s0, s0, vcc_lo
	s_delay_alu instid0(SALU_CYCLE_1) | instskip(NEXT) | instid1(SALU_CYCLE_1)
	s_and_b32 s0, exec_lo, s0
	s_or_b32 s10, s0, s10
	s_waitcnt vmcnt(0)
	v_mul_f32_e32 v8, v7, v7
	v_mul_f32_e32 v7, v6, v7
	s_delay_alu instid0(VALU_DEP_2) | instskip(NEXT) | instid1(VALU_DEP_2)
	v_fma_f32 v6, v6, v6, -v8
	v_fmac_f32_e32 v3, 2.0, v7
	s_delay_alu instid0(VALU_DEP_2)
	v_add_f32_e32 v5, v5, v6
	s_and_not1_b32 exec_lo, exec_lo, s10
	s_cbranch_execnz .LBB213_2
; %bb.3:
	s_or_b32 exec_lo, exec_lo, s10
.LBB213_4:
	s_delay_alu instid0(SALU_CYCLE_1) | instskip(SKIP_2) | instid1(VALU_DEP_2)
	s_or_b32 exec_lo, exec_lo, s9
	v_and_b32_e32 v1, 31, v0
	v_cmp_gt_u32_e32 vcc_lo, 32, v0
	v_lshlrev_b32_e32 v4, 3, v1
	s_and_saveexec_b32 s0, vcc_lo
	s_cbranch_execz .LBB213_6
; %bb.5:
	v_mov_b32_e32 v6, 0
	s_delay_alu instid0(VALU_DEP_1)
	v_mov_b32_e32 v7, v6
	ds_store_b64 v4, v[6:7]
.LBB213_6:
	s_or_b32 exec_lo, exec_lo, s0
	v_mbcnt_lo_u32_b32 v2, -1, 0
	s_mov_b32 s1, exec_lo
	s_waitcnt lgkmcnt(0)
	s_barrier
	buffer_gl0_inv
	v_cmp_gt_u32_e64 s0, 16, v2
	s_delay_alu instid0(VALU_DEP_1) | instskip(SKIP_1) | instid1(VALU_DEP_2)
	v_cndmask_b32_e64 v6, 0, 1, s0
	v_cmp_gt_u32_e64 s0, 24, v2
	v_lshlrev_b32_e32 v6, 4, v6
	s_delay_alu instid0(VALU_DEP_2) | instskip(SKIP_1) | instid1(VALU_DEP_3)
	v_cndmask_b32_e64 v7, 0, 1, s0
	v_cmp_gt_u32_e64 s0, 28, v2
	v_add_lshl_u32 v6, v6, v2, 2
	ds_bpermute_b32 v8, v6, v5
	ds_bpermute_b32 v9, v6, v3
	v_lshlrev_b32_e32 v7, 3, v7
	s_waitcnt lgkmcnt(0)
	v_dual_add_f32 v5, v5, v8 :: v_dual_add_f32 v8, v3, v9
	s_delay_alu instid0(VALU_DEP_2)
	v_add_lshl_u32 v7, v7, v2, 2
	v_cndmask_b32_e64 v3, 0, 1, s0
	v_cmp_gt_u32_e64 s0, 30, v2
	ds_bpermute_b32 v10, v7, v8
	ds_bpermute_b32 v9, v7, v5
	s_waitcnt lgkmcnt(1)
	v_dual_add_f32 v8, v8, v10 :: v_dual_lshlrev_b32 v3, 2, v3
	s_delay_alu instid0(VALU_DEP_1)
	v_add_lshl_u32 v3, v3, v2, 2
	ds_bpermute_b32 v11, v3, v8
	s_waitcnt lgkmcnt(1)
	v_add_f32_e32 v9, v5, v9
	v_cndmask_b32_e64 v5, 0, 1, s0
	v_cmp_ne_u32_e64 s0, 31, v2
	ds_bpermute_b32 v10, v3, v9
	s_waitcnt lgkmcnt(0)
	v_dual_add_f32 v9, v9, v10 :: v_dual_add_f32 v10, v8, v11
	v_lshlrev_b32_e32 v5, 1, v5
	s_delay_alu instid0(VALU_DEP_1)
	v_add_lshl_u32 v5, v5, v2, 2
	v_add_co_ci_u32_e64 v2, s0, 0, v2, s0
	ds_bpermute_b32 v11, v5, v9
	ds_bpermute_b32 v12, v5, v10
	v_lshlrev_b32_e32 v8, 2, v2
	s_waitcnt lgkmcnt(0)
	v_dual_add_f32 v2, v9, v11 :: v_dual_add_f32 v9, v10, v12
	ds_bpermute_b32 v10, v8, v2
	ds_bpermute_b32 v11, v8, v9
	v_cmpx_eq_u32_e32 0, v1
	s_cbranch_execz .LBB213_8
; %bb.7:
	v_lshrrev_b32_e32 v12, 2, v0
	s_waitcnt lgkmcnt(0)
	v_dual_add_f32 v1, v2, v10 :: v_dual_add_f32 v2, v9, v11
	s_delay_alu instid0(VALU_DEP_2)
	v_and_b32_e32 v9, 0xf8, v12
	ds_store_b64 v9, v[1:2]
.LBB213_8:
	s_or_b32 exec_lo, exec_lo, s1
	v_dual_mov_b32 v2, 0 :: v_dual_mov_b32 v1, 0
	s_waitcnt lgkmcnt(0)
	s_barrier
	buffer_gl0_inv
	s_and_saveexec_b32 s0, vcc_lo
	s_cbranch_execz .LBB213_10
; %bb.9:
	ds_load_b64 v[1:2], v4
.LBB213_10:
	s_or_b32 exec_lo, exec_lo, s0
	s_and_saveexec_b32 s0, vcc_lo
	s_cbranch_execz .LBB213_12
; %bb.11:
	s_waitcnt lgkmcnt(0)
	ds_bpermute_b32 v4, v6, v1
	ds_bpermute_b32 v6, v6, v2
	s_waitcnt lgkmcnt(0)
	v_dual_add_f32 v1, v1, v4 :: v_dual_add_f32 v2, v2, v6
	ds_bpermute_b32 v4, v7, v1
	ds_bpermute_b32 v6, v7, v2
	s_waitcnt lgkmcnt(0)
	v_dual_add_f32 v1, v1, v4 :: v_dual_add_f32 v2, v2, v6
	;; [unrolled: 4-line block ×5, first 2 shown]
.LBB213_12:
	s_or_b32 exec_lo, exec_lo, s0
	s_delay_alu instid0(SALU_CYCLE_1)
	s_mov_b32 s0, exec_lo
	v_cmpx_eq_u32_e32 0, v0
	s_cbranch_execz .LBB213_14
; %bb.13:
	s_lshl_b64 s[0:1], s[4:5], 3
	v_mov_b32_e32 v0, 0
	s_add_u32 s0, s2, s0
	s_addc_u32 s1, s3, s1
	s_waitcnt lgkmcnt(0)
	global_store_b64 v0, v[1:2], s[0:1]
.LBB213_14:
	s_nop 0
	s_sendmsg sendmsg(MSG_DEALLOC_VGPRS)
	s_endpgm
	.section	.rodata,"a",@progbits
	.p2align	6, 0x0
	.amdhsa_kernel _ZL24rocblas_dot_kernel_magsqIiLb1ELi1024ELi32ELb0E19rocblas_complex_numIfEPKPKS1_S1_EviT5_lT_liPT6_PT4_
		.amdhsa_group_segment_fixed_size 256
		.amdhsa_private_segment_fixed_size 0
		.amdhsa_kernarg_size 320
		.amdhsa_user_sgpr_count 14
		.amdhsa_user_sgpr_dispatch_ptr 0
		.amdhsa_user_sgpr_queue_ptr 0
		.amdhsa_user_sgpr_kernarg_segment_ptr 1
		.amdhsa_user_sgpr_dispatch_id 0
		.amdhsa_user_sgpr_private_segment_size 0
		.amdhsa_wavefront_size32 1
		.amdhsa_uses_dynamic_stack 0
		.amdhsa_enable_private_segment 0
		.amdhsa_system_sgpr_workgroup_id_x 1
		.amdhsa_system_sgpr_workgroup_id_y 0
		.amdhsa_system_sgpr_workgroup_id_z 1
		.amdhsa_system_sgpr_workgroup_info 0
		.amdhsa_system_vgpr_workitem_id 0
		.amdhsa_next_free_vgpr 13
		.amdhsa_next_free_sgpr 17
		.amdhsa_reserve_vcc 1
		.amdhsa_float_round_mode_32 0
		.amdhsa_float_round_mode_16_64 0
		.amdhsa_float_denorm_mode_32 3
		.amdhsa_float_denorm_mode_16_64 3
		.amdhsa_dx10_clamp 1
		.amdhsa_ieee_mode 1
		.amdhsa_fp16_overflow 0
		.amdhsa_workgroup_processor_mode 1
		.amdhsa_memory_ordered 1
		.amdhsa_forward_progress 0
		.amdhsa_shared_vgpr_count 0
		.amdhsa_exception_fp_ieee_invalid_op 0
		.amdhsa_exception_fp_denorm_src 0
		.amdhsa_exception_fp_ieee_div_zero 0
		.amdhsa_exception_fp_ieee_overflow 0
		.amdhsa_exception_fp_ieee_underflow 0
		.amdhsa_exception_fp_ieee_inexact 0
		.amdhsa_exception_int_div_zero 0
	.end_amdhsa_kernel
	.section	.text._ZL24rocblas_dot_kernel_magsqIiLb1ELi1024ELi32ELb0E19rocblas_complex_numIfEPKPKS1_S1_EviT5_lT_liPT6_PT4_,"axG",@progbits,_ZL24rocblas_dot_kernel_magsqIiLb1ELi1024ELi32ELb0E19rocblas_complex_numIfEPKPKS1_S1_EviT5_lT_liPT6_PT4_,comdat
.Lfunc_end213:
	.size	_ZL24rocblas_dot_kernel_magsqIiLb1ELi1024ELi32ELb0E19rocblas_complex_numIfEPKPKS1_S1_EviT5_lT_liPT6_PT4_, .Lfunc_end213-_ZL24rocblas_dot_kernel_magsqIiLb1ELi1024ELi32ELb0E19rocblas_complex_numIfEPKPKS1_S1_EviT5_lT_liPT6_PT4_
                                        ; -- End function
	.section	.AMDGPU.csdata,"",@progbits
; Kernel info:
; codeLenInByte = 976
; NumSgprs: 19
; NumVgprs: 13
; ScratchSize: 0
; MemoryBound: 0
; FloatMode: 240
; IeeeMode: 1
; LDSByteSize: 256 bytes/workgroup (compile time only)
; SGPRBlocks: 2
; VGPRBlocks: 1
; NumSGPRsForWavesPerEU: 19
; NumVGPRsForWavesPerEU: 13
; Occupancy: 16
; WaveLimiterHint : 0
; COMPUTE_PGM_RSRC2:SCRATCH_EN: 0
; COMPUTE_PGM_RSRC2:USER_SGPR: 14
; COMPUTE_PGM_RSRC2:TRAP_HANDLER: 0
; COMPUTE_PGM_RSRC2:TGID_X_EN: 1
; COMPUTE_PGM_RSRC2:TGID_Y_EN: 0
; COMPUTE_PGM_RSRC2:TGID_Z_EN: 1
; COMPUTE_PGM_RSRC2:TIDIG_COMP_CNT: 0
	.section	.text._ZL38rocblas_dot_kernel_gfx942_float_doubleIiLi1024E19rocblas_complex_numIfEPKPKS1_S1_EviT2_lT_lS6_lS7_lPT3_PT1_,"axG",@progbits,_ZL38rocblas_dot_kernel_gfx942_float_doubleIiLi1024E19rocblas_complex_numIfEPKPKS1_S1_EviT2_lT_lS6_lS7_lPT3_PT1_,comdat
	.globl	_ZL38rocblas_dot_kernel_gfx942_float_doubleIiLi1024E19rocblas_complex_numIfEPKPKS1_S1_EviT2_lT_lS6_lS7_lPT3_PT1_ ; -- Begin function _ZL38rocblas_dot_kernel_gfx942_float_doubleIiLi1024E19rocblas_complex_numIfEPKPKS1_S1_EviT2_lT_lS6_lS7_lPT3_PT1_
	.p2align	8
	.type	_ZL38rocblas_dot_kernel_gfx942_float_doubleIiLi1024E19rocblas_complex_numIfEPKPKS1_S1_EviT2_lT_lS6_lS7_lPT3_PT1_,@function
_ZL38rocblas_dot_kernel_gfx942_float_doubleIiLi1024E19rocblas_complex_numIfEPKPKS1_S1_EviT2_lT_lS6_lS7_lPT3_PT1_: ; @_ZL38rocblas_dot_kernel_gfx942_float_doubleIiLi1024E19rocblas_complex_numIfEPKPKS1_S1_EviT2_lT_lS6_lS7_lPT3_PT1_
; %bb.0:
	s_endpgm
	.section	.rodata,"a",@progbits
	.p2align	6, 0x0
	.amdhsa_kernel _ZL38rocblas_dot_kernel_gfx942_float_doubleIiLi1024E19rocblas_complex_numIfEPKPKS1_S1_EviT2_lT_lS6_lS7_lPT3_PT1_
		.amdhsa_group_segment_fixed_size 0
		.amdhsa_private_segment_fixed_size 0
		.amdhsa_kernarg_size 88
		.amdhsa_user_sgpr_count 15
		.amdhsa_user_sgpr_dispatch_ptr 0
		.amdhsa_user_sgpr_queue_ptr 0
		.amdhsa_user_sgpr_kernarg_segment_ptr 1
		.amdhsa_user_sgpr_dispatch_id 0
		.amdhsa_user_sgpr_private_segment_size 0
		.amdhsa_wavefront_size32 1
		.amdhsa_uses_dynamic_stack 0
		.amdhsa_enable_private_segment 0
		.amdhsa_system_sgpr_workgroup_id_x 1
		.amdhsa_system_sgpr_workgroup_id_y 0
		.amdhsa_system_sgpr_workgroup_id_z 0
		.amdhsa_system_sgpr_workgroup_info 0
		.amdhsa_system_vgpr_workitem_id 0
		.amdhsa_next_free_vgpr 1
		.amdhsa_next_free_sgpr 1
		.amdhsa_reserve_vcc 0
		.amdhsa_float_round_mode_32 0
		.amdhsa_float_round_mode_16_64 0
		.amdhsa_float_denorm_mode_32 3
		.amdhsa_float_denorm_mode_16_64 3
		.amdhsa_dx10_clamp 1
		.amdhsa_ieee_mode 1
		.amdhsa_fp16_overflow 0
		.amdhsa_workgroup_processor_mode 1
		.amdhsa_memory_ordered 1
		.amdhsa_forward_progress 0
		.amdhsa_shared_vgpr_count 0
		.amdhsa_exception_fp_ieee_invalid_op 0
		.amdhsa_exception_fp_denorm_src 0
		.amdhsa_exception_fp_ieee_div_zero 0
		.amdhsa_exception_fp_ieee_overflow 0
		.amdhsa_exception_fp_ieee_underflow 0
		.amdhsa_exception_fp_ieee_inexact 0
		.amdhsa_exception_int_div_zero 0
	.end_amdhsa_kernel
	.section	.text._ZL38rocblas_dot_kernel_gfx942_float_doubleIiLi1024E19rocblas_complex_numIfEPKPKS1_S1_EviT2_lT_lS6_lS7_lPT3_PT1_,"axG",@progbits,_ZL38rocblas_dot_kernel_gfx942_float_doubleIiLi1024E19rocblas_complex_numIfEPKPKS1_S1_EviT2_lT_lS6_lS7_lPT3_PT1_,comdat
.Lfunc_end214:
	.size	_ZL38rocblas_dot_kernel_gfx942_float_doubleIiLi1024E19rocblas_complex_numIfEPKPKS1_S1_EviT2_lT_lS6_lS7_lPT3_PT1_, .Lfunc_end214-_ZL38rocblas_dot_kernel_gfx942_float_doubleIiLi1024E19rocblas_complex_numIfEPKPKS1_S1_EviT2_lT_lS6_lS7_lPT3_PT1_
                                        ; -- End function
	.section	.AMDGPU.csdata,"",@progbits
; Kernel info:
; codeLenInByte = 4
; NumSgprs: 0
; NumVgprs: 0
; ScratchSize: 0
; MemoryBound: 0
; FloatMode: 240
; IeeeMode: 1
; LDSByteSize: 0 bytes/workgroup (compile time only)
; SGPRBlocks: 0
; VGPRBlocks: 0
; NumSGPRsForWavesPerEU: 1
; NumVGPRsForWavesPerEU: 1
; Occupancy: 16
; WaveLimiterHint : 0
; COMPUTE_PGM_RSRC2:SCRATCH_EN: 0
; COMPUTE_PGM_RSRC2:USER_SGPR: 15
; COMPUTE_PGM_RSRC2:TRAP_HANDLER: 0
; COMPUTE_PGM_RSRC2:TGID_X_EN: 1
; COMPUTE_PGM_RSRC2:TGID_Y_EN: 0
; COMPUTE_PGM_RSRC2:TGID_Z_EN: 0
; COMPUTE_PGM_RSRC2:TIDIG_COMP_CNT: 0
	.section	.text._ZL23rocblas_dot_kernel_inc1ILb0ELi512ELi2ELb0E19rocblas_complex_numIfEPKPKS1_S1_EviT4_llS6_lliPT5_PT3_,"axG",@progbits,_ZL23rocblas_dot_kernel_inc1ILb0ELi512ELi2ELb0E19rocblas_complex_numIfEPKPKS1_S1_EviT4_llS6_lliPT5_PT3_,comdat
	.globl	_ZL23rocblas_dot_kernel_inc1ILb0ELi512ELi2ELb0E19rocblas_complex_numIfEPKPKS1_S1_EviT4_llS6_lliPT5_PT3_ ; -- Begin function _ZL23rocblas_dot_kernel_inc1ILb0ELi512ELi2ELb0E19rocblas_complex_numIfEPKPKS1_S1_EviT4_llS6_lliPT5_PT3_
	.p2align	8
	.type	_ZL23rocblas_dot_kernel_inc1ILb0ELi512ELi2ELb0E19rocblas_complex_numIfEPKPKS1_S1_EviT4_llS6_lliPT5_PT3_,@function
_ZL23rocblas_dot_kernel_inc1ILb0ELi512ELi2ELb0E19rocblas_complex_numIfEPKPKS1_S1_EviT4_llS6_lliPT5_PT3_: ; @_ZL23rocblas_dot_kernel_inc1ILb0ELi512ELi2ELb0E19rocblas_complex_numIfEPKPKS1_S1_EviT4_llS6_lliPT5_PT3_
; %bb.0:
	s_clause 0x1
	s_load_b32 s6, s[0:1], 0x0
	s_load_b32 s3, s[0:1], 0x50
	v_lshl_or_b32 v1, s14, 9, v0
	v_dual_mov_b32 v5, 0 :: v_dual_mov_b32 v6, 0
	s_mov_b32 s4, s15
	s_mov_b32 s5, 0
	s_mov_b32 s2, exec_lo
	s_waitcnt lgkmcnt(0)
	v_cmpx_gt_i32_e64 s6, v1
	s_cbranch_execz .LBB215_4
; %bb.1:
	s_clause 0x1
	s_load_b128 s[8:11], s[0:1], 0x8
	s_load_b128 s[16:19], s[0:1], 0x20
	s_lshl_b64 s[12:13], s[4:5], 3
	v_ashrrev_i32_e32 v2, 31, v1
	s_delay_alu instid0(VALU_DEP_1)
	v_lshlrev_b64 v[1:2], 3, v[1:2]
	s_waitcnt lgkmcnt(0)
	s_add_u32 s8, s8, s12
	s_addc_u32 s9, s9, s13
	s_lshl_b64 s[10:11], s[10:11], 3
	s_load_b64 s[8:9], s[8:9], 0x0
	s_waitcnt lgkmcnt(0)
	s_add_u32 s7, s8, s10
	s_addc_u32 s8, s9, s11
	s_add_u32 s10, s16, s12
	s_addc_u32 s11, s17, s13
	s_lshl_b64 s[12:13], s[18:19], 3
	s_load_b64 s[10:11], s[10:11], 0x0
	v_add_co_u32 v3, vcc_lo, s7, v1
	v_add_co_ci_u32_e32 v4, vcc_lo, s8, v2, vcc_lo
	s_waitcnt lgkmcnt(0)
	s_add_u32 s9, s10, s12
	s_addc_u32 s10, s11, s13
	v_add_co_u32 v1, vcc_lo, s9, v1
	v_add_co_ci_u32_e32 v2, vcc_lo, s10, v2, vcc_lo
	s_add_i32 s11, s14, s3
	global_load_b64 v[3:4], v[3:4], off
	global_load_b64 v[1:2], v[1:2], off
	s_waitcnt vmcnt(0)
	v_mul_f32_e32 v5, v4, v2
	v_mul_f32_e32 v2, v3, v2
	s_delay_alu instid0(VALU_DEP_2) | instskip(NEXT) | instid1(VALU_DEP_1)
	v_fma_f32 v3, v3, v1, -v5
	v_dual_add_f32 v5, 0, v3 :: v_dual_fmac_f32 v2, v4, v1
	v_lshl_or_b32 v1, s11, 9, v0
	s_delay_alu instid0(VALU_DEP_2) | instskip(NEXT) | instid1(VALU_DEP_2)
	v_add_f32_e32 v6, 0, v2
	v_cmp_gt_i32_e32 vcc_lo, s6, v1
	s_and_saveexec_b32 s6, vcc_lo
	s_cbranch_execz .LBB215_3
; %bb.2:
	v_ashrrev_i32_e32 v2, 31, v1
	s_delay_alu instid0(VALU_DEP_1) | instskip(NEXT) | instid1(VALU_DEP_1)
	v_lshlrev_b64 v[1:2], 3, v[1:2]
	v_add_co_u32 v3, vcc_lo, s7, v1
	s_delay_alu instid0(VALU_DEP_2)
	v_add_co_ci_u32_e32 v4, vcc_lo, s8, v2, vcc_lo
	v_add_co_u32 v1, vcc_lo, s9, v1
	v_add_co_ci_u32_e32 v2, vcc_lo, s10, v2, vcc_lo
	global_load_b64 v[3:4], v[3:4], off
	global_load_b64 v[1:2], v[1:2], off
	s_waitcnt vmcnt(0)
	v_mul_f32_e32 v7, v3, v2
	v_mul_f32_e32 v2, v4, v2
	s_delay_alu instid0(VALU_DEP_2) | instskip(NEXT) | instid1(VALU_DEP_2)
	v_fmac_f32_e32 v7, v4, v1
	v_fma_f32 v1, v3, v1, -v2
	s_delay_alu instid0(VALU_DEP_1)
	v_dual_add_f32 v6, v6, v7 :: v_dual_add_f32 v5, v5, v1
.LBB215_3:
	s_or_b32 exec_lo, exec_lo, s6
.LBB215_4:
	s_delay_alu instid0(SALU_CYCLE_1) | instskip(SKIP_2) | instid1(VALU_DEP_2)
	s_or_b32 exec_lo, exec_lo, s2
	v_and_b32_e32 v1, 31, v0
	v_cmp_gt_u32_e32 vcc_lo, 32, v0
	v_lshlrev_b32_e32 v3, 3, v1
	s_and_saveexec_b32 s2, vcc_lo
	s_cbranch_execz .LBB215_6
; %bb.5:
	v_mov_b32_e32 v7, 0
	s_delay_alu instid0(VALU_DEP_1)
	v_mov_b32_e32 v8, v7
	ds_store_b64 v3, v[7:8]
.LBB215_6:
	s_or_b32 exec_lo, exec_lo, s2
	v_mbcnt_lo_u32_b32 v2, -1, 0
	s_mov_b32 s6, exec_lo
	s_waitcnt lgkmcnt(0)
	s_barrier
	buffer_gl0_inv
	v_cmp_gt_u32_e64 s2, 16, v2
	s_delay_alu instid0(VALU_DEP_1) | instskip(SKIP_1) | instid1(VALU_DEP_2)
	v_cndmask_b32_e64 v4, 0, 1, s2
	v_cmp_gt_u32_e64 s2, 24, v2
	v_lshlrev_b32_e32 v4, 4, v4
	s_delay_alu instid0(VALU_DEP_1) | instskip(SKIP_4) | instid1(VALU_DEP_2)
	v_add_lshl_u32 v4, v4, v2, 2
	ds_bpermute_b32 v7, v4, v5
	ds_bpermute_b32 v8, v4, v6
	v_cndmask_b32_e64 v4, 0, 1, s2
	v_cmp_gt_u32_e64 s2, 28, v2
	v_lshlrev_b32_e32 v4, 3, v4
	s_delay_alu instid0(VALU_DEP_1)
	v_add_lshl_u32 v4, v4, v2, 2
	s_waitcnt lgkmcnt(1)
	v_add_f32_e32 v7, v5, v7
	v_cndmask_b32_e64 v5, 0, 1, s2
	s_waitcnt lgkmcnt(0)
	v_add_f32_e32 v6, v6, v8
	v_cmp_gt_u32_e64 s2, 30, v2
	ds_bpermute_b32 v8, v4, v7
	v_lshlrev_b32_e32 v5, 2, v5
	ds_bpermute_b32 v9, v4, v6
	v_add_lshl_u32 v5, v5, v2, 2
	s_waitcnt lgkmcnt(0)
	v_dual_add_f32 v7, v7, v8 :: v_dual_add_f32 v8, v6, v9
	v_cndmask_b32_e64 v6, 0, 1, s2
	v_cmp_ne_u32_e64 s2, 31, v2
	ds_bpermute_b32 v9, v5, v7
	ds_bpermute_b32 v10, v5, v8
	v_lshlrev_b32_e32 v6, 1, v6
	s_delay_alu instid0(VALU_DEP_1)
	v_add_lshl_u32 v6, v6, v2, 2
	v_add_co_ci_u32_e64 v2, s2, 0, v2, s2
	s_waitcnt lgkmcnt(0)
	v_dual_add_f32 v9, v7, v9 :: v_dual_add_f32 v8, v8, v10
	ds_bpermute_b32 v10, v6, v9
	ds_bpermute_b32 v11, v6, v8
	v_lshlrev_b32_e32 v7, 2, v2
	s_waitcnt lgkmcnt(1)
	v_add_f32_e32 v2, v9, v10
	s_waitcnt lgkmcnt(0)
	v_add_f32_e32 v8, v8, v11
	ds_bpermute_b32 v9, v7, v2
	ds_bpermute_b32 v10, v7, v8
	v_cmpx_eq_u32_e32 0, v1
	s_cbranch_execz .LBB215_8
; %bb.7:
	v_lshrrev_b32_e32 v11, 2, v0
	s_waitcnt lgkmcnt(0)
	v_dual_add_f32 v1, v2, v9 :: v_dual_add_f32 v2, v8, v10
	s_delay_alu instid0(VALU_DEP_2)
	v_and_b32_e32 v8, 0x78, v11
	ds_store_b64 v8, v[1:2]
.LBB215_8:
	s_or_b32 exec_lo, exec_lo, s6
	v_dual_mov_b32 v2, 0 :: v_dual_mov_b32 v1, 0
	s_mov_b32 s6, exec_lo
	s_waitcnt lgkmcnt(0)
	s_barrier
	buffer_gl0_inv
	v_cmpx_gt_u32_e32 16, v0
	s_cbranch_execz .LBB215_10
; %bb.9:
	ds_load_b64 v[1:2], v3
.LBB215_10:
	s_or_b32 exec_lo, exec_lo, s6
	s_and_saveexec_b32 s2, vcc_lo
	s_cbranch_execz .LBB215_12
; %bb.11:
	s_waitcnt lgkmcnt(0)
	ds_bpermute_b32 v3, v4, v1
	ds_bpermute_b32 v4, v4, v2
	s_waitcnt lgkmcnt(0)
	v_dual_add_f32 v1, v1, v3 :: v_dual_add_f32 v2, v2, v4
	ds_bpermute_b32 v3, v5, v1
	ds_bpermute_b32 v4, v5, v2
	s_waitcnt lgkmcnt(0)
	v_dual_add_f32 v1, v1, v3 :: v_dual_add_f32 v2, v2, v4
	;; [unrolled: 4-line block ×4, first 2 shown]
.LBB215_12:
	s_or_b32 exec_lo, exec_lo, s2
	s_delay_alu instid0(SALU_CYCLE_1)
	s_mov_b32 s2, exec_lo
	v_cmpx_eq_u32_e32 0, v0
	s_cbranch_execz .LBB215_18
; %bb.13:
	s_cmp_lg_u32 s3, 1
	s_cbranch_scc0 .LBB215_15
; %bb.14:
	s_load_b64 s[6:7], s[0:1], 0x40
	s_mul_hi_u32 s9, s3, s4
	s_mul_i32 s8, s3, s4
	s_mov_b32 s15, 0
	s_lshl_b64 s[2:3], s[8:9], 3
	s_waitcnt lgkmcnt(0)
	s_add_u32 s6, s6, s2
	s_addc_u32 s7, s7, s3
	s_lshl_b64 s[2:3], s[14:15], 3
	s_delay_alu instid0(SALU_CYCLE_1)
	s_add_u32 s2, s6, s2
	s_addc_u32 s3, s7, s3
	s_cbranch_execz .LBB215_16
	s_branch .LBB215_17
.LBB215_15:
                                        ; implicit-def: $sgpr2_sgpr3
.LBB215_16:
	s_load_b64 s[0:1], s[0:1], 0x48
	s_lshl_b64 s[2:3], s[4:5], 3
	s_waitcnt lgkmcnt(0)
	s_add_u32 s2, s0, s2
	s_addc_u32 s3, s1, s3
.LBB215_17:
	v_mov_b32_e32 v0, 0
	s_waitcnt lgkmcnt(0)
	global_store_b64 v0, v[1:2], s[2:3]
.LBB215_18:
	s_nop 0
	s_sendmsg sendmsg(MSG_DEALLOC_VGPRS)
	s_endpgm
	.section	.rodata,"a",@progbits
	.p2align	6, 0x0
	.amdhsa_kernel _ZL23rocblas_dot_kernel_inc1ILb0ELi512ELi2ELb0E19rocblas_complex_numIfEPKPKS1_S1_EviT4_llS6_lliPT5_PT3_
		.amdhsa_group_segment_fixed_size 256
		.amdhsa_private_segment_fixed_size 0
		.amdhsa_kernarg_size 336
		.amdhsa_user_sgpr_count 14
		.amdhsa_user_sgpr_dispatch_ptr 0
		.amdhsa_user_sgpr_queue_ptr 0
		.amdhsa_user_sgpr_kernarg_segment_ptr 1
		.amdhsa_user_sgpr_dispatch_id 0
		.amdhsa_user_sgpr_private_segment_size 0
		.amdhsa_wavefront_size32 1
		.amdhsa_uses_dynamic_stack 0
		.amdhsa_enable_private_segment 0
		.amdhsa_system_sgpr_workgroup_id_x 1
		.amdhsa_system_sgpr_workgroup_id_y 0
		.amdhsa_system_sgpr_workgroup_id_z 1
		.amdhsa_system_sgpr_workgroup_info 0
		.amdhsa_system_vgpr_workitem_id 0
		.amdhsa_next_free_vgpr 12
		.amdhsa_next_free_sgpr 20
		.amdhsa_reserve_vcc 1
		.amdhsa_float_round_mode_32 0
		.amdhsa_float_round_mode_16_64 0
		.amdhsa_float_denorm_mode_32 3
		.amdhsa_float_denorm_mode_16_64 3
		.amdhsa_dx10_clamp 1
		.amdhsa_ieee_mode 1
		.amdhsa_fp16_overflow 0
		.amdhsa_workgroup_processor_mode 1
		.amdhsa_memory_ordered 1
		.amdhsa_forward_progress 0
		.amdhsa_shared_vgpr_count 0
		.amdhsa_exception_fp_ieee_invalid_op 0
		.amdhsa_exception_fp_denorm_src 0
		.amdhsa_exception_fp_ieee_div_zero 0
		.amdhsa_exception_fp_ieee_overflow 0
		.amdhsa_exception_fp_ieee_underflow 0
		.amdhsa_exception_fp_ieee_inexact 0
		.amdhsa_exception_int_div_zero 0
	.end_amdhsa_kernel
	.section	.text._ZL23rocblas_dot_kernel_inc1ILb0ELi512ELi2ELb0E19rocblas_complex_numIfEPKPKS1_S1_EviT4_llS6_lliPT5_PT3_,"axG",@progbits,_ZL23rocblas_dot_kernel_inc1ILb0ELi512ELi2ELb0E19rocblas_complex_numIfEPKPKS1_S1_EviT4_llS6_lliPT5_PT3_,comdat
.Lfunc_end215:
	.size	_ZL23rocblas_dot_kernel_inc1ILb0ELi512ELi2ELb0E19rocblas_complex_numIfEPKPKS1_S1_EviT4_llS6_lliPT5_PT3_, .Lfunc_end215-_ZL23rocblas_dot_kernel_inc1ILb0ELi512ELi2ELb0E19rocblas_complex_numIfEPKPKS1_S1_EviT4_llS6_lliPT5_PT3_
                                        ; -- End function
	.section	.AMDGPU.csdata,"",@progbits
; Kernel info:
; codeLenInByte = 1104
; NumSgprs: 22
; NumVgprs: 12
; ScratchSize: 0
; MemoryBound: 0
; FloatMode: 240
; IeeeMode: 1
; LDSByteSize: 256 bytes/workgroup (compile time only)
; SGPRBlocks: 2
; VGPRBlocks: 1
; NumSGPRsForWavesPerEU: 22
; NumVGPRsForWavesPerEU: 12
; Occupancy: 16
; WaveLimiterHint : 1
; COMPUTE_PGM_RSRC2:SCRATCH_EN: 0
; COMPUTE_PGM_RSRC2:USER_SGPR: 14
; COMPUTE_PGM_RSRC2:TRAP_HANDLER: 0
; COMPUTE_PGM_RSRC2:TGID_X_EN: 1
; COMPUTE_PGM_RSRC2:TGID_Y_EN: 0
; COMPUTE_PGM_RSRC2:TGID_Z_EN: 1
; COMPUTE_PGM_RSRC2:TIDIG_COMP_CNT: 0
	.section	.text._ZL18rocblas_dot_kernelIiLb0ELi512ELi2ELb0E19rocblas_complex_numIfEPKPKS1_S1_EviT5_lT_lS6_lS7_liPT6_PT4_,"axG",@progbits,_ZL18rocblas_dot_kernelIiLb0ELi512ELi2ELb0E19rocblas_complex_numIfEPKPKS1_S1_EviT5_lT_lS6_lS7_liPT6_PT4_,comdat
	.globl	_ZL18rocblas_dot_kernelIiLb0ELi512ELi2ELb0E19rocblas_complex_numIfEPKPKS1_S1_EviT5_lT_lS6_lS7_liPT6_PT4_ ; -- Begin function _ZL18rocblas_dot_kernelIiLb0ELi512ELi2ELb0E19rocblas_complex_numIfEPKPKS1_S1_EviT5_lT_lS6_lS7_liPT6_PT4_
	.p2align	8
	.type	_ZL18rocblas_dot_kernelIiLb0ELi512ELi2ELb0E19rocblas_complex_numIfEPKPKS1_S1_EviT5_lT_lS6_lS7_liPT6_PT4_,@function
_ZL18rocblas_dot_kernelIiLb0ELi512ELi2ELb0E19rocblas_complex_numIfEPKPKS1_S1_EviT5_lT_lS6_lS7_liPT6_PT4_: ; @_ZL18rocblas_dot_kernelIiLb0ELi512ELi2ELb0E19rocblas_complex_numIfEPKPKS1_S1_EviT5_lT_lS6_lS7_liPT6_PT4_
; %bb.0:
	s_clause 0x1
	s_load_b32 s6, s[0:1], 0x0
	s_load_b32 s3, s[0:1], 0x60
	v_lshl_or_b32 v3, s14, 9, v0
	v_dual_mov_b32 v1, 0 :: v_dual_mov_b32 v2, 0
	s_mov_b32 s4, s15
	s_mov_b32 s5, 0
	s_mov_b32 s2, exec_lo
	s_waitcnt lgkmcnt(0)
	v_cmpx_gt_i32_e64 s6, v3
	s_cbranch_execz .LBB216_4
; %bb.1:
	s_clause 0x1
	s_load_b128 s[16:19], s[0:1], 0x8
	s_load_b32 s10, s[0:1], 0x18
	s_lshl_b64 s[12:13], s[4:5], 3
	s_waitcnt lgkmcnt(0)
	s_add_u32 s8, s16, s12
	s_addc_u32 s9, s17, s13
	s_lshl_b64 s[18:19], s[18:19], 3
	s_load_b64 s[16:17], s[8:9], 0x0
	s_clause 0x1
	s_load_b128 s[20:23], s[0:1], 0x28
	s_load_b32 s9, s[0:1], 0x38
	v_mad_i64_i32 v[1:2], null, v3, s10, 0
	s_delay_alu instid0(VALU_DEP_1)
	v_lshlrev_b64 v[1:2], 3, v[1:2]
	s_waitcnt lgkmcnt(0)
	s_add_u32 s7, s16, s18
	s_addc_u32 s8, s17, s19
	s_add_u32 s12, s20, s12
	s_addc_u32 s13, s21, s13
	v_mad_i64_i32 v[4:5], null, v3, s9, 0
	s_load_b64 s[12:13], s[12:13], 0x0
	s_lshl_b64 s[16:17], s[22:23], 3
	v_add_co_u32 v1, vcc_lo, s7, v1
	v_add_co_ci_u32_e32 v2, vcc_lo, s8, v2, vcc_lo
	s_delay_alu instid0(VALU_DEP_3) | instskip(SKIP_3) | instid1(VALU_DEP_1)
	v_lshlrev_b64 v[3:4], 3, v[4:5]
	s_waitcnt lgkmcnt(0)
	s_add_u32 s11, s12, s16
	s_addc_u32 s12, s13, s17
	v_add_co_u32 v3, vcc_lo, s11, v3
	s_delay_alu instid0(VALU_DEP_2)
	v_add_co_ci_u32_e32 v4, vcc_lo, s12, v4, vcc_lo
	s_add_i32 s13, s14, s3
	global_load_b64 v[1:2], v[1:2], off
	global_load_b64 v[3:4], v[3:4], off
	s_waitcnt vmcnt(0)
	v_mul_f32_e32 v5, v2, v4
	v_mul_f32_e32 v4, v1, v4
	s_delay_alu instid0(VALU_DEP_2) | instskip(NEXT) | instid1(VALU_DEP_1)
	v_fma_f32 v1, v1, v3, -v5
	v_dual_add_f32 v1, 0, v1 :: v_dual_fmac_f32 v4, v2, v3
	v_lshl_or_b32 v3, s13, 9, v0
	s_delay_alu instid0(VALU_DEP_2) | instskip(NEXT) | instid1(VALU_DEP_2)
	v_add_f32_e32 v2, 0, v4
	v_cmp_gt_i32_e32 vcc_lo, s6, v3
	s_and_saveexec_b32 s6, vcc_lo
	s_cbranch_execz .LBB216_3
; %bb.2:
	v_mad_i64_i32 v[4:5], null, v3, s10, 0
	v_mad_i64_i32 v[6:7], null, v3, s9, 0
	s_delay_alu instid0(VALU_DEP_2) | instskip(NEXT) | instid1(VALU_DEP_2)
	v_lshlrev_b64 v[3:4], 3, v[4:5]
	v_lshlrev_b64 v[5:6], 3, v[6:7]
	s_delay_alu instid0(VALU_DEP_2) | instskip(NEXT) | instid1(VALU_DEP_3)
	v_add_co_u32 v3, vcc_lo, s7, v3
	v_add_co_ci_u32_e32 v4, vcc_lo, s8, v4, vcc_lo
	s_delay_alu instid0(VALU_DEP_3) | instskip(NEXT) | instid1(VALU_DEP_4)
	v_add_co_u32 v5, vcc_lo, s11, v5
	v_add_co_ci_u32_e32 v6, vcc_lo, s12, v6, vcc_lo
	global_load_b64 v[3:4], v[3:4], off
	global_load_b64 v[5:6], v[5:6], off
	s_waitcnt vmcnt(0)
	v_mul_f32_e32 v7, v3, v6
	v_mul_f32_e32 v6, v4, v6
	s_delay_alu instid0(VALU_DEP_2) | instskip(NEXT) | instid1(VALU_DEP_2)
	v_fmac_f32_e32 v7, v4, v5
	v_fma_f32 v3, v3, v5, -v6
	s_delay_alu instid0(VALU_DEP_2) | instskip(NEXT) | instid1(VALU_DEP_2)
	v_add_f32_e32 v2, v2, v7
	v_add_f32_e32 v1, v1, v3
.LBB216_3:
	s_or_b32 exec_lo, exec_lo, s6
.LBB216_4:
	s_delay_alu instid0(SALU_CYCLE_1) | instskip(SKIP_2) | instid1(VALU_DEP_2)
	s_or_b32 exec_lo, exec_lo, s2
	v_and_b32_e32 v8, 31, v0
	v_cmp_gt_u32_e32 vcc_lo, 32, v0
	v_lshlrev_b32_e32 v3, 3, v8
	s_and_saveexec_b32 s2, vcc_lo
	s_cbranch_execz .LBB216_6
; %bb.5:
	v_mov_b32_e32 v4, 0
	s_delay_alu instid0(VALU_DEP_1)
	v_mov_b32_e32 v5, v4
	ds_store_b64 v3, v[4:5]
.LBB216_6:
	s_or_b32 exec_lo, exec_lo, s2
	v_mbcnt_lo_u32_b32 v7, -1, 0
	s_mov_b32 s6, exec_lo
	s_waitcnt lgkmcnt(0)
	s_barrier
	buffer_gl0_inv
	v_cmp_gt_u32_e64 s2, 16, v7
	s_delay_alu instid0(VALU_DEP_1) | instskip(SKIP_1) | instid1(VALU_DEP_2)
	v_cndmask_b32_e64 v4, 0, 1, s2
	v_cmp_gt_u32_e64 s2, 24, v7
	v_lshlrev_b32_e32 v4, 4, v4
	s_delay_alu instid0(VALU_DEP_1)
	v_add_lshl_u32 v4, v4, v7, 2
	ds_bpermute_b32 v5, v4, v1
	ds_bpermute_b32 v6, v4, v2
	v_cndmask_b32_e64 v4, 0, 1, s2
	v_cmp_gt_u32_e64 s2, 28, v7
	s_waitcnt lgkmcnt(1)
	s_delay_alu instid0(VALU_DEP_2) | instskip(NEXT) | instid1(VALU_DEP_2)
	v_dual_add_f32 v1, v1, v5 :: v_dual_lshlrev_b32 v4, 3, v4
	v_cndmask_b32_e64 v5, 0, 1, s2
	s_waitcnt lgkmcnt(0)
	v_add_f32_e32 v2, v2, v6
	v_cmp_gt_u32_e64 s2, 30, v7
	v_add_lshl_u32 v4, v4, v7, 2
	v_lshlrev_b32_e32 v5, 2, v5
	ds_bpermute_b32 v6, v4, v1
	ds_bpermute_b32 v9, v4, v2
	v_add_lshl_u32 v5, v5, v7, 2
	s_waitcnt lgkmcnt(1)
	v_add_f32_e32 v1, v1, v6
	v_cndmask_b32_e64 v6, 0, 1, s2
	v_cmp_ne_u32_e64 s2, 31, v7
	s_delay_alu instid0(VALU_DEP_2) | instskip(NEXT) | instid1(VALU_DEP_1)
	v_lshlrev_b32_e32 v6, 1, v6
	v_add_lshl_u32 v6, v6, v7, 2
	s_delay_alu instid0(VALU_DEP_3)
	v_add_co_ci_u32_e64 v7, s2, 0, v7, s2
	s_waitcnt lgkmcnt(0)
	v_add_f32_e32 v2, v2, v9
	ds_bpermute_b32 v9, v5, v1
	v_lshlrev_b32_e32 v7, 2, v7
	ds_bpermute_b32 v10, v5, v2
	s_waitcnt lgkmcnt(1)
	v_add_f32_e32 v1, v1, v9
	ds_bpermute_b32 v9, v6, v1
	s_waitcnt lgkmcnt(0)
	v_dual_add_f32 v2, v2, v10 :: v_dual_add_f32 v1, v1, v9
	ds_bpermute_b32 v10, v6, v2
	ds_bpermute_b32 v9, v7, v1
	s_waitcnt lgkmcnt(1)
	v_add_f32_e32 v2, v2, v10
	ds_bpermute_b32 v10, v7, v2
	v_cmpx_eq_u32_e32 0, v8
	s_cbranch_execz .LBB216_8
; %bb.7:
	v_lshrrev_b32_e32 v8, 2, v0
	s_waitcnt lgkmcnt(0)
	v_dual_add_f32 v1, v1, v9 :: v_dual_add_f32 v2, v2, v10
	s_delay_alu instid0(VALU_DEP_2)
	v_and_b32_e32 v8, 0x78, v8
	ds_store_b64 v8, v[1:2]
.LBB216_8:
	s_or_b32 exec_lo, exec_lo, s6
	v_dual_mov_b32 v2, 0 :: v_dual_mov_b32 v1, 0
	s_mov_b32 s6, exec_lo
	s_waitcnt lgkmcnt(0)
	s_barrier
	buffer_gl0_inv
	v_cmpx_gt_u32_e32 16, v0
	s_cbranch_execz .LBB216_10
; %bb.9:
	ds_load_b64 v[1:2], v3
.LBB216_10:
	s_or_b32 exec_lo, exec_lo, s6
	s_and_saveexec_b32 s2, vcc_lo
	s_cbranch_execz .LBB216_12
; %bb.11:
	s_waitcnt lgkmcnt(0)
	ds_bpermute_b32 v3, v4, v1
	ds_bpermute_b32 v4, v4, v2
	s_waitcnt lgkmcnt(0)
	v_dual_add_f32 v1, v1, v3 :: v_dual_add_f32 v2, v2, v4
	ds_bpermute_b32 v3, v5, v1
	ds_bpermute_b32 v4, v5, v2
	s_waitcnt lgkmcnt(0)
	v_dual_add_f32 v1, v1, v3 :: v_dual_add_f32 v2, v2, v4
	;; [unrolled: 4-line block ×4, first 2 shown]
.LBB216_12:
	s_or_b32 exec_lo, exec_lo, s2
	s_delay_alu instid0(SALU_CYCLE_1)
	s_mov_b32 s2, exec_lo
	v_cmpx_eq_u32_e32 0, v0
	s_cbranch_execz .LBB216_18
; %bb.13:
	s_cmp_lg_u32 s3, 1
	s_cbranch_scc0 .LBB216_15
; %bb.14:
	s_load_b64 s[6:7], s[0:1], 0x50
	s_mul_hi_u32 s9, s3, s4
	s_mul_i32 s8, s3, s4
	s_mov_b32 s15, 0
	s_lshl_b64 s[2:3], s[8:9], 3
	s_waitcnt lgkmcnt(0)
	s_add_u32 s6, s6, s2
	s_addc_u32 s7, s7, s3
	s_lshl_b64 s[2:3], s[14:15], 3
	s_delay_alu instid0(SALU_CYCLE_1)
	s_add_u32 s2, s6, s2
	s_addc_u32 s3, s7, s3
	s_cbranch_execz .LBB216_16
	s_branch .LBB216_17
.LBB216_15:
                                        ; implicit-def: $sgpr2_sgpr3
.LBB216_16:
	s_load_b64 s[0:1], s[0:1], 0x58
	s_lshl_b64 s[2:3], s[4:5], 3
	s_waitcnt lgkmcnt(0)
	s_add_u32 s2, s0, s2
	s_addc_u32 s3, s1, s3
.LBB216_17:
	v_mov_b32_e32 v0, 0
	s_waitcnt lgkmcnt(0)
	global_store_b64 v0, v[1:2], s[2:3]
.LBB216_18:
	s_nop 0
	s_sendmsg sendmsg(MSG_DEALLOC_VGPRS)
	s_endpgm
	.section	.rodata,"a",@progbits
	.p2align	6, 0x0
	.amdhsa_kernel _ZL18rocblas_dot_kernelIiLb0ELi512ELi2ELb0E19rocblas_complex_numIfEPKPKS1_S1_EviT5_lT_lS6_lS7_liPT6_PT4_
		.amdhsa_group_segment_fixed_size 256
		.amdhsa_private_segment_fixed_size 0
		.amdhsa_kernarg_size 352
		.amdhsa_user_sgpr_count 14
		.amdhsa_user_sgpr_dispatch_ptr 0
		.amdhsa_user_sgpr_queue_ptr 0
		.amdhsa_user_sgpr_kernarg_segment_ptr 1
		.amdhsa_user_sgpr_dispatch_id 0
		.amdhsa_user_sgpr_private_segment_size 0
		.amdhsa_wavefront_size32 1
		.amdhsa_uses_dynamic_stack 0
		.amdhsa_enable_private_segment 0
		.amdhsa_system_sgpr_workgroup_id_x 1
		.amdhsa_system_sgpr_workgroup_id_y 0
		.amdhsa_system_sgpr_workgroup_id_z 1
		.amdhsa_system_sgpr_workgroup_info 0
		.amdhsa_system_vgpr_workitem_id 0
		.amdhsa_next_free_vgpr 11
		.amdhsa_next_free_sgpr 24
		.amdhsa_reserve_vcc 1
		.amdhsa_float_round_mode_32 0
		.amdhsa_float_round_mode_16_64 0
		.amdhsa_float_denorm_mode_32 3
		.amdhsa_float_denorm_mode_16_64 3
		.amdhsa_dx10_clamp 1
		.amdhsa_ieee_mode 1
		.amdhsa_fp16_overflow 0
		.amdhsa_workgroup_processor_mode 1
		.amdhsa_memory_ordered 1
		.amdhsa_forward_progress 0
		.amdhsa_shared_vgpr_count 0
		.amdhsa_exception_fp_ieee_invalid_op 0
		.amdhsa_exception_fp_denorm_src 0
		.amdhsa_exception_fp_ieee_div_zero 0
		.amdhsa_exception_fp_ieee_overflow 0
		.amdhsa_exception_fp_ieee_underflow 0
		.amdhsa_exception_fp_ieee_inexact 0
		.amdhsa_exception_int_div_zero 0
	.end_amdhsa_kernel
	.section	.text._ZL18rocblas_dot_kernelIiLb0ELi512ELi2ELb0E19rocblas_complex_numIfEPKPKS1_S1_EviT5_lT_lS6_lS7_liPT6_PT4_,"axG",@progbits,_ZL18rocblas_dot_kernelIiLb0ELi512ELi2ELb0E19rocblas_complex_numIfEPKPKS1_S1_EviT5_lT_lS6_lS7_liPT6_PT4_,comdat
.Lfunc_end216:
	.size	_ZL18rocblas_dot_kernelIiLb0ELi512ELi2ELb0E19rocblas_complex_numIfEPKPKS1_S1_EviT5_lT_lS6_lS7_liPT6_PT4_, .Lfunc_end216-_ZL18rocblas_dot_kernelIiLb0ELi512ELi2ELb0E19rocblas_complex_numIfEPKPKS1_S1_EviT5_lT_lS6_lS7_liPT6_PT4_
                                        ; -- End function
	.section	.AMDGPU.csdata,"",@progbits
; Kernel info:
; codeLenInByte = 1184
; NumSgprs: 26
; NumVgprs: 11
; ScratchSize: 0
; MemoryBound: 0
; FloatMode: 240
; IeeeMode: 1
; LDSByteSize: 256 bytes/workgroup (compile time only)
; SGPRBlocks: 3
; VGPRBlocks: 1
; NumSGPRsForWavesPerEU: 26
; NumVGPRsForWavesPerEU: 11
; Occupancy: 16
; WaveLimiterHint : 1
; COMPUTE_PGM_RSRC2:SCRATCH_EN: 0
; COMPUTE_PGM_RSRC2:USER_SGPR: 14
; COMPUTE_PGM_RSRC2:TRAP_HANDLER: 0
; COMPUTE_PGM_RSRC2:TGID_X_EN: 1
; COMPUTE_PGM_RSRC2:TGID_Y_EN: 0
; COMPUTE_PGM_RSRC2:TGID_Z_EN: 1
; COMPUTE_PGM_RSRC2:TIDIG_COMP_CNT: 0
	.section	.text._ZL24rocblas_dot_kernel_magsqIiLb0ELi512ELi2ELb0E19rocblas_complex_numIfEPKPKS1_S1_EviT5_lT_liPT6_PT4_,"axG",@progbits,_ZL24rocblas_dot_kernel_magsqIiLb0ELi512ELi2ELb0E19rocblas_complex_numIfEPKPKS1_S1_EviT5_lT_liPT6_PT4_,comdat
	.globl	_ZL24rocblas_dot_kernel_magsqIiLb0ELi512ELi2ELb0E19rocblas_complex_numIfEPKPKS1_S1_EviT5_lT_liPT6_PT4_ ; -- Begin function _ZL24rocblas_dot_kernel_magsqIiLb0ELi512ELi2ELb0E19rocblas_complex_numIfEPKPKS1_S1_EviT5_lT_liPT6_PT4_
	.p2align	8
	.type	_ZL24rocblas_dot_kernel_magsqIiLb0ELi512ELi2ELb0E19rocblas_complex_numIfEPKPKS1_S1_EviT5_lT_liPT6_PT4_,@function
_ZL24rocblas_dot_kernel_magsqIiLb0ELi512ELi2ELb0E19rocblas_complex_numIfEPKPKS1_S1_EviT5_lT_liPT6_PT4_: ; @_ZL24rocblas_dot_kernel_magsqIiLb0ELi512ELi2ELb0E19rocblas_complex_numIfEPKPKS1_S1_EviT5_lT_liPT6_PT4_
; %bb.0:
	s_clause 0x1
	s_load_b32 s6, s[0:1], 0x0
	s_load_b32 s3, s[0:1], 0x40
	v_lshl_or_b32 v3, s14, 9, v0
	v_dual_mov_b32 v1, 0 :: v_dual_mov_b32 v2, 0
	s_mov_b32 s4, s15
	s_mov_b32 s5, 0
	s_mov_b32 s2, exec_lo
	s_waitcnt lgkmcnt(0)
	v_cmpx_gt_i32_e64 s6, v3
	s_cbranch_execz .LBB217_4
; %bb.1:
	s_clause 0x1
	s_load_b128 s[8:11], s[0:1], 0x8
	s_load_b32 s7, s[0:1], 0x18
	s_lshl_b64 s[12:13], s[4:5], 3
	s_waitcnt lgkmcnt(0)
	s_add_u32 s8, s8, s12
	s_addc_u32 s9, s9, s13
	v_mad_i64_i32 v[1:2], null, v3, s7, 0
	s_load_b64 s[8:9], s[8:9], 0x0
	s_lshl_b64 s[10:11], s[10:11], 3
	s_delay_alu instid0(VALU_DEP_1) | instskip(SKIP_3) | instid1(VALU_DEP_1)
	v_lshlrev_b64 v[1:2], 3, v[1:2]
	s_waitcnt lgkmcnt(0)
	s_add_u32 s8, s8, s10
	s_addc_u32 s9, s9, s11
	v_add_co_u32 v1, vcc_lo, s8, v1
	s_delay_alu instid0(VALU_DEP_2) | instskip(SKIP_1) | instid1(SALU_CYCLE_1)
	v_add_co_ci_u32_e32 v2, vcc_lo, s9, v2, vcc_lo
	s_add_i32 s10, s14, s3
	v_lshl_or_b32 v3, s10, 9, v0
	global_load_b64 v[1:2], v[1:2], off
	v_cmp_gt_i32_e32 vcc_lo, s6, v3
	s_waitcnt vmcnt(0)
	v_mul_f32_e32 v4, v2, v2
	v_mul_f32_e32 v2, v1, v2
	s_delay_alu instid0(VALU_DEP_2) | instskip(NEXT) | instid1(VALU_DEP_2)
	v_fma_f32 v1, v1, v1, -v4
	v_fma_f32 v2, v2, 2.0, 0
	s_and_saveexec_b32 s6, vcc_lo
	s_cbranch_execz .LBB217_3
; %bb.2:
	v_mad_i64_i32 v[4:5], null, v3, s7, 0
	s_delay_alu instid0(VALU_DEP_1) | instskip(NEXT) | instid1(VALU_DEP_1)
	v_lshlrev_b64 v[3:4], 3, v[4:5]
	v_add_co_u32 v3, vcc_lo, s8, v3
	s_delay_alu instid0(VALU_DEP_2) | instskip(SKIP_4) | instid1(VALU_DEP_2)
	v_add_co_ci_u32_e32 v4, vcc_lo, s9, v4, vcc_lo
	global_load_b64 v[3:4], v[3:4], off
	s_waitcnt vmcnt(0)
	v_mul_f32_e32 v5, v4, v4
	v_mul_f32_e32 v4, v3, v4
	v_fma_f32 v3, v3, v3, -v5
	s_delay_alu instid0(VALU_DEP_1)
	v_dual_add_f32 v1, v1, v3 :: v_dual_fmac_f32 v2, 2.0, v4
.LBB217_3:
	s_or_b32 exec_lo, exec_lo, s6
.LBB217_4:
	s_delay_alu instid0(SALU_CYCLE_1) | instskip(SKIP_2) | instid1(VALU_DEP_2)
	s_or_b32 exec_lo, exec_lo, s2
	v_and_b32_e32 v8, 31, v0
	v_cmp_gt_u32_e32 vcc_lo, 32, v0
	v_lshlrev_b32_e32 v3, 3, v8
	s_and_saveexec_b32 s2, vcc_lo
	s_cbranch_execz .LBB217_6
; %bb.5:
	v_mov_b32_e32 v4, 0
	s_delay_alu instid0(VALU_DEP_1)
	v_mov_b32_e32 v5, v4
	ds_store_b64 v3, v[4:5]
.LBB217_6:
	s_or_b32 exec_lo, exec_lo, s2
	v_mbcnt_lo_u32_b32 v7, -1, 0
	s_mov_b32 s6, exec_lo
	s_waitcnt lgkmcnt(0)
	s_barrier
	buffer_gl0_inv
	v_cmp_gt_u32_e64 s2, 16, v7
	s_delay_alu instid0(VALU_DEP_1) | instskip(SKIP_1) | instid1(VALU_DEP_2)
	v_cndmask_b32_e64 v4, 0, 1, s2
	v_cmp_gt_u32_e64 s2, 24, v7
	v_lshlrev_b32_e32 v4, 4, v4
	s_delay_alu instid0(VALU_DEP_1)
	v_add_lshl_u32 v4, v4, v7, 2
	ds_bpermute_b32 v5, v4, v1
	ds_bpermute_b32 v6, v4, v2
	v_cndmask_b32_e64 v4, 0, 1, s2
	v_cmp_gt_u32_e64 s2, 28, v7
	s_waitcnt lgkmcnt(1)
	s_delay_alu instid0(VALU_DEP_2) | instskip(NEXT) | instid1(VALU_DEP_2)
	v_dual_add_f32 v1, v1, v5 :: v_dual_lshlrev_b32 v4, 3, v4
	v_cndmask_b32_e64 v5, 0, 1, s2
	s_waitcnt lgkmcnt(0)
	v_add_f32_e32 v2, v2, v6
	v_cmp_gt_u32_e64 s2, 30, v7
	v_add_lshl_u32 v4, v4, v7, 2
	v_lshlrev_b32_e32 v5, 2, v5
	ds_bpermute_b32 v6, v4, v1
	ds_bpermute_b32 v9, v4, v2
	v_add_lshl_u32 v5, v5, v7, 2
	s_waitcnt lgkmcnt(1)
	v_add_f32_e32 v1, v1, v6
	v_cndmask_b32_e64 v6, 0, 1, s2
	v_cmp_ne_u32_e64 s2, 31, v7
	s_delay_alu instid0(VALU_DEP_2) | instskip(NEXT) | instid1(VALU_DEP_1)
	v_lshlrev_b32_e32 v6, 1, v6
	v_add_lshl_u32 v6, v6, v7, 2
	s_delay_alu instid0(VALU_DEP_3)
	v_add_co_ci_u32_e64 v7, s2, 0, v7, s2
	s_waitcnt lgkmcnt(0)
	v_add_f32_e32 v2, v2, v9
	ds_bpermute_b32 v9, v5, v1
	v_lshlrev_b32_e32 v7, 2, v7
	ds_bpermute_b32 v10, v5, v2
	s_waitcnt lgkmcnt(1)
	v_add_f32_e32 v1, v1, v9
	ds_bpermute_b32 v9, v6, v1
	s_waitcnt lgkmcnt(0)
	v_dual_add_f32 v2, v2, v10 :: v_dual_add_f32 v1, v1, v9
	ds_bpermute_b32 v10, v6, v2
	ds_bpermute_b32 v9, v7, v1
	s_waitcnt lgkmcnt(1)
	v_add_f32_e32 v2, v2, v10
	ds_bpermute_b32 v10, v7, v2
	v_cmpx_eq_u32_e32 0, v8
	s_cbranch_execz .LBB217_8
; %bb.7:
	v_lshrrev_b32_e32 v8, 2, v0
	s_waitcnt lgkmcnt(0)
	v_dual_add_f32 v1, v1, v9 :: v_dual_add_f32 v2, v2, v10
	s_delay_alu instid0(VALU_DEP_2)
	v_and_b32_e32 v8, 0x78, v8
	ds_store_b64 v8, v[1:2]
.LBB217_8:
	s_or_b32 exec_lo, exec_lo, s6
	v_dual_mov_b32 v2, 0 :: v_dual_mov_b32 v1, 0
	s_mov_b32 s6, exec_lo
	s_waitcnt lgkmcnt(0)
	s_barrier
	buffer_gl0_inv
	v_cmpx_gt_u32_e32 16, v0
	s_cbranch_execz .LBB217_10
; %bb.9:
	ds_load_b64 v[1:2], v3
.LBB217_10:
	s_or_b32 exec_lo, exec_lo, s6
	s_and_saveexec_b32 s2, vcc_lo
	s_cbranch_execz .LBB217_12
; %bb.11:
	s_waitcnt lgkmcnt(0)
	ds_bpermute_b32 v3, v4, v1
	ds_bpermute_b32 v4, v4, v2
	s_waitcnt lgkmcnt(0)
	v_dual_add_f32 v1, v1, v3 :: v_dual_add_f32 v2, v2, v4
	ds_bpermute_b32 v3, v5, v1
	ds_bpermute_b32 v4, v5, v2
	s_waitcnt lgkmcnt(0)
	v_dual_add_f32 v1, v1, v3 :: v_dual_add_f32 v2, v2, v4
	;; [unrolled: 4-line block ×4, first 2 shown]
.LBB217_12:
	s_or_b32 exec_lo, exec_lo, s2
	s_delay_alu instid0(SALU_CYCLE_1)
	s_mov_b32 s2, exec_lo
	v_cmpx_eq_u32_e32 0, v0
	s_cbranch_execz .LBB217_18
; %bb.13:
	s_cmp_lg_u32 s3, 1
	s_cbranch_scc0 .LBB217_15
; %bb.14:
	s_load_b64 s[6:7], s[0:1], 0x30
	s_mul_hi_u32 s9, s3, s4
	s_mul_i32 s8, s3, s4
	s_mov_b32 s15, 0
	s_lshl_b64 s[2:3], s[8:9], 3
	s_waitcnt lgkmcnt(0)
	s_add_u32 s6, s6, s2
	s_addc_u32 s7, s7, s3
	s_lshl_b64 s[2:3], s[14:15], 3
	s_delay_alu instid0(SALU_CYCLE_1)
	s_add_u32 s2, s6, s2
	s_addc_u32 s3, s7, s3
	s_cbranch_execz .LBB217_16
	s_branch .LBB217_17
.LBB217_15:
                                        ; implicit-def: $sgpr2_sgpr3
.LBB217_16:
	s_load_b64 s[0:1], s[0:1], 0x38
	s_lshl_b64 s[2:3], s[4:5], 3
	s_waitcnt lgkmcnt(0)
	s_add_u32 s2, s0, s2
	s_addc_u32 s3, s1, s3
.LBB217_17:
	v_mov_b32_e32 v0, 0
	s_waitcnt lgkmcnt(0)
	global_store_b64 v0, v[1:2], s[2:3]
.LBB217_18:
	s_nop 0
	s_sendmsg sendmsg(MSG_DEALLOC_VGPRS)
	s_endpgm
	.section	.rodata,"a",@progbits
	.p2align	6, 0x0
	.amdhsa_kernel _ZL24rocblas_dot_kernel_magsqIiLb0ELi512ELi2ELb0E19rocblas_complex_numIfEPKPKS1_S1_EviT5_lT_liPT6_PT4_
		.amdhsa_group_segment_fixed_size 256
		.amdhsa_private_segment_fixed_size 0
		.amdhsa_kernarg_size 320
		.amdhsa_user_sgpr_count 14
		.amdhsa_user_sgpr_dispatch_ptr 0
		.amdhsa_user_sgpr_queue_ptr 0
		.amdhsa_user_sgpr_kernarg_segment_ptr 1
		.amdhsa_user_sgpr_dispatch_id 0
		.amdhsa_user_sgpr_private_segment_size 0
		.amdhsa_wavefront_size32 1
		.amdhsa_uses_dynamic_stack 0
		.amdhsa_enable_private_segment 0
		.amdhsa_system_sgpr_workgroup_id_x 1
		.amdhsa_system_sgpr_workgroup_id_y 0
		.amdhsa_system_sgpr_workgroup_id_z 1
		.amdhsa_system_sgpr_workgroup_info 0
		.amdhsa_system_vgpr_workitem_id 0
		.amdhsa_next_free_vgpr 11
		.amdhsa_next_free_sgpr 16
		.amdhsa_reserve_vcc 1
		.amdhsa_float_round_mode_32 0
		.amdhsa_float_round_mode_16_64 0
		.amdhsa_float_denorm_mode_32 3
		.amdhsa_float_denorm_mode_16_64 3
		.amdhsa_dx10_clamp 1
		.amdhsa_ieee_mode 1
		.amdhsa_fp16_overflow 0
		.amdhsa_workgroup_processor_mode 1
		.amdhsa_memory_ordered 1
		.amdhsa_forward_progress 0
		.amdhsa_shared_vgpr_count 0
		.amdhsa_exception_fp_ieee_invalid_op 0
		.amdhsa_exception_fp_denorm_src 0
		.amdhsa_exception_fp_ieee_div_zero 0
		.amdhsa_exception_fp_ieee_overflow 0
		.amdhsa_exception_fp_ieee_underflow 0
		.amdhsa_exception_fp_ieee_inexact 0
		.amdhsa_exception_int_div_zero 0
	.end_amdhsa_kernel
	.section	.text._ZL24rocblas_dot_kernel_magsqIiLb0ELi512ELi2ELb0E19rocblas_complex_numIfEPKPKS1_S1_EviT5_lT_liPT6_PT4_,"axG",@progbits,_ZL24rocblas_dot_kernel_magsqIiLb0ELi512ELi2ELb0E19rocblas_complex_numIfEPKPKS1_S1_EviT5_lT_liPT6_PT4_,comdat
.Lfunc_end217:
	.size	_ZL24rocblas_dot_kernel_magsqIiLb0ELi512ELi2ELb0E19rocblas_complex_numIfEPKPKS1_S1_EviT5_lT_liPT6_PT4_, .Lfunc_end217-_ZL24rocblas_dot_kernel_magsqIiLb0ELi512ELi2ELb0E19rocblas_complex_numIfEPKPKS1_S1_EviT5_lT_liPT6_PT4_
                                        ; -- End function
	.section	.AMDGPU.csdata,"",@progbits
; Kernel info:
; codeLenInByte = 1036
; NumSgprs: 18
; NumVgprs: 11
; ScratchSize: 0
; MemoryBound: 0
; FloatMode: 240
; IeeeMode: 1
; LDSByteSize: 256 bytes/workgroup (compile time only)
; SGPRBlocks: 2
; VGPRBlocks: 1
; NumSGPRsForWavesPerEU: 18
; NumVGPRsForWavesPerEU: 11
; Occupancy: 16
; WaveLimiterHint : 1
; COMPUTE_PGM_RSRC2:SCRATCH_EN: 0
; COMPUTE_PGM_RSRC2:USER_SGPR: 14
; COMPUTE_PGM_RSRC2:TRAP_HANDLER: 0
; COMPUTE_PGM_RSRC2:TGID_X_EN: 1
; COMPUTE_PGM_RSRC2:TGID_Y_EN: 0
; COMPUTE_PGM_RSRC2:TGID_Z_EN: 1
; COMPUTE_PGM_RSRC2:TIDIG_COMP_CNT: 0
	.section	.text._ZL28rocblas_dot_batched_4_kernelIlLi32ELi4ELb0E19rocblas_complex_numIfES1_PKPKS1_EviT5_lT_lS6_lS7_liPT4_,"axG",@progbits,_ZL28rocblas_dot_batched_4_kernelIlLi32ELi4ELb0E19rocblas_complex_numIfES1_PKPKS1_EviT5_lT_lS6_lS7_liPT4_,comdat
	.globl	_ZL28rocblas_dot_batched_4_kernelIlLi32ELi4ELb0E19rocblas_complex_numIfES1_PKPKS1_EviT5_lT_lS6_lS7_liPT4_ ; -- Begin function _ZL28rocblas_dot_batched_4_kernelIlLi32ELi4ELb0E19rocblas_complex_numIfES1_PKPKS1_EviT5_lT_lS6_lS7_liPT4_
	.p2align	8
	.type	_ZL28rocblas_dot_batched_4_kernelIlLi32ELi4ELb0E19rocblas_complex_numIfES1_PKPKS1_EviT5_lT_lS6_lS7_liPT4_,@function
_ZL28rocblas_dot_batched_4_kernelIlLi32ELi4ELb0E19rocblas_complex_numIfES1_PKPKS1_EviT5_lT_lS6_lS7_liPT4_: ; @_ZL28rocblas_dot_batched_4_kernelIlLi32ELi4ELb0E19rocblas_complex_numIfES1_PKPKS1_EviT5_lT_lS6_lS7_liPT4_
; %bb.0:
	s_load_b32 s2, s[0:1], 0x48
	v_bfe_u32 v1, v0, 10, 10
	s_delay_alu instid0(VALU_DEP_1) | instskip(SKIP_1) | instid1(VALU_DEP_1)
	v_lshl_add_u32 v1, s15, 2, v1
	s_waitcnt lgkmcnt(0)
	v_cmp_gt_u32_e32 vcc_lo, s2, v1
	s_and_saveexec_b32 s2, vcc_lo
	s_cbranch_execz .LBB218_7
; %bb.1:
	s_clause 0x1
	s_load_b32 s10, s[0:1], 0x0
	s_load_b64 s[8:9], s[0:1], 0x50
	v_dual_mov_b32 v2, 0 :: v_dual_and_b32 v7, 0x3ff, v0
	s_mov_b32 s11, exec_lo
	s_delay_alu instid0(VALU_DEP_1)
	v_lshlrev_b64 v[0:1], 3, v[1:2]
	v_mov_b32_e32 v8, v2
	s_waitcnt lgkmcnt(0)
	v_cmpx_gt_i32_e64 s10, v7
	s_cbranch_execz .LBB218_5
; %bb.2:
	s_clause 0x3
	s_load_b64 s[12:13], s[0:1], 0x28
	s_load_b64 s[14:15], s[0:1], 0x8
	s_load_b128 s[4:7], s[0:1], 0x10
	s_load_b128 s[0:3], s[0:1], 0x30
	s_waitcnt lgkmcnt(0)
	v_add_co_u32 v2, vcc_lo, s12, v0
	v_add_co_ci_u32_e32 v3, vcc_lo, s13, v1, vcc_lo
	v_add_co_u32 v4, vcc_lo, s14, v0
	v_add_co_ci_u32_e32 v5, vcc_lo, s15, v1, vcc_lo
	v_mad_u64_u32 v[12:13], null, s6, v7, 0
	global_load_b64 v[10:11], v[2:3], off
	global_load_b64 v[3:4], v[4:5], off
	v_mad_u64_u32 v[5:6], null, s2, v7, 0
	s_lshl_b64 s[0:1], s[0:1], 3
	s_lshl_b64 s[4:5], s[4:5], 3
	s_delay_alu instid0(VALU_DEP_1) | instskip(SKIP_1) | instid1(VALU_DEP_1)
	v_mov_b32_e32 v2, v6
	v_mov_b32_e32 v6, v13
	v_mad_u64_u32 v[13:14], null, s7, v7, v[6:7]
	s_delay_alu instid0(VALU_DEP_1) | instskip(SKIP_4) | instid1(VALU_DEP_2)
	v_lshlrev_b64 v[12:13], 3, v[12:13]
	s_waitcnt vmcnt(0)
	v_mad_u64_u32 v[8:9], null, s3, v7, v[2:3]
	v_dual_mov_b32 v9, v7 :: v_dual_mov_b32 v2, 0
	s_lshl_b64 s[2:3], s[2:3], 8
	v_mov_b32_e32 v6, v8
	s_delay_alu instid0(VALU_DEP_1) | instskip(NEXT) | instid1(VALU_DEP_1)
	v_lshlrev_b64 v[5:6], 3, v[5:6]
	v_add_co_u32 v5, vcc_lo, v5, s0
	s_delay_alu instid0(VALU_DEP_2) | instskip(SKIP_2) | instid1(VALU_DEP_4)
	v_add_co_ci_u32_e32 v6, vcc_lo, s1, v6, vcc_lo
	v_add_co_u32 v8, vcc_lo, v12, s4
	v_add_co_ci_u32_e32 v12, vcc_lo, s5, v13, vcc_lo
	v_add_co_u32 v5, vcc_lo, v5, v10
	s_delay_alu instid0(VALU_DEP_4) | instskip(NEXT) | instid1(VALU_DEP_4)
	v_add_co_ci_u32_e32 v6, vcc_lo, v6, v11, vcc_lo
	v_add_co_u32 v8, vcc_lo, v8, v3
	s_delay_alu instid0(VALU_DEP_4) | instskip(NEXT) | instid1(VALU_DEP_4)
	;; [unrolled: 3-line block ×3, first 2 shown]
	v_add_co_ci_u32_e32 v4, vcc_lo, 0, v6, vcc_lo
	v_add_co_u32 v5, vcc_lo, v8, 4
	s_delay_alu instid0(VALU_DEP_4)
	v_add_co_ci_u32_e32 v6, vcc_lo, 0, v10, vcc_lo
	v_mov_b32_e32 v8, 0
	s_lshl_b64 s[4:5], s[6:7], 8
	s_mov_b32 s1, 0
	.p2align	6
.LBB218_3:                              ; =>This Inner Loop Header: Depth=1
	global_load_b64 v[10:11], v[5:6], off offset:-4
	global_load_b64 v[12:13], v[3:4], off offset:-4
	v_add_co_u32 v3, vcc_lo, v3, s2
	v_add_co_ci_u32_e32 v4, vcc_lo, s3, v4, vcc_lo
	v_add_co_u32 v5, vcc_lo, v5, s4
	v_add_co_ci_u32_e32 v6, vcc_lo, s5, v6, vcc_lo
	s_waitcnt vmcnt(0)
	v_mul_f32_e32 v14, v11, v13
	v_mul_f32_e32 v13, v10, v13
	s_delay_alu instid0(VALU_DEP_2) | instskip(SKIP_1) | instid1(VALU_DEP_2)
	v_fma_f32 v10, v10, v12, -v14
	v_add_nc_u32_e32 v9, 32, v9
	v_dual_fmac_f32 v13, v11, v12 :: v_dual_add_f32 v2, v2, v10
	s_delay_alu instid0(VALU_DEP_2) | instskip(NEXT) | instid1(VALU_DEP_2)
	v_cmp_le_i32_e64 s0, s10, v9
	v_add_f32_e32 v8, v8, v13
	s_delay_alu instid0(VALU_DEP_2) | instskip(NEXT) | instid1(SALU_CYCLE_1)
	s_or_b32 s1, s0, s1
	s_and_not1_b32 exec_lo, exec_lo, s1
	s_cbranch_execnz .LBB218_3
; %bb.4:
	s_or_b32 exec_lo, exec_lo, s1
.LBB218_5:
	s_delay_alu instid0(SALU_CYCLE_1)
	s_or_b32 exec_lo, exec_lo, s11
	v_mbcnt_lo_u32_b32 v3, -1, 0
	s_barrier
	buffer_gl0_inv
	v_cmp_gt_u32_e32 vcc_lo, 16, v3
	v_cndmask_b32_e64 v4, 0, 1, vcc_lo
	v_cmp_gt_u32_e32 vcc_lo, 24, v3
	s_delay_alu instid0(VALU_DEP_2) | instskip(SKIP_2) | instid1(VALU_DEP_3)
	v_lshlrev_b32_e32 v4, 4, v4
	v_cndmask_b32_e64 v6, 0, 1, vcc_lo
	v_cmp_gt_u32_e32 vcc_lo, 28, v3
	v_add_lshl_u32 v4, v4, v3, 2
	s_delay_alu instid0(VALU_DEP_3)
	v_lshlrev_b32_e32 v6, 3, v6
	ds_bpermute_b32 v5, v4, v2
	ds_bpermute_b32 v4, v4, v8
	v_add_lshl_u32 v6, v6, v3, 2
	s_waitcnt lgkmcnt(1)
	v_add_f32_e32 v2, v2, v5
	s_waitcnt lgkmcnt(0)
	v_add_f32_e32 v4, v8, v4
	v_cndmask_b32_e64 v8, 0, 1, vcc_lo
	v_cmp_gt_u32_e32 vcc_lo, 30, v3
	ds_bpermute_b32 v5, v6, v2
	ds_bpermute_b32 v6, v6, v4
	v_lshlrev_b32_e32 v8, 2, v8
	s_delay_alu instid0(VALU_DEP_1)
	v_add_lshl_u32 v8, v8, v3, 2
	s_waitcnt lgkmcnt(1)
	v_add_f32_e32 v2, v2, v5
	s_waitcnt lgkmcnt(0)
	v_add_f32_e32 v4, v4, v6
	ds_bpermute_b32 v5, v8, v2
	ds_bpermute_b32 v6, v8, v4
	v_cndmask_b32_e64 v8, 0, 1, vcc_lo
	v_cmp_ne_u32_e32 vcc_lo, 31, v3
	s_delay_alu instid0(VALU_DEP_2) | instskip(NEXT) | instid1(VALU_DEP_1)
	v_lshlrev_b32_e32 v8, 1, v8
	v_add_lshl_u32 v8, v8, v3, 2
	v_add_co_ci_u32_e32 v3, vcc_lo, 0, v3, vcc_lo
	v_cmp_eq_u32_e32 vcc_lo, 0, v7
	s_waitcnt lgkmcnt(1)
	v_add_f32_e32 v2, v2, v5
	s_waitcnt lgkmcnt(0)
	v_add_f32_e32 v4, v4, v6
	ds_bpermute_b32 v5, v8, v2
	ds_bpermute_b32 v6, v8, v4
	v_lshlrev_b32_e32 v8, 2, v3
	s_waitcnt lgkmcnt(0)
	v_dual_add_f32 v2, v2, v5 :: v_dual_add_f32 v3, v4, v6
	ds_bpermute_b32 v4, v8, v2
	ds_bpermute_b32 v5, v8, v3
	s_and_b32 exec_lo, exec_lo, vcc_lo
	s_cbranch_execz .LBB218_7
; %bb.6:
	v_add_co_u32 v0, vcc_lo, s8, v0
	v_add_co_ci_u32_e32 v1, vcc_lo, s9, v1, vcc_lo
	s_waitcnt lgkmcnt(0)
	v_dual_add_f32 v3, v3, v5 :: v_dual_add_f32 v2, v2, v4
	global_store_b64 v[0:1], v[2:3], off
.LBB218_7:
	s_nop 0
	s_sendmsg sendmsg(MSG_DEALLOC_VGPRS)
	s_endpgm
	.section	.rodata,"a",@progbits
	.p2align	6, 0x0
	.amdhsa_kernel _ZL28rocblas_dot_batched_4_kernelIlLi32ELi4ELb0E19rocblas_complex_numIfES1_PKPKS1_EviT5_lT_lS6_lS7_liPT4_
		.amdhsa_group_segment_fixed_size 0
		.amdhsa_private_segment_fixed_size 0
		.amdhsa_kernarg_size 88
		.amdhsa_user_sgpr_count 15
		.amdhsa_user_sgpr_dispatch_ptr 0
		.amdhsa_user_sgpr_queue_ptr 0
		.amdhsa_user_sgpr_kernarg_segment_ptr 1
		.amdhsa_user_sgpr_dispatch_id 0
		.amdhsa_user_sgpr_private_segment_size 0
		.amdhsa_wavefront_size32 1
		.amdhsa_uses_dynamic_stack 0
		.amdhsa_enable_private_segment 0
		.amdhsa_system_sgpr_workgroup_id_x 1
		.amdhsa_system_sgpr_workgroup_id_y 0
		.amdhsa_system_sgpr_workgroup_id_z 0
		.amdhsa_system_sgpr_workgroup_info 0
		.amdhsa_system_vgpr_workitem_id 1
		.amdhsa_next_free_vgpr 15
		.amdhsa_next_free_sgpr 16
		.amdhsa_reserve_vcc 1
		.amdhsa_float_round_mode_32 0
		.amdhsa_float_round_mode_16_64 0
		.amdhsa_float_denorm_mode_32 3
		.amdhsa_float_denorm_mode_16_64 3
		.amdhsa_dx10_clamp 1
		.amdhsa_ieee_mode 1
		.amdhsa_fp16_overflow 0
		.amdhsa_workgroup_processor_mode 1
		.amdhsa_memory_ordered 1
		.amdhsa_forward_progress 0
		.amdhsa_shared_vgpr_count 0
		.amdhsa_exception_fp_ieee_invalid_op 0
		.amdhsa_exception_fp_denorm_src 0
		.amdhsa_exception_fp_ieee_div_zero 0
		.amdhsa_exception_fp_ieee_overflow 0
		.amdhsa_exception_fp_ieee_underflow 0
		.amdhsa_exception_fp_ieee_inexact 0
		.amdhsa_exception_int_div_zero 0
	.end_amdhsa_kernel
	.section	.text._ZL28rocblas_dot_batched_4_kernelIlLi32ELi4ELb0E19rocblas_complex_numIfES1_PKPKS1_EviT5_lT_lS6_lS7_liPT4_,"axG",@progbits,_ZL28rocblas_dot_batched_4_kernelIlLi32ELi4ELb0E19rocblas_complex_numIfES1_PKPKS1_EviT5_lT_lS6_lS7_liPT4_,comdat
.Lfunc_end218:
	.size	_ZL28rocblas_dot_batched_4_kernelIlLi32ELi4ELb0E19rocblas_complex_numIfES1_PKPKS1_EviT5_lT_lS6_lS7_liPT4_, .Lfunc_end218-_ZL28rocblas_dot_batched_4_kernelIlLi32ELi4ELb0E19rocblas_complex_numIfES1_PKPKS1_EviT5_lT_lS6_lS7_liPT4_
                                        ; -- End function
	.section	.AMDGPU.csdata,"",@progbits
; Kernel info:
; codeLenInByte = 852
; NumSgprs: 18
; NumVgprs: 15
; ScratchSize: 0
; MemoryBound: 0
; FloatMode: 240
; IeeeMode: 1
; LDSByteSize: 0 bytes/workgroup (compile time only)
; SGPRBlocks: 2
; VGPRBlocks: 1
; NumSGPRsForWavesPerEU: 18
; NumVGPRsForWavesPerEU: 15
; Occupancy: 16
; WaveLimiterHint : 0
; COMPUTE_PGM_RSRC2:SCRATCH_EN: 0
; COMPUTE_PGM_RSRC2:USER_SGPR: 15
; COMPUTE_PGM_RSRC2:TRAP_HANDLER: 0
; COMPUTE_PGM_RSRC2:TGID_X_EN: 1
; COMPUTE_PGM_RSRC2:TGID_Y_EN: 0
; COMPUTE_PGM_RSRC2:TGID_Z_EN: 0
; COMPUTE_PGM_RSRC2:TIDIG_COMP_CNT: 1
	.section	.text._ZL28rocblas_dot_batched_4_kernelIlLi64ELi4ELb0E19rocblas_complex_numIfES1_PKPKS1_EviT5_lT_lS6_lS7_liPT4_,"axG",@progbits,_ZL28rocblas_dot_batched_4_kernelIlLi64ELi4ELb0E19rocblas_complex_numIfES1_PKPKS1_EviT5_lT_lS6_lS7_liPT4_,comdat
	.globl	_ZL28rocblas_dot_batched_4_kernelIlLi64ELi4ELb0E19rocblas_complex_numIfES1_PKPKS1_EviT5_lT_lS6_lS7_liPT4_ ; -- Begin function _ZL28rocblas_dot_batched_4_kernelIlLi64ELi4ELb0E19rocblas_complex_numIfES1_PKPKS1_EviT5_lT_lS6_lS7_liPT4_
	.p2align	8
	.type	_ZL28rocblas_dot_batched_4_kernelIlLi64ELi4ELb0E19rocblas_complex_numIfES1_PKPKS1_EviT5_lT_lS6_lS7_liPT4_,@function
_ZL28rocblas_dot_batched_4_kernelIlLi64ELi4ELb0E19rocblas_complex_numIfES1_PKPKS1_EviT5_lT_lS6_lS7_liPT4_: ; @_ZL28rocblas_dot_batched_4_kernelIlLi64ELi4ELb0E19rocblas_complex_numIfES1_PKPKS1_EviT5_lT_lS6_lS7_liPT4_
; %bb.0:
	s_load_b32 s2, s[0:1], 0x48
	v_bfe_u32 v1, v0, 10, 10
	s_delay_alu instid0(VALU_DEP_1) | instskip(SKIP_1) | instid1(VALU_DEP_1)
	v_lshl_add_u32 v1, s15, 2, v1
	s_waitcnt lgkmcnt(0)
	v_cmp_gt_u32_e32 vcc_lo, s2, v1
	s_and_saveexec_b32 s2, vcc_lo
	s_cbranch_execz .LBB219_7
; %bb.1:
	s_clause 0x1
	s_load_b32 s10, s[0:1], 0x0
	s_load_b64 s[8:9], s[0:1], 0x50
	v_dual_mov_b32 v2, 0 :: v_dual_and_b32 v7, 0x3ff, v0
	s_mov_b32 s11, exec_lo
	s_delay_alu instid0(VALU_DEP_1)
	v_lshlrev_b64 v[0:1], 3, v[1:2]
	v_mov_b32_e32 v8, v2
	s_waitcnt lgkmcnt(0)
	v_cmpx_gt_i32_e64 s10, v7
	s_cbranch_execz .LBB219_5
; %bb.2:
	s_clause 0x3
	s_load_b64 s[12:13], s[0:1], 0x28
	s_load_b64 s[14:15], s[0:1], 0x8
	s_load_b128 s[4:7], s[0:1], 0x10
	s_load_b128 s[0:3], s[0:1], 0x30
	s_waitcnt lgkmcnt(0)
	v_add_co_u32 v2, vcc_lo, s12, v0
	v_add_co_ci_u32_e32 v3, vcc_lo, s13, v1, vcc_lo
	v_add_co_u32 v4, vcc_lo, s14, v0
	v_add_co_ci_u32_e32 v5, vcc_lo, s15, v1, vcc_lo
	v_mad_u64_u32 v[12:13], null, s6, v7, 0
	global_load_b64 v[10:11], v[2:3], off
	global_load_b64 v[3:4], v[4:5], off
	v_mad_u64_u32 v[5:6], null, s2, v7, 0
	s_lshl_b64 s[0:1], s[0:1], 3
	s_lshl_b64 s[4:5], s[4:5], 3
	s_delay_alu instid0(VALU_DEP_1) | instskip(SKIP_1) | instid1(VALU_DEP_1)
	v_mov_b32_e32 v2, v6
	v_mov_b32_e32 v6, v13
	v_mad_u64_u32 v[13:14], null, s7, v7, v[6:7]
	s_delay_alu instid0(VALU_DEP_1) | instskip(SKIP_4) | instid1(VALU_DEP_2)
	v_lshlrev_b64 v[12:13], 3, v[12:13]
	s_waitcnt vmcnt(0)
	v_mad_u64_u32 v[8:9], null, s3, v7, v[2:3]
	v_dual_mov_b32 v9, v7 :: v_dual_mov_b32 v2, 0
	s_lshl_b64 s[2:3], s[2:3], 9
	v_mov_b32_e32 v6, v8
	s_delay_alu instid0(VALU_DEP_1) | instskip(NEXT) | instid1(VALU_DEP_1)
	v_lshlrev_b64 v[5:6], 3, v[5:6]
	v_add_co_u32 v5, vcc_lo, v5, s0
	s_delay_alu instid0(VALU_DEP_2) | instskip(SKIP_2) | instid1(VALU_DEP_4)
	v_add_co_ci_u32_e32 v6, vcc_lo, s1, v6, vcc_lo
	v_add_co_u32 v8, vcc_lo, v12, s4
	v_add_co_ci_u32_e32 v12, vcc_lo, s5, v13, vcc_lo
	v_add_co_u32 v5, vcc_lo, v5, v10
	s_delay_alu instid0(VALU_DEP_4) | instskip(NEXT) | instid1(VALU_DEP_4)
	v_add_co_ci_u32_e32 v6, vcc_lo, v6, v11, vcc_lo
	v_add_co_u32 v8, vcc_lo, v8, v3
	s_delay_alu instid0(VALU_DEP_4) | instskip(NEXT) | instid1(VALU_DEP_4)
	;; [unrolled: 3-line block ×3, first 2 shown]
	v_add_co_ci_u32_e32 v4, vcc_lo, 0, v6, vcc_lo
	v_add_co_u32 v5, vcc_lo, v8, 4
	s_delay_alu instid0(VALU_DEP_4)
	v_add_co_ci_u32_e32 v6, vcc_lo, 0, v10, vcc_lo
	v_mov_b32_e32 v8, 0
	s_lshl_b64 s[4:5], s[6:7], 9
	s_mov_b32 s1, 0
	.p2align	6
.LBB219_3:                              ; =>This Inner Loop Header: Depth=1
	global_load_b64 v[10:11], v[5:6], off offset:-4
	global_load_b64 v[12:13], v[3:4], off offset:-4
	v_add_co_u32 v3, vcc_lo, v3, s2
	v_add_co_ci_u32_e32 v4, vcc_lo, s3, v4, vcc_lo
	v_add_co_u32 v5, vcc_lo, v5, s4
	v_add_co_ci_u32_e32 v6, vcc_lo, s5, v6, vcc_lo
	s_waitcnt vmcnt(0)
	v_mul_f32_e32 v14, v11, v13
	v_mul_f32_e32 v13, v10, v13
	s_delay_alu instid0(VALU_DEP_2) | instskip(SKIP_1) | instid1(VALU_DEP_2)
	v_fma_f32 v10, v10, v12, -v14
	v_add_nc_u32_e32 v9, 64, v9
	v_dual_fmac_f32 v13, v11, v12 :: v_dual_add_f32 v2, v2, v10
	s_delay_alu instid0(VALU_DEP_2) | instskip(NEXT) | instid1(VALU_DEP_2)
	v_cmp_le_i32_e64 s0, s10, v9
	v_add_f32_e32 v8, v8, v13
	s_delay_alu instid0(VALU_DEP_2) | instskip(NEXT) | instid1(SALU_CYCLE_1)
	s_or_b32 s1, s0, s1
	s_and_not1_b32 exec_lo, exec_lo, s1
	s_cbranch_execnz .LBB219_3
; %bb.4:
	s_or_b32 exec_lo, exec_lo, s1
.LBB219_5:
	s_delay_alu instid0(SALU_CYCLE_1)
	s_or_b32 exec_lo, exec_lo, s11
	v_mbcnt_lo_u32_b32 v3, -1, 0
	s_barrier
	buffer_gl0_inv
	v_lshlrev_b32_e32 v4, 2, v3
	v_cmp_gt_u32_e32 vcc_lo, 16, v3
	ds_bpermute_b32 v5, v4, v2
	ds_bpermute_b32 v4, v4, v8
	v_cndmask_b32_e64 v6, 0, 1, vcc_lo
	v_cmp_gt_u32_e32 vcc_lo, 24, v3
	s_delay_alu instid0(VALU_DEP_2) | instskip(NEXT) | instid1(VALU_DEP_1)
	v_lshlrev_b32_e32 v6, 4, v6
	v_add_lshl_u32 v6, v6, v3, 2
	s_waitcnt lgkmcnt(1)
	v_add_f32_e32 v2, v2, v5
	s_waitcnt lgkmcnt(0)
	v_add_f32_e32 v4, v8, v4
	v_cndmask_b32_e64 v8, 0, 1, vcc_lo
	v_cmp_gt_u32_e32 vcc_lo, 28, v3
	ds_bpermute_b32 v5, v6, v2
	ds_bpermute_b32 v6, v6, v4
	v_lshlrev_b32_e32 v8, 3, v8
	s_delay_alu instid0(VALU_DEP_1)
	v_add_lshl_u32 v8, v8, v3, 2
	s_waitcnt lgkmcnt(1)
	v_add_f32_e32 v2, v2, v5
	s_waitcnt lgkmcnt(0)
	v_add_f32_e32 v4, v4, v6
	ds_bpermute_b32 v5, v8, v2
	ds_bpermute_b32 v6, v8, v4
	v_cndmask_b32_e64 v8, 0, 1, vcc_lo
	v_cmp_gt_u32_e32 vcc_lo, 30, v3
	s_delay_alu instid0(VALU_DEP_2) | instskip(NEXT) | instid1(VALU_DEP_1)
	v_lshlrev_b32_e32 v8, 2, v8
	v_add_lshl_u32 v8, v8, v3, 2
	s_waitcnt lgkmcnt(1)
	v_add_f32_e32 v2, v2, v5
	s_waitcnt lgkmcnt(0)
	v_add_f32_e32 v4, v4, v6
	ds_bpermute_b32 v5, v8, v2
	ds_bpermute_b32 v6, v8, v4
	v_cndmask_b32_e64 v8, 0, 1, vcc_lo
	v_cmp_ne_u32_e32 vcc_lo, 31, v3
	s_delay_alu instid0(VALU_DEP_2) | instskip(NEXT) | instid1(VALU_DEP_1)
	v_lshlrev_b32_e32 v8, 1, v8
	v_add_lshl_u32 v8, v8, v3, 2
	v_add_co_ci_u32_e32 v3, vcc_lo, 0, v3, vcc_lo
	v_cmp_eq_u32_e32 vcc_lo, 0, v7
	s_waitcnt lgkmcnt(1)
	v_add_f32_e32 v2, v2, v5
	s_waitcnt lgkmcnt(0)
	v_add_f32_e32 v4, v4, v6
	ds_bpermute_b32 v5, v8, v2
	ds_bpermute_b32 v6, v8, v4
	v_lshlrev_b32_e32 v8, 2, v3
	s_waitcnt lgkmcnt(0)
	v_dual_add_f32 v2, v2, v5 :: v_dual_add_f32 v3, v4, v6
	ds_bpermute_b32 v4, v8, v2
	ds_bpermute_b32 v5, v8, v3
	s_and_b32 exec_lo, exec_lo, vcc_lo
	s_cbranch_execz .LBB219_7
; %bb.6:
	v_add_co_u32 v0, vcc_lo, s8, v0
	v_add_co_ci_u32_e32 v1, vcc_lo, s9, v1, vcc_lo
	s_waitcnt lgkmcnt(0)
	v_dual_add_f32 v3, v3, v5 :: v_dual_add_f32 v2, v2, v4
	global_store_b64 v[0:1], v[2:3], off
.LBB219_7:
	s_nop 0
	s_sendmsg sendmsg(MSG_DEALLOC_VGPRS)
	s_endpgm
	.section	.rodata,"a",@progbits
	.p2align	6, 0x0
	.amdhsa_kernel _ZL28rocblas_dot_batched_4_kernelIlLi64ELi4ELb0E19rocblas_complex_numIfES1_PKPKS1_EviT5_lT_lS6_lS7_liPT4_
		.amdhsa_group_segment_fixed_size 0
		.amdhsa_private_segment_fixed_size 0
		.amdhsa_kernarg_size 88
		.amdhsa_user_sgpr_count 15
		.amdhsa_user_sgpr_dispatch_ptr 0
		.amdhsa_user_sgpr_queue_ptr 0
		.amdhsa_user_sgpr_kernarg_segment_ptr 1
		.amdhsa_user_sgpr_dispatch_id 0
		.amdhsa_user_sgpr_private_segment_size 0
		.amdhsa_wavefront_size32 1
		.amdhsa_uses_dynamic_stack 0
		.amdhsa_enable_private_segment 0
		.amdhsa_system_sgpr_workgroup_id_x 1
		.amdhsa_system_sgpr_workgroup_id_y 0
		.amdhsa_system_sgpr_workgroup_id_z 0
		.amdhsa_system_sgpr_workgroup_info 0
		.amdhsa_system_vgpr_workitem_id 1
		.amdhsa_next_free_vgpr 15
		.amdhsa_next_free_sgpr 16
		.amdhsa_reserve_vcc 1
		.amdhsa_float_round_mode_32 0
		.amdhsa_float_round_mode_16_64 0
		.amdhsa_float_denorm_mode_32 3
		.amdhsa_float_denorm_mode_16_64 3
		.amdhsa_dx10_clamp 1
		.amdhsa_ieee_mode 1
		.amdhsa_fp16_overflow 0
		.amdhsa_workgroup_processor_mode 1
		.amdhsa_memory_ordered 1
		.amdhsa_forward_progress 0
		.amdhsa_shared_vgpr_count 0
		.amdhsa_exception_fp_ieee_invalid_op 0
		.amdhsa_exception_fp_denorm_src 0
		.amdhsa_exception_fp_ieee_div_zero 0
		.amdhsa_exception_fp_ieee_overflow 0
		.amdhsa_exception_fp_ieee_underflow 0
		.amdhsa_exception_fp_ieee_inexact 0
		.amdhsa_exception_int_div_zero 0
	.end_amdhsa_kernel
	.section	.text._ZL28rocblas_dot_batched_4_kernelIlLi64ELi4ELb0E19rocblas_complex_numIfES1_PKPKS1_EviT5_lT_lS6_lS7_liPT4_,"axG",@progbits,_ZL28rocblas_dot_batched_4_kernelIlLi64ELi4ELb0E19rocblas_complex_numIfES1_PKPKS1_EviT5_lT_lS6_lS7_liPT4_,comdat
.Lfunc_end219:
	.size	_ZL28rocblas_dot_batched_4_kernelIlLi64ELi4ELb0E19rocblas_complex_numIfES1_PKPKS1_EviT5_lT_lS6_lS7_liPT4_, .Lfunc_end219-_ZL28rocblas_dot_batched_4_kernelIlLi64ELi4ELb0E19rocblas_complex_numIfES1_PKPKS1_EviT5_lT_lS6_lS7_liPT4_
                                        ; -- End function
	.section	.AMDGPU.csdata,"",@progbits
; Kernel info:
; codeLenInByte = 888
; NumSgprs: 18
; NumVgprs: 15
; ScratchSize: 0
; MemoryBound: 0
; FloatMode: 240
; IeeeMode: 1
; LDSByteSize: 0 bytes/workgroup (compile time only)
; SGPRBlocks: 2
; VGPRBlocks: 1
; NumSGPRsForWavesPerEU: 18
; NumVGPRsForWavesPerEU: 15
; Occupancy: 16
; WaveLimiterHint : 0
; COMPUTE_PGM_RSRC2:SCRATCH_EN: 0
; COMPUTE_PGM_RSRC2:USER_SGPR: 15
; COMPUTE_PGM_RSRC2:TRAP_HANDLER: 0
; COMPUTE_PGM_RSRC2:TGID_X_EN: 1
; COMPUTE_PGM_RSRC2:TGID_Y_EN: 0
; COMPUTE_PGM_RSRC2:TGID_Z_EN: 0
; COMPUTE_PGM_RSRC2:TIDIG_COMP_CNT: 1
	.section	.text._ZL18rocblas_dot_kernelIlLb1ELi1024ELi32ELb0E19rocblas_complex_numIfEPKPKS1_S1_EviT5_lT_lS6_lS7_liPT6_PT4_,"axG",@progbits,_ZL18rocblas_dot_kernelIlLb1ELi1024ELi32ELb0E19rocblas_complex_numIfEPKPKS1_S1_EviT5_lT_lS6_lS7_liPT6_PT4_,comdat
	.globl	_ZL18rocblas_dot_kernelIlLb1ELi1024ELi32ELb0E19rocblas_complex_numIfEPKPKS1_S1_EviT5_lT_lS6_lS7_liPT6_PT4_ ; -- Begin function _ZL18rocblas_dot_kernelIlLb1ELi1024ELi32ELb0E19rocblas_complex_numIfEPKPKS1_S1_EviT5_lT_lS6_lS7_liPT6_PT4_
	.p2align	8
	.type	_ZL18rocblas_dot_kernelIlLb1ELi1024ELi32ELb0E19rocblas_complex_numIfEPKPKS1_S1_EviT5_lT_lS6_lS7_liPT6_PT4_,@function
_ZL18rocblas_dot_kernelIlLb1ELi1024ELi32ELb0E19rocblas_complex_numIfEPKPKS1_S1_EviT5_lT_lS6_lS7_liPT6_PT4_: ; @_ZL18rocblas_dot_kernelIlLb1ELi1024ELi32ELb0E19rocblas_complex_numIfEPKPKS1_S1_EviT5_lT_lS6_lS7_liPT6_PT4_
; %bb.0:
	s_clause 0x1
	s_load_b32 s14, s[0:1], 0x0
	s_load_b64 s[2:3], s[0:1], 0x58
	v_dual_mov_b32 v5, 0 :: v_dual_mov_b32 v6, 0
	s_mov_b32 s12, s15
	s_mov_b32 s13, 0
	s_mov_b32 s15, exec_lo
	s_waitcnt lgkmcnt(0)
	v_cmpx_gt_i32_e64 s14, v0
	s_cbranch_execz .LBB220_4
; %bb.1:
	s_clause 0x4
	s_load_b64 s[16:17], s[0:1], 0x8
	s_load_b128 s[8:11], s[0:1], 0x10
	s_load_b128 s[4:7], s[0:1], 0x30
	s_load_b64 s[18:19], s[0:1], 0x28
	s_load_b32 s20, s[0:1], 0x60
	s_lshl_b64 s[0:1], s[12:13], 3
	s_waitcnt lgkmcnt(0)
	s_add_u32 s16, s16, s0
	v_mad_u64_u32 v[1:2], null, s10, v0, 0
	v_mad_u64_u32 v[3:4], null, s6, v0, 0
	s_addc_u32 s17, s17, s1
	s_add_u32 s18, s18, s0
	s_load_b64 s[16:17], s[16:17], 0x0
	s_addc_u32 s19, s19, s1
	s_lshl_b64 s[8:9], s[8:9], 3
	s_load_b64 s[18:19], s[18:19], 0x0
	s_delay_alu instid0(VALU_DEP_1) | instskip(SKIP_1) | instid1(SALU_CYCLE_1)
	v_mad_u64_u32 v[5:6], null, s11, v0, v[2:3]
	s_lshl_b32 s1, s20, 10
	s_mul_hi_u32 s0, s10, s1
	s_mul_i32 s11, s11, s1
	s_mul_i32 s20, s10, s1
	s_mul_hi_u32 s22, s6, s1
	s_delay_alu instid0(VALU_DEP_1) | instskip(SKIP_3) | instid1(VALU_DEP_2)
	v_mad_u64_u32 v[6:7], null, s7, v0, v[4:5]
	v_mov_b32_e32 v2, v5
	s_mul_i32 s7, s7, s1
	v_or_b32_e32 v7, s1, v0
	v_lshlrev_b64 v[1:2], 3, v[1:2]
	s_waitcnt lgkmcnt(0)
	s_add_u32 s16, s16, s8
	s_delay_alu instid0(VALU_DEP_4)
	v_mov_b32_e32 v4, v6
	s_addc_u32 s17, s17, s9
	s_ashr_i32 s21, s1, 31
	s_lshl_b64 s[8:9], s[4:5], 3
	s_mul_i32 s4, s10, s21
	v_lshlrev_b64 v[3:4], 3, v[3:4]
	s_add_i32 s0, s0, s4
	s_mul_i32 s10, s6, s21
	s_add_i32 s21, s0, s11
	v_add_co_u32 v5, vcc_lo, s16, v1
	s_lshl_b64 s[4:5], s[20:21], 3
	s_add_u32 s0, s18, s8
	v_add_co_ci_u32_e32 v6, vcc_lo, s17, v2, vcc_lo
	s_addc_u32 s8, s19, s9
	v_add_co_u32 v1, vcc_lo, s0, v3
	v_add_co_ci_u32_e32 v2, vcc_lo, s8, v4, vcc_lo
	v_add_co_u32 v3, vcc_lo, v5, 4
	v_mov_b32_e32 v5, 0
	s_add_i32 s9, s22, s10
	v_add_co_ci_u32_e32 v4, vcc_lo, 0, v6, vcc_lo
	v_mov_b32_e32 v6, 0
	s_add_i32 s7, s9, s7
	s_mul_i32 s6, s6, s1
	s_mov_b32 s8, s13
	s_lshl_b64 s[6:7], s[6:7], 3
	s_mov_b32 s9, s13
	.p2align	6
.LBB220_2:                              ; =>This Inner Loop Header: Depth=1
	global_load_b64 v[8:9], v[1:2], off
	global_load_b64 v[10:11], v[3:4], off offset:-4
	v_cmp_le_i32_e32 vcc_lo, s14, v7
	v_add_nc_u32_e32 v7, s1, v7
	v_add_co_u32 v3, s0, v3, s4
	s_delay_alu instid0(VALU_DEP_1)
	v_add_co_ci_u32_e64 v4, s0, s5, v4, s0
	s_add_i32 s10, s9, 1
	v_add_co_u32 v1, s0, v1, s6
	s_cmp_gt_u32 s9, 30
	v_add_co_ci_u32_e64 v2, s0, s7, v2, s0
	s_cselect_b32 s0, -1, 0
	s_mov_b32 s9, s10
	s_or_b32 s0, s0, vcc_lo
	s_delay_alu instid0(SALU_CYCLE_1) | instskip(NEXT) | instid1(SALU_CYCLE_1)
	s_and_b32 s0, exec_lo, s0
	s_or_b32 s8, s0, s8
	s_waitcnt vmcnt(0)
	v_mul_f32_e32 v12, v11, v9
	v_mul_f32_e32 v9, v10, v9
	s_delay_alu instid0(VALU_DEP_2) | instskip(NEXT) | instid1(VALU_DEP_1)
	v_fma_f32 v10, v10, v8, -v12
	v_dual_fmac_f32 v9, v11, v8 :: v_dual_add_f32 v6, v6, v10
	s_delay_alu instid0(VALU_DEP_1)
	v_add_f32_e32 v5, v5, v9
	s_and_not1_b32 exec_lo, exec_lo, s8
	s_cbranch_execnz .LBB220_2
; %bb.3:
	s_or_b32 exec_lo, exec_lo, s8
.LBB220_4:
	s_delay_alu instid0(SALU_CYCLE_1) | instskip(SKIP_2) | instid1(VALU_DEP_2)
	s_or_b32 exec_lo, exec_lo, s15
	v_and_b32_e32 v1, 31, v0
	v_cmp_gt_u32_e32 vcc_lo, 32, v0
	v_lshlrev_b32_e32 v3, 3, v1
	s_and_saveexec_b32 s0, vcc_lo
	s_cbranch_execz .LBB220_6
; %bb.5:
	v_mov_b32_e32 v7, 0
	s_delay_alu instid0(VALU_DEP_1)
	v_mov_b32_e32 v8, v7
	ds_store_b64 v3, v[7:8]
.LBB220_6:
	s_or_b32 exec_lo, exec_lo, s0
	v_mbcnt_lo_u32_b32 v2, -1, 0
	s_mov_b32 s1, exec_lo
	s_waitcnt lgkmcnt(0)
	s_barrier
	buffer_gl0_inv
	v_cmp_gt_u32_e64 s0, 16, v2
	s_delay_alu instid0(VALU_DEP_1) | instskip(SKIP_1) | instid1(VALU_DEP_2)
	v_cndmask_b32_e64 v4, 0, 1, s0
	v_cmp_gt_u32_e64 s0, 24, v2
	v_lshlrev_b32_e32 v4, 4, v4
	s_delay_alu instid0(VALU_DEP_2) | instskip(SKIP_1) | instid1(VALU_DEP_3)
	v_cndmask_b32_e64 v7, 0, 1, s0
	v_cmp_gt_u32_e64 s0, 28, v2
	v_add_lshl_u32 v4, v4, v2, 2
	ds_bpermute_b32 v8, v4, v6
	ds_bpermute_b32 v9, v4, v5
	s_waitcnt lgkmcnt(1)
	v_dual_add_f32 v6, v6, v8 :: v_dual_lshlrev_b32 v7, 3, v7
	s_delay_alu instid0(VALU_DEP_1)
	v_add_lshl_u32 v7, v7, v2, 2
	s_waitcnt lgkmcnt(0)
	v_add_f32_e32 v8, v5, v9
	v_cndmask_b32_e64 v5, 0, 1, s0
	v_cmp_gt_u32_e64 s0, 30, v2
	ds_bpermute_b32 v9, v7, v6
	ds_bpermute_b32 v10, v7, v8
	v_lshlrev_b32_e32 v5, 2, v5
	s_waitcnt lgkmcnt(0)
	v_dual_add_f32 v9, v6, v9 :: v_dual_add_f32 v8, v8, v10
	s_delay_alu instid0(VALU_DEP_2)
	v_add_lshl_u32 v5, v5, v2, 2
	v_cndmask_b32_e64 v6, 0, 1, s0
	v_cmp_ne_u32_e64 s0, 31, v2
	ds_bpermute_b32 v10, v5, v9
	ds_bpermute_b32 v11, v5, v8
	v_lshlrev_b32_e32 v6, 1, v6
	s_delay_alu instid0(VALU_DEP_1) | instskip(SKIP_3) | instid1(VALU_DEP_2)
	v_add_lshl_u32 v6, v6, v2, 2
	v_add_co_ci_u32_e64 v2, s0, 0, v2, s0
	s_waitcnt lgkmcnt(0)
	v_dual_add_f32 v9, v9, v10 :: v_dual_add_f32 v10, v8, v11
	v_lshlrev_b32_e32 v8, 2, v2
	ds_bpermute_b32 v11, v6, v9
	ds_bpermute_b32 v12, v6, v10
	s_waitcnt lgkmcnt(0)
	v_dual_add_f32 v2, v9, v11 :: v_dual_add_f32 v9, v10, v12
	ds_bpermute_b32 v10, v8, v2
	ds_bpermute_b32 v11, v8, v9
	v_cmpx_eq_u32_e32 0, v1
	s_cbranch_execz .LBB220_8
; %bb.7:
	v_lshrrev_b32_e32 v12, 2, v0
	s_waitcnt lgkmcnt(0)
	v_dual_add_f32 v1, v2, v10 :: v_dual_add_f32 v2, v9, v11
	s_delay_alu instid0(VALU_DEP_2)
	v_and_b32_e32 v9, 0xf8, v12
	ds_store_b64 v9, v[1:2]
.LBB220_8:
	s_or_b32 exec_lo, exec_lo, s1
	v_dual_mov_b32 v2, 0 :: v_dual_mov_b32 v1, 0
	s_waitcnt lgkmcnt(0)
	s_barrier
	buffer_gl0_inv
	s_and_saveexec_b32 s0, vcc_lo
	s_cbranch_execz .LBB220_10
; %bb.9:
	ds_load_b64 v[1:2], v3
.LBB220_10:
	s_or_b32 exec_lo, exec_lo, s0
	s_and_saveexec_b32 s0, vcc_lo
	s_cbranch_execz .LBB220_12
; %bb.11:
	s_waitcnt lgkmcnt(0)
	ds_bpermute_b32 v3, v4, v1
	ds_bpermute_b32 v4, v4, v2
	s_waitcnt lgkmcnt(0)
	v_dual_add_f32 v1, v1, v3 :: v_dual_add_f32 v2, v2, v4
	ds_bpermute_b32 v3, v7, v1
	ds_bpermute_b32 v4, v7, v2
	s_waitcnt lgkmcnt(0)
	v_dual_add_f32 v1, v1, v3 :: v_dual_add_f32 v2, v2, v4
	;; [unrolled: 4-line block ×5, first 2 shown]
.LBB220_12:
	s_or_b32 exec_lo, exec_lo, s0
	s_delay_alu instid0(SALU_CYCLE_1)
	s_mov_b32 s0, exec_lo
	v_cmpx_eq_u32_e32 0, v0
	s_cbranch_execz .LBB220_14
; %bb.13:
	s_lshl_b64 s[0:1], s[12:13], 3
	v_mov_b32_e32 v0, 0
	s_add_u32 s0, s2, s0
	s_addc_u32 s1, s3, s1
	s_waitcnt lgkmcnt(0)
	global_store_b64 v0, v[1:2], s[0:1]
.LBB220_14:
	s_nop 0
	s_sendmsg sendmsg(MSG_DEALLOC_VGPRS)
	s_endpgm
	.section	.rodata,"a",@progbits
	.p2align	6, 0x0
	.amdhsa_kernel _ZL18rocblas_dot_kernelIlLb1ELi1024ELi32ELb0E19rocblas_complex_numIfEPKPKS1_S1_EviT5_lT_lS6_lS7_liPT6_PT4_
		.amdhsa_group_segment_fixed_size 256
		.amdhsa_private_segment_fixed_size 0
		.amdhsa_kernarg_size 352
		.amdhsa_user_sgpr_count 14
		.amdhsa_user_sgpr_dispatch_ptr 0
		.amdhsa_user_sgpr_queue_ptr 0
		.amdhsa_user_sgpr_kernarg_segment_ptr 1
		.amdhsa_user_sgpr_dispatch_id 0
		.amdhsa_user_sgpr_private_segment_size 0
		.amdhsa_wavefront_size32 1
		.amdhsa_uses_dynamic_stack 0
		.amdhsa_enable_private_segment 0
		.amdhsa_system_sgpr_workgroup_id_x 1
		.amdhsa_system_sgpr_workgroup_id_y 0
		.amdhsa_system_sgpr_workgroup_id_z 1
		.amdhsa_system_sgpr_workgroup_info 0
		.amdhsa_system_vgpr_workitem_id 0
		.amdhsa_next_free_vgpr 13
		.amdhsa_next_free_sgpr 23
		.amdhsa_reserve_vcc 1
		.amdhsa_float_round_mode_32 0
		.amdhsa_float_round_mode_16_64 0
		.amdhsa_float_denorm_mode_32 3
		.amdhsa_float_denorm_mode_16_64 3
		.amdhsa_dx10_clamp 1
		.amdhsa_ieee_mode 1
		.amdhsa_fp16_overflow 0
		.amdhsa_workgroup_processor_mode 1
		.amdhsa_memory_ordered 1
		.amdhsa_forward_progress 0
		.amdhsa_shared_vgpr_count 0
		.amdhsa_exception_fp_ieee_invalid_op 0
		.amdhsa_exception_fp_denorm_src 0
		.amdhsa_exception_fp_ieee_div_zero 0
		.amdhsa_exception_fp_ieee_overflow 0
		.amdhsa_exception_fp_ieee_underflow 0
		.amdhsa_exception_fp_ieee_inexact 0
		.amdhsa_exception_int_div_zero 0
	.end_amdhsa_kernel
	.section	.text._ZL18rocblas_dot_kernelIlLb1ELi1024ELi32ELb0E19rocblas_complex_numIfEPKPKS1_S1_EviT5_lT_lS6_lS7_liPT6_PT4_,"axG",@progbits,_ZL18rocblas_dot_kernelIlLb1ELi1024ELi32ELb0E19rocblas_complex_numIfEPKPKS1_S1_EviT5_lT_lS6_lS7_liPT6_PT4_,comdat
.Lfunc_end220:
	.size	_ZL18rocblas_dot_kernelIlLb1ELi1024ELi32ELb0E19rocblas_complex_numIfEPKPKS1_S1_EviT5_lT_lS6_lS7_liPT6_PT4_, .Lfunc_end220-_ZL18rocblas_dot_kernelIlLb1ELi1024ELi32ELb0E19rocblas_complex_numIfEPKPKS1_S1_EviT5_lT_lS6_lS7_liPT6_PT4_
                                        ; -- End function
	.section	.AMDGPU.csdata,"",@progbits
; Kernel info:
; codeLenInByte = 1168
; NumSgprs: 25
; NumVgprs: 13
; ScratchSize: 0
; MemoryBound: 0
; FloatMode: 240
; IeeeMode: 1
; LDSByteSize: 256 bytes/workgroup (compile time only)
; SGPRBlocks: 3
; VGPRBlocks: 1
; NumSGPRsForWavesPerEU: 25
; NumVGPRsForWavesPerEU: 13
; Occupancy: 16
; WaveLimiterHint : 0
; COMPUTE_PGM_RSRC2:SCRATCH_EN: 0
; COMPUTE_PGM_RSRC2:USER_SGPR: 14
; COMPUTE_PGM_RSRC2:TRAP_HANDLER: 0
; COMPUTE_PGM_RSRC2:TGID_X_EN: 1
; COMPUTE_PGM_RSRC2:TGID_Y_EN: 0
; COMPUTE_PGM_RSRC2:TGID_Z_EN: 1
; COMPUTE_PGM_RSRC2:TIDIG_COMP_CNT: 0
	.section	.text._ZL24rocblas_dot_kernel_magsqIlLb1ELi1024ELi32ELb0E19rocblas_complex_numIfEPKPKS1_S1_EviT5_lT_liPT6_PT4_,"axG",@progbits,_ZL24rocblas_dot_kernel_magsqIlLb1ELi1024ELi32ELb0E19rocblas_complex_numIfEPKPKS1_S1_EviT5_lT_liPT6_PT4_,comdat
	.globl	_ZL24rocblas_dot_kernel_magsqIlLb1ELi1024ELi32ELb0E19rocblas_complex_numIfEPKPKS1_S1_EviT5_lT_liPT6_PT4_ ; -- Begin function _ZL24rocblas_dot_kernel_magsqIlLb1ELi1024ELi32ELb0E19rocblas_complex_numIfEPKPKS1_S1_EviT5_lT_liPT6_PT4_
	.p2align	8
	.type	_ZL24rocblas_dot_kernel_magsqIlLb1ELi1024ELi32ELb0E19rocblas_complex_numIfEPKPKS1_S1_EviT5_lT_liPT6_PT4_,@function
_ZL24rocblas_dot_kernel_magsqIlLb1ELi1024ELi32ELb0E19rocblas_complex_numIfEPKPKS1_S1_EviT5_lT_liPT6_PT4_: ; @_ZL24rocblas_dot_kernel_magsqIlLb1ELi1024ELi32ELb0E19rocblas_complex_numIfEPKPKS1_S1_EviT5_lT_liPT6_PT4_
; %bb.0:
	s_clause 0x1
	s_load_b32 s10, s[0:1], 0x0
	s_load_b64 s[2:3], s[0:1], 0x38
	v_mov_b32_e32 v3, 0
	v_mov_b32_e32 v5, 0
	s_mov_b32 s8, s15
	s_mov_b32 s9, 0
	s_mov_b32 s11, exec_lo
	s_waitcnt lgkmcnt(0)
	v_cmpx_gt_i32_e64 s10, v0
	s_cbranch_execz .LBB221_4
; %bb.1:
	s_clause 0x1
	s_load_b64 s[12:13], s[0:1], 0x8
	s_load_b128 s[4:7], s[0:1], 0x10
	s_lshl_b64 s[14:15], s[8:9], 3
	s_load_b32 s16, s[0:1], 0x40
	s_waitcnt lgkmcnt(0)
	s_add_u32 s0, s12, s14
	v_mad_u64_u32 v[1:2], null, s6, v0, 0
	s_addc_u32 s1, s13, s15
	s_lshl_b64 s[4:5], s[4:5], 3
	s_load_b64 s[12:13], s[0:1], 0x0
	s_lshl_b32 s1, s16, 10
	s_delay_alu instid0(SALU_CYCLE_1) | instskip(NEXT) | instid1(VALU_DEP_1)
	s_mul_hi_u32 s0, s6, s1
	v_mad_u64_u32 v[5:6], null, s7, v0, v[2:3]
	v_mov_b32_e32 v3, 0
	v_or_b32_e32 v4, s1, v0
	s_delay_alu instid0(VALU_DEP_3) | instskip(NEXT) | instid1(VALU_DEP_1)
	v_dual_mov_b32 v2, v5 :: v_dual_mov_b32 v5, 0
	v_lshlrev_b64 v[1:2], 3, v[1:2]
	s_waitcnt lgkmcnt(0)
	s_add_u32 s12, s12, s4
	s_addc_u32 s13, s13, s5
	s_ashr_i32 s4, s1, 31
	s_delay_alu instid0(VALU_DEP_1)
	v_add_co_u32 v1, vcc_lo, s12, v1
	s_mul_i32 s4, s6, s4
	s_mul_i32 s5, s7, s1
	s_add_i32 s0, s0, s4
	v_add_co_ci_u32_e32 v2, vcc_lo, s13, v2, vcc_lo
	s_mul_i32 s4, s6, s1
	s_add_i32 s5, s0, s5
	s_mov_b32 s6, s9
	s_lshl_b64 s[4:5], s[4:5], 3
	s_mov_b32 s7, s9
	.p2align	6
.LBB221_2:                              ; =>This Inner Loop Header: Depth=1
	global_load_b64 v[6:7], v[1:2], off
	s_add_i32 s12, s7, 1
	v_cmp_le_i32_e32 vcc_lo, s10, v4
	v_add_co_u32 v1, s0, v1, s4
	v_add_nc_u32_e32 v4, s1, v4
	s_cmp_gt_u32 s7, 30
	v_add_co_ci_u32_e64 v2, s0, s5, v2, s0
	s_cselect_b32 s0, -1, 0
	s_mov_b32 s7, s12
	s_or_b32 s0, s0, vcc_lo
	s_delay_alu instid0(SALU_CYCLE_1) | instskip(NEXT) | instid1(SALU_CYCLE_1)
	s_and_b32 s0, exec_lo, s0
	s_or_b32 s6, s0, s6
	s_waitcnt vmcnt(0)
	v_mul_f32_e32 v8, v7, v7
	v_mul_f32_e32 v7, v6, v7
	s_delay_alu instid0(VALU_DEP_2) | instskip(NEXT) | instid1(VALU_DEP_2)
	v_fma_f32 v6, v6, v6, -v8
	v_fmac_f32_e32 v3, 2.0, v7
	s_delay_alu instid0(VALU_DEP_2)
	v_add_f32_e32 v5, v5, v6
	s_and_not1_b32 exec_lo, exec_lo, s6
	s_cbranch_execnz .LBB221_2
; %bb.3:
	s_or_b32 exec_lo, exec_lo, s6
.LBB221_4:
	s_delay_alu instid0(SALU_CYCLE_1) | instskip(SKIP_2) | instid1(VALU_DEP_2)
	s_or_b32 exec_lo, exec_lo, s11
	v_and_b32_e32 v1, 31, v0
	v_cmp_gt_u32_e32 vcc_lo, 32, v0
	v_lshlrev_b32_e32 v4, 3, v1
	s_and_saveexec_b32 s0, vcc_lo
	s_cbranch_execz .LBB221_6
; %bb.5:
	v_mov_b32_e32 v6, 0
	s_delay_alu instid0(VALU_DEP_1)
	v_mov_b32_e32 v7, v6
	ds_store_b64 v4, v[6:7]
.LBB221_6:
	s_or_b32 exec_lo, exec_lo, s0
	v_mbcnt_lo_u32_b32 v2, -1, 0
	s_mov_b32 s1, exec_lo
	s_waitcnt lgkmcnt(0)
	s_barrier
	buffer_gl0_inv
	v_cmp_gt_u32_e64 s0, 16, v2
	s_delay_alu instid0(VALU_DEP_1) | instskip(SKIP_1) | instid1(VALU_DEP_2)
	v_cndmask_b32_e64 v6, 0, 1, s0
	v_cmp_gt_u32_e64 s0, 24, v2
	v_lshlrev_b32_e32 v6, 4, v6
	s_delay_alu instid0(VALU_DEP_2) | instskip(SKIP_1) | instid1(VALU_DEP_3)
	v_cndmask_b32_e64 v7, 0, 1, s0
	v_cmp_gt_u32_e64 s0, 28, v2
	v_add_lshl_u32 v6, v6, v2, 2
	ds_bpermute_b32 v8, v6, v5
	ds_bpermute_b32 v9, v6, v3
	v_lshlrev_b32_e32 v7, 3, v7
	s_waitcnt lgkmcnt(0)
	v_dual_add_f32 v5, v5, v8 :: v_dual_add_f32 v8, v3, v9
	s_delay_alu instid0(VALU_DEP_2)
	v_add_lshl_u32 v7, v7, v2, 2
	v_cndmask_b32_e64 v3, 0, 1, s0
	v_cmp_gt_u32_e64 s0, 30, v2
	ds_bpermute_b32 v10, v7, v8
	ds_bpermute_b32 v9, v7, v5
	s_waitcnt lgkmcnt(1)
	v_dual_add_f32 v8, v8, v10 :: v_dual_lshlrev_b32 v3, 2, v3
	s_delay_alu instid0(VALU_DEP_1)
	v_add_lshl_u32 v3, v3, v2, 2
	ds_bpermute_b32 v11, v3, v8
	s_waitcnt lgkmcnt(1)
	v_add_f32_e32 v9, v5, v9
	v_cndmask_b32_e64 v5, 0, 1, s0
	v_cmp_ne_u32_e64 s0, 31, v2
	ds_bpermute_b32 v10, v3, v9
	s_waitcnt lgkmcnt(0)
	v_dual_add_f32 v9, v9, v10 :: v_dual_add_f32 v10, v8, v11
	v_lshlrev_b32_e32 v5, 1, v5
	s_delay_alu instid0(VALU_DEP_1)
	v_add_lshl_u32 v5, v5, v2, 2
	v_add_co_ci_u32_e64 v2, s0, 0, v2, s0
	ds_bpermute_b32 v11, v5, v9
	ds_bpermute_b32 v12, v5, v10
	v_lshlrev_b32_e32 v8, 2, v2
	s_waitcnt lgkmcnt(0)
	v_dual_add_f32 v2, v9, v11 :: v_dual_add_f32 v9, v10, v12
	ds_bpermute_b32 v10, v8, v2
	ds_bpermute_b32 v11, v8, v9
	v_cmpx_eq_u32_e32 0, v1
	s_cbranch_execz .LBB221_8
; %bb.7:
	v_lshrrev_b32_e32 v12, 2, v0
	s_waitcnt lgkmcnt(0)
	v_dual_add_f32 v1, v2, v10 :: v_dual_add_f32 v2, v9, v11
	s_delay_alu instid0(VALU_DEP_2)
	v_and_b32_e32 v9, 0xf8, v12
	ds_store_b64 v9, v[1:2]
.LBB221_8:
	s_or_b32 exec_lo, exec_lo, s1
	v_dual_mov_b32 v2, 0 :: v_dual_mov_b32 v1, 0
	s_waitcnt lgkmcnt(0)
	s_barrier
	buffer_gl0_inv
	s_and_saveexec_b32 s0, vcc_lo
	s_cbranch_execz .LBB221_10
; %bb.9:
	ds_load_b64 v[1:2], v4
.LBB221_10:
	s_or_b32 exec_lo, exec_lo, s0
	s_and_saveexec_b32 s0, vcc_lo
	s_cbranch_execz .LBB221_12
; %bb.11:
	s_waitcnt lgkmcnt(0)
	ds_bpermute_b32 v4, v6, v1
	ds_bpermute_b32 v6, v6, v2
	s_waitcnt lgkmcnt(0)
	v_dual_add_f32 v1, v1, v4 :: v_dual_add_f32 v2, v2, v6
	ds_bpermute_b32 v4, v7, v1
	ds_bpermute_b32 v6, v7, v2
	s_waitcnt lgkmcnt(0)
	v_dual_add_f32 v1, v1, v4 :: v_dual_add_f32 v2, v2, v6
	;; [unrolled: 4-line block ×5, first 2 shown]
.LBB221_12:
	s_or_b32 exec_lo, exec_lo, s0
	s_delay_alu instid0(SALU_CYCLE_1)
	s_mov_b32 s0, exec_lo
	v_cmpx_eq_u32_e32 0, v0
	s_cbranch_execz .LBB221_14
; %bb.13:
	s_lshl_b64 s[0:1], s[8:9], 3
	v_mov_b32_e32 v0, 0
	s_add_u32 s0, s2, s0
	s_addc_u32 s1, s3, s1
	s_waitcnt lgkmcnt(0)
	global_store_b64 v0, v[1:2], s[0:1]
.LBB221_14:
	s_nop 0
	s_sendmsg sendmsg(MSG_DEALLOC_VGPRS)
	s_endpgm
	.section	.rodata,"a",@progbits
	.p2align	6, 0x0
	.amdhsa_kernel _ZL24rocblas_dot_kernel_magsqIlLb1ELi1024ELi32ELb0E19rocblas_complex_numIfEPKPKS1_S1_EviT5_lT_liPT6_PT4_
		.amdhsa_group_segment_fixed_size 256
		.amdhsa_private_segment_fixed_size 0
		.amdhsa_kernarg_size 320
		.amdhsa_user_sgpr_count 14
		.amdhsa_user_sgpr_dispatch_ptr 0
		.amdhsa_user_sgpr_queue_ptr 0
		.amdhsa_user_sgpr_kernarg_segment_ptr 1
		.amdhsa_user_sgpr_dispatch_id 0
		.amdhsa_user_sgpr_private_segment_size 0
		.amdhsa_wavefront_size32 1
		.amdhsa_uses_dynamic_stack 0
		.amdhsa_enable_private_segment 0
		.amdhsa_system_sgpr_workgroup_id_x 1
		.amdhsa_system_sgpr_workgroup_id_y 0
		.amdhsa_system_sgpr_workgroup_id_z 1
		.amdhsa_system_sgpr_workgroup_info 0
		.amdhsa_system_vgpr_workitem_id 0
		.amdhsa_next_free_vgpr 13
		.amdhsa_next_free_sgpr 17
		.amdhsa_reserve_vcc 1
		.amdhsa_float_round_mode_32 0
		.amdhsa_float_round_mode_16_64 0
		.amdhsa_float_denorm_mode_32 3
		.amdhsa_float_denorm_mode_16_64 3
		.amdhsa_dx10_clamp 1
		.amdhsa_ieee_mode 1
		.amdhsa_fp16_overflow 0
		.amdhsa_workgroup_processor_mode 1
		.amdhsa_memory_ordered 1
		.amdhsa_forward_progress 0
		.amdhsa_shared_vgpr_count 0
		.amdhsa_exception_fp_ieee_invalid_op 0
		.amdhsa_exception_fp_denorm_src 0
		.amdhsa_exception_fp_ieee_div_zero 0
		.amdhsa_exception_fp_ieee_overflow 0
		.amdhsa_exception_fp_ieee_underflow 0
		.amdhsa_exception_fp_ieee_inexact 0
		.amdhsa_exception_int_div_zero 0
	.end_amdhsa_kernel
	.section	.text._ZL24rocblas_dot_kernel_magsqIlLb1ELi1024ELi32ELb0E19rocblas_complex_numIfEPKPKS1_S1_EviT5_lT_liPT6_PT4_,"axG",@progbits,_ZL24rocblas_dot_kernel_magsqIlLb1ELi1024ELi32ELb0E19rocblas_complex_numIfEPKPKS1_S1_EviT5_lT_liPT6_PT4_,comdat
.Lfunc_end221:
	.size	_ZL24rocblas_dot_kernel_magsqIlLb1ELi1024ELi32ELb0E19rocblas_complex_numIfEPKPKS1_S1_EviT5_lT_liPT6_PT4_, .Lfunc_end221-_ZL24rocblas_dot_kernel_magsqIlLb1ELi1024ELi32ELb0E19rocblas_complex_numIfEPKPKS1_S1_EviT5_lT_liPT6_PT4_
                                        ; -- End function
	.section	.AMDGPU.csdata,"",@progbits
; Kernel info:
; codeLenInByte = 1012
; NumSgprs: 19
; NumVgprs: 13
; ScratchSize: 0
; MemoryBound: 0
; FloatMode: 240
; IeeeMode: 1
; LDSByteSize: 256 bytes/workgroup (compile time only)
; SGPRBlocks: 2
; VGPRBlocks: 1
; NumSGPRsForWavesPerEU: 19
; NumVGPRsForWavesPerEU: 13
; Occupancy: 16
; WaveLimiterHint : 0
; COMPUTE_PGM_RSRC2:SCRATCH_EN: 0
; COMPUTE_PGM_RSRC2:USER_SGPR: 14
; COMPUTE_PGM_RSRC2:TRAP_HANDLER: 0
; COMPUTE_PGM_RSRC2:TGID_X_EN: 1
; COMPUTE_PGM_RSRC2:TGID_Y_EN: 0
; COMPUTE_PGM_RSRC2:TGID_Z_EN: 1
; COMPUTE_PGM_RSRC2:TIDIG_COMP_CNT: 0
	.section	.text._ZL38rocblas_dot_kernel_gfx942_float_doubleIlLi1024E19rocblas_complex_numIfEPKPKS1_S1_EviT2_lT_lS6_lS7_lPT3_PT1_,"axG",@progbits,_ZL38rocblas_dot_kernel_gfx942_float_doubleIlLi1024E19rocblas_complex_numIfEPKPKS1_S1_EviT2_lT_lS6_lS7_lPT3_PT1_,comdat
	.globl	_ZL38rocblas_dot_kernel_gfx942_float_doubleIlLi1024E19rocblas_complex_numIfEPKPKS1_S1_EviT2_lT_lS6_lS7_lPT3_PT1_ ; -- Begin function _ZL38rocblas_dot_kernel_gfx942_float_doubleIlLi1024E19rocblas_complex_numIfEPKPKS1_S1_EviT2_lT_lS6_lS7_lPT3_PT1_
	.p2align	8
	.type	_ZL38rocblas_dot_kernel_gfx942_float_doubleIlLi1024E19rocblas_complex_numIfEPKPKS1_S1_EviT2_lT_lS6_lS7_lPT3_PT1_,@function
_ZL38rocblas_dot_kernel_gfx942_float_doubleIlLi1024E19rocblas_complex_numIfEPKPKS1_S1_EviT2_lT_lS6_lS7_lPT3_PT1_: ; @_ZL38rocblas_dot_kernel_gfx942_float_doubleIlLi1024E19rocblas_complex_numIfEPKPKS1_S1_EviT2_lT_lS6_lS7_lPT3_PT1_
; %bb.0:
	s_endpgm
	.section	.rodata,"a",@progbits
	.p2align	6, 0x0
	.amdhsa_kernel _ZL38rocblas_dot_kernel_gfx942_float_doubleIlLi1024E19rocblas_complex_numIfEPKPKS1_S1_EviT2_lT_lS6_lS7_lPT3_PT1_
		.amdhsa_group_segment_fixed_size 0
		.amdhsa_private_segment_fixed_size 0
		.amdhsa_kernarg_size 88
		.amdhsa_user_sgpr_count 15
		.amdhsa_user_sgpr_dispatch_ptr 0
		.amdhsa_user_sgpr_queue_ptr 0
		.amdhsa_user_sgpr_kernarg_segment_ptr 1
		.amdhsa_user_sgpr_dispatch_id 0
		.amdhsa_user_sgpr_private_segment_size 0
		.amdhsa_wavefront_size32 1
		.amdhsa_uses_dynamic_stack 0
		.amdhsa_enable_private_segment 0
		.amdhsa_system_sgpr_workgroup_id_x 1
		.amdhsa_system_sgpr_workgroup_id_y 0
		.amdhsa_system_sgpr_workgroup_id_z 0
		.amdhsa_system_sgpr_workgroup_info 0
		.amdhsa_system_vgpr_workitem_id 0
		.amdhsa_next_free_vgpr 1
		.amdhsa_next_free_sgpr 1
		.amdhsa_reserve_vcc 0
		.amdhsa_float_round_mode_32 0
		.amdhsa_float_round_mode_16_64 0
		.amdhsa_float_denorm_mode_32 3
		.amdhsa_float_denorm_mode_16_64 3
		.amdhsa_dx10_clamp 1
		.amdhsa_ieee_mode 1
		.amdhsa_fp16_overflow 0
		.amdhsa_workgroup_processor_mode 1
		.amdhsa_memory_ordered 1
		.amdhsa_forward_progress 0
		.amdhsa_shared_vgpr_count 0
		.amdhsa_exception_fp_ieee_invalid_op 0
		.amdhsa_exception_fp_denorm_src 0
		.amdhsa_exception_fp_ieee_div_zero 0
		.amdhsa_exception_fp_ieee_overflow 0
		.amdhsa_exception_fp_ieee_underflow 0
		.amdhsa_exception_fp_ieee_inexact 0
		.amdhsa_exception_int_div_zero 0
	.end_amdhsa_kernel
	.section	.text._ZL38rocblas_dot_kernel_gfx942_float_doubleIlLi1024E19rocblas_complex_numIfEPKPKS1_S1_EviT2_lT_lS6_lS7_lPT3_PT1_,"axG",@progbits,_ZL38rocblas_dot_kernel_gfx942_float_doubleIlLi1024E19rocblas_complex_numIfEPKPKS1_S1_EviT2_lT_lS6_lS7_lPT3_PT1_,comdat
.Lfunc_end222:
	.size	_ZL38rocblas_dot_kernel_gfx942_float_doubleIlLi1024E19rocblas_complex_numIfEPKPKS1_S1_EviT2_lT_lS6_lS7_lPT3_PT1_, .Lfunc_end222-_ZL38rocblas_dot_kernel_gfx942_float_doubleIlLi1024E19rocblas_complex_numIfEPKPKS1_S1_EviT2_lT_lS6_lS7_lPT3_PT1_
                                        ; -- End function
	.section	.AMDGPU.csdata,"",@progbits
; Kernel info:
; codeLenInByte = 4
; NumSgprs: 0
; NumVgprs: 0
; ScratchSize: 0
; MemoryBound: 0
; FloatMode: 240
; IeeeMode: 1
; LDSByteSize: 0 bytes/workgroup (compile time only)
; SGPRBlocks: 0
; VGPRBlocks: 0
; NumSGPRsForWavesPerEU: 1
; NumVGPRsForWavesPerEU: 1
; Occupancy: 16
; WaveLimiterHint : 0
; COMPUTE_PGM_RSRC2:SCRATCH_EN: 0
; COMPUTE_PGM_RSRC2:USER_SGPR: 15
; COMPUTE_PGM_RSRC2:TRAP_HANDLER: 0
; COMPUTE_PGM_RSRC2:TGID_X_EN: 1
; COMPUTE_PGM_RSRC2:TGID_Y_EN: 0
; COMPUTE_PGM_RSRC2:TGID_Z_EN: 0
; COMPUTE_PGM_RSRC2:TIDIG_COMP_CNT: 0
	.section	.text._ZL18rocblas_dot_kernelIlLb0ELi512ELi2ELb0E19rocblas_complex_numIfEPKPKS1_S1_EviT5_lT_lS6_lS7_liPT6_PT4_,"axG",@progbits,_ZL18rocblas_dot_kernelIlLb0ELi512ELi2ELb0E19rocblas_complex_numIfEPKPKS1_S1_EviT5_lT_lS6_lS7_liPT6_PT4_,comdat
	.globl	_ZL18rocblas_dot_kernelIlLb0ELi512ELi2ELb0E19rocblas_complex_numIfEPKPKS1_S1_EviT5_lT_lS6_lS7_liPT6_PT4_ ; -- Begin function _ZL18rocblas_dot_kernelIlLb0ELi512ELi2ELb0E19rocblas_complex_numIfEPKPKS1_S1_EviT5_lT_lS6_lS7_liPT6_PT4_
	.p2align	8
	.type	_ZL18rocblas_dot_kernelIlLb0ELi512ELi2ELb0E19rocblas_complex_numIfEPKPKS1_S1_EviT5_lT_lS6_lS7_liPT6_PT4_,@function
_ZL18rocblas_dot_kernelIlLb0ELi512ELi2ELb0E19rocblas_complex_numIfEPKPKS1_S1_EviT5_lT_lS6_lS7_liPT6_PT4_: ; @_ZL18rocblas_dot_kernelIlLb0ELi512ELi2ELb0E19rocblas_complex_numIfEPKPKS1_S1_EviT5_lT_lS6_lS7_liPT6_PT4_
; %bb.0:
	s_mov_b32 s12, s15
	s_clause 0x1
	s_load_b32 s15, s[0:1], 0x0
	s_load_b32 s3, s[0:1], 0x60
	v_lshl_or_b32 v3, s14, 9, v0
	v_dual_mov_b32 v1, 0 :: v_dual_mov_b32 v2, 0
	s_mov_b32 s13, 0
	s_mov_b32 s2, exec_lo
	s_waitcnt lgkmcnt(0)
	v_cmpx_gt_i32_e64 s15, v3
	s_cbranch_execz .LBB223_4
; %bb.1:
	s_clause 0x1
	s_load_b64 s[16:17], s[0:1], 0x8
	s_load_b128 s[4:7], s[0:1], 0x30
	s_lshl_b64 s[18:19], s[12:13], 3
	s_load_b128 s[8:11], s[0:1], 0x10
	v_ashrrev_i32_e32 v1, 31, v3
	s_waitcnt lgkmcnt(0)
	s_add_u32 s16, s16, s18
	s_addc_u32 s17, s17, s19
	s_delay_alu instid0(VALU_DEP_1)
	v_mul_lo_u32 v7, v1, s6
	s_load_b64 s[16:17], s[16:17], 0x0
	s_load_b64 s[20:21], s[0:1], 0x28
	s_lshl_b64 s[8:9], s[8:9], 3
	v_mul_lo_u32 v8, v3, s11
	v_mul_lo_u32 v9, v1, s10
	v_mad_u64_u32 v[1:2], null, v3, s10, 0
	v_mul_lo_u32 v6, v3, s7
	v_mad_u64_u32 v[4:5], null, v3, s6, 0
	s_delay_alu instid0(VALU_DEP_3) | instskip(NEXT) | instid1(VALU_DEP_2)
	v_add3_u32 v2, v2, v8, v9
	v_add3_u32 v5, v5, v6, v7
	s_delay_alu instid0(VALU_DEP_2)
	v_lshlrev_b64 v[1:2], 3, v[1:2]
	s_waitcnt lgkmcnt(0)
	s_add_u32 s8, s16, s8
	s_addc_u32 s9, s17, s9
	s_add_u32 s16, s20, s18
	s_addc_u32 s17, s21, s19
	v_lshlrev_b64 v[3:4], 3, v[4:5]
	s_load_b64 s[16:17], s[16:17], 0x0
	s_lshl_b64 s[4:5], s[4:5], 3
	v_add_co_u32 v1, vcc_lo, s8, v1
	v_add_co_ci_u32_e32 v2, vcc_lo, s9, v2, vcc_lo
	s_waitcnt lgkmcnt(0)
	s_add_u32 s4, s16, s4
	s_addc_u32 s5, s17, s5
	v_add_co_u32 v3, vcc_lo, s4, v3
	v_add_co_ci_u32_e32 v4, vcc_lo, s5, v4, vcc_lo
	s_add_i32 s16, s14, s3
	global_load_b64 v[1:2], v[1:2], off
	global_load_b64 v[3:4], v[3:4], off
	s_waitcnt vmcnt(0)
	v_mul_f32_e32 v5, v2, v4
	v_mul_f32_e32 v4, v1, v4
	s_delay_alu instid0(VALU_DEP_2) | instskip(NEXT) | instid1(VALU_DEP_1)
	v_fma_f32 v1, v1, v3, -v5
	v_dual_add_f32 v1, 0, v1 :: v_dual_fmac_f32 v4, v2, v3
	v_lshl_or_b32 v3, s16, 9, v0
	s_delay_alu instid0(VALU_DEP_2) | instskip(NEXT) | instid1(VALU_DEP_2)
	v_add_f32_e32 v2, 0, v4
	v_cmp_gt_i32_e32 vcc_lo, s15, v3
	s_and_saveexec_b32 s15, vcc_lo
	s_cbranch_execz .LBB223_3
; %bb.2:
	v_ashrrev_i32_e32 v8, 31, v3
	v_mul_lo_u32 v9, v3, s11
	v_mad_u64_u32 v[4:5], null, v3, s10, 0
	v_mul_lo_u32 v11, v3, s7
	s_delay_alu instid0(VALU_DEP_4) | instskip(SKIP_2) | instid1(VALU_DEP_3)
	v_mul_lo_u32 v10, v8, s10
	v_mad_u64_u32 v[6:7], null, v3, s6, 0
	v_mul_lo_u32 v3, v8, s6
	v_add3_u32 v5, v5, v9, v10
	s_delay_alu instid0(VALU_DEP_2) | instskip(NEXT) | instid1(VALU_DEP_2)
	v_add3_u32 v7, v7, v11, v3
	v_lshlrev_b64 v[3:4], 3, v[4:5]
	s_delay_alu instid0(VALU_DEP_2) | instskip(NEXT) | instid1(VALU_DEP_2)
	v_lshlrev_b64 v[5:6], 3, v[6:7]
	v_add_co_u32 v3, vcc_lo, s8, v3
	s_delay_alu instid0(VALU_DEP_3) | instskip(NEXT) | instid1(VALU_DEP_3)
	v_add_co_ci_u32_e32 v4, vcc_lo, s9, v4, vcc_lo
	v_add_co_u32 v5, vcc_lo, s4, v5
	s_delay_alu instid0(VALU_DEP_4)
	v_add_co_ci_u32_e32 v6, vcc_lo, s5, v6, vcc_lo
	global_load_b64 v[3:4], v[3:4], off
	global_load_b64 v[5:6], v[5:6], off
	s_waitcnt vmcnt(0)
	v_mul_f32_e32 v7, v3, v6
	v_mul_f32_e32 v6, v4, v6
	s_delay_alu instid0(VALU_DEP_2) | instskip(NEXT) | instid1(VALU_DEP_2)
	v_fmac_f32_e32 v7, v4, v5
	v_fma_f32 v3, v3, v5, -v6
	s_delay_alu instid0(VALU_DEP_2) | instskip(NEXT) | instid1(VALU_DEP_2)
	v_add_f32_e32 v2, v2, v7
	v_add_f32_e32 v1, v1, v3
.LBB223_3:
	s_or_b32 exec_lo, exec_lo, s15
.LBB223_4:
	s_delay_alu instid0(SALU_CYCLE_1) | instskip(SKIP_2) | instid1(VALU_DEP_2)
	s_or_b32 exec_lo, exec_lo, s2
	v_and_b32_e32 v8, 31, v0
	v_cmp_gt_u32_e32 vcc_lo, 32, v0
	v_lshlrev_b32_e32 v3, 3, v8
	s_and_saveexec_b32 s2, vcc_lo
	s_cbranch_execz .LBB223_6
; %bb.5:
	v_mov_b32_e32 v4, 0
	s_delay_alu instid0(VALU_DEP_1)
	v_mov_b32_e32 v5, v4
	ds_store_b64 v3, v[4:5]
.LBB223_6:
	s_or_b32 exec_lo, exec_lo, s2
	v_mbcnt_lo_u32_b32 v7, -1, 0
	s_mov_b32 s4, exec_lo
	s_waitcnt lgkmcnt(0)
	s_barrier
	buffer_gl0_inv
	v_cmp_gt_u32_e64 s2, 16, v7
	s_delay_alu instid0(VALU_DEP_1) | instskip(SKIP_1) | instid1(VALU_DEP_2)
	v_cndmask_b32_e64 v4, 0, 1, s2
	v_cmp_gt_u32_e64 s2, 24, v7
	v_lshlrev_b32_e32 v4, 4, v4
	s_delay_alu instid0(VALU_DEP_1)
	v_add_lshl_u32 v4, v4, v7, 2
	ds_bpermute_b32 v5, v4, v1
	ds_bpermute_b32 v6, v4, v2
	v_cndmask_b32_e64 v4, 0, 1, s2
	v_cmp_gt_u32_e64 s2, 28, v7
	s_waitcnt lgkmcnt(1)
	s_delay_alu instid0(VALU_DEP_2) | instskip(NEXT) | instid1(VALU_DEP_2)
	v_dual_add_f32 v1, v1, v5 :: v_dual_lshlrev_b32 v4, 3, v4
	v_cndmask_b32_e64 v5, 0, 1, s2
	s_waitcnt lgkmcnt(0)
	v_add_f32_e32 v2, v2, v6
	v_cmp_gt_u32_e64 s2, 30, v7
	v_add_lshl_u32 v4, v4, v7, 2
	v_lshlrev_b32_e32 v5, 2, v5
	ds_bpermute_b32 v6, v4, v1
	ds_bpermute_b32 v9, v4, v2
	v_add_lshl_u32 v5, v5, v7, 2
	s_waitcnt lgkmcnt(1)
	v_add_f32_e32 v1, v1, v6
	v_cndmask_b32_e64 v6, 0, 1, s2
	v_cmp_ne_u32_e64 s2, 31, v7
	s_delay_alu instid0(VALU_DEP_2) | instskip(NEXT) | instid1(VALU_DEP_1)
	v_lshlrev_b32_e32 v6, 1, v6
	v_add_lshl_u32 v6, v6, v7, 2
	s_delay_alu instid0(VALU_DEP_3)
	v_add_co_ci_u32_e64 v7, s2, 0, v7, s2
	s_waitcnt lgkmcnt(0)
	v_add_f32_e32 v2, v2, v9
	ds_bpermute_b32 v9, v5, v1
	v_lshlrev_b32_e32 v7, 2, v7
	ds_bpermute_b32 v10, v5, v2
	s_waitcnt lgkmcnt(1)
	v_add_f32_e32 v1, v1, v9
	ds_bpermute_b32 v9, v6, v1
	s_waitcnt lgkmcnt(0)
	v_dual_add_f32 v2, v2, v10 :: v_dual_add_f32 v1, v1, v9
	ds_bpermute_b32 v10, v6, v2
	ds_bpermute_b32 v9, v7, v1
	s_waitcnt lgkmcnt(1)
	v_add_f32_e32 v2, v2, v10
	ds_bpermute_b32 v10, v7, v2
	v_cmpx_eq_u32_e32 0, v8
	s_cbranch_execz .LBB223_8
; %bb.7:
	v_lshrrev_b32_e32 v8, 2, v0
	s_waitcnt lgkmcnt(0)
	v_dual_add_f32 v1, v1, v9 :: v_dual_add_f32 v2, v2, v10
	s_delay_alu instid0(VALU_DEP_2)
	v_and_b32_e32 v8, 0x78, v8
	ds_store_b64 v8, v[1:2]
.LBB223_8:
	s_or_b32 exec_lo, exec_lo, s4
	v_dual_mov_b32 v2, 0 :: v_dual_mov_b32 v1, 0
	s_mov_b32 s4, exec_lo
	s_waitcnt lgkmcnt(0)
	s_barrier
	buffer_gl0_inv
	v_cmpx_gt_u32_e32 16, v0
	s_cbranch_execz .LBB223_10
; %bb.9:
	ds_load_b64 v[1:2], v3
.LBB223_10:
	s_or_b32 exec_lo, exec_lo, s4
	s_and_saveexec_b32 s2, vcc_lo
	s_cbranch_execz .LBB223_12
; %bb.11:
	s_waitcnt lgkmcnt(0)
	ds_bpermute_b32 v3, v4, v1
	ds_bpermute_b32 v4, v4, v2
	s_waitcnt lgkmcnt(0)
	v_dual_add_f32 v1, v1, v3 :: v_dual_add_f32 v2, v2, v4
	ds_bpermute_b32 v3, v5, v1
	ds_bpermute_b32 v4, v5, v2
	s_waitcnt lgkmcnt(0)
	v_dual_add_f32 v1, v1, v3 :: v_dual_add_f32 v2, v2, v4
	;; [unrolled: 4-line block ×4, first 2 shown]
.LBB223_12:
	s_or_b32 exec_lo, exec_lo, s2
	s_delay_alu instid0(SALU_CYCLE_1)
	s_mov_b32 s2, exec_lo
	v_cmpx_eq_u32_e32 0, v0
	s_cbranch_execz .LBB223_18
; %bb.13:
	s_cmp_lg_u32 s3, 1
	s_cbranch_scc0 .LBB223_15
; %bb.14:
	s_load_b64 s[4:5], s[0:1], 0x50
	s_mul_hi_u32 s7, s3, s12
	s_mul_i32 s6, s3, s12
	s_mov_b32 s15, 0
	s_lshl_b64 s[2:3], s[6:7], 3
	s_waitcnt lgkmcnt(0)
	s_add_u32 s4, s4, s2
	s_addc_u32 s5, s5, s3
	s_lshl_b64 s[2:3], s[14:15], 3
	s_delay_alu instid0(SALU_CYCLE_1)
	s_add_u32 s2, s4, s2
	s_addc_u32 s3, s5, s3
	s_cbranch_execz .LBB223_16
	s_branch .LBB223_17
.LBB223_15:
                                        ; implicit-def: $sgpr2_sgpr3
.LBB223_16:
	s_load_b64 s[0:1], s[0:1], 0x58
	s_lshl_b64 s[2:3], s[12:13], 3
	s_waitcnt lgkmcnt(0)
	s_add_u32 s2, s0, s2
	s_addc_u32 s3, s1, s3
.LBB223_17:
	v_mov_b32_e32 v0, 0
	s_waitcnt lgkmcnt(0)
	global_store_b64 v0, v[1:2], s[2:3]
.LBB223_18:
	s_nop 0
	s_sendmsg sendmsg(MSG_DEALLOC_VGPRS)
	s_endpgm
	.section	.rodata,"a",@progbits
	.p2align	6, 0x0
	.amdhsa_kernel _ZL18rocblas_dot_kernelIlLb0ELi512ELi2ELb0E19rocblas_complex_numIfEPKPKS1_S1_EviT5_lT_lS6_lS7_liPT6_PT4_
		.amdhsa_group_segment_fixed_size 256
		.amdhsa_private_segment_fixed_size 0
		.amdhsa_kernarg_size 352
		.amdhsa_user_sgpr_count 14
		.amdhsa_user_sgpr_dispatch_ptr 0
		.amdhsa_user_sgpr_queue_ptr 0
		.amdhsa_user_sgpr_kernarg_segment_ptr 1
		.amdhsa_user_sgpr_dispatch_id 0
		.amdhsa_user_sgpr_private_segment_size 0
		.amdhsa_wavefront_size32 1
		.amdhsa_uses_dynamic_stack 0
		.amdhsa_enable_private_segment 0
		.amdhsa_system_sgpr_workgroup_id_x 1
		.amdhsa_system_sgpr_workgroup_id_y 0
		.amdhsa_system_sgpr_workgroup_id_z 1
		.amdhsa_system_sgpr_workgroup_info 0
		.amdhsa_system_vgpr_workitem_id 0
		.amdhsa_next_free_vgpr 12
		.amdhsa_next_free_sgpr 22
		.amdhsa_reserve_vcc 1
		.amdhsa_float_round_mode_32 0
		.amdhsa_float_round_mode_16_64 0
		.amdhsa_float_denorm_mode_32 3
		.amdhsa_float_denorm_mode_16_64 3
		.amdhsa_dx10_clamp 1
		.amdhsa_ieee_mode 1
		.amdhsa_fp16_overflow 0
		.amdhsa_workgroup_processor_mode 1
		.amdhsa_memory_ordered 1
		.amdhsa_forward_progress 0
		.amdhsa_shared_vgpr_count 0
		.amdhsa_exception_fp_ieee_invalid_op 0
		.amdhsa_exception_fp_denorm_src 0
		.amdhsa_exception_fp_ieee_div_zero 0
		.amdhsa_exception_fp_ieee_overflow 0
		.amdhsa_exception_fp_ieee_underflow 0
		.amdhsa_exception_fp_ieee_inexact 0
		.amdhsa_exception_int_div_zero 0
	.end_amdhsa_kernel
	.section	.text._ZL18rocblas_dot_kernelIlLb0ELi512ELi2ELb0E19rocblas_complex_numIfEPKPKS1_S1_EviT5_lT_lS6_lS7_liPT6_PT4_,"axG",@progbits,_ZL18rocblas_dot_kernelIlLb0ELi512ELi2ELb0E19rocblas_complex_numIfEPKPKS1_S1_EviT5_lT_lS6_lS7_liPT6_PT4_,comdat
.Lfunc_end223:
	.size	_ZL18rocblas_dot_kernelIlLb0ELi512ELi2ELb0E19rocblas_complex_numIfEPKPKS1_S1_EviT5_lT_lS6_lS7_liPT6_PT4_, .Lfunc_end223-_ZL18rocblas_dot_kernelIlLb0ELi512ELi2ELb0E19rocblas_complex_numIfEPKPKS1_S1_EviT5_lT_lS6_lS7_liPT6_PT4_
                                        ; -- End function
	.section	.AMDGPU.csdata,"",@progbits
; Kernel info:
; codeLenInByte = 1292
; NumSgprs: 24
; NumVgprs: 12
; ScratchSize: 0
; MemoryBound: 0
; FloatMode: 240
; IeeeMode: 1
; LDSByteSize: 256 bytes/workgroup (compile time only)
; SGPRBlocks: 2
; VGPRBlocks: 1
; NumSGPRsForWavesPerEU: 24
; NumVGPRsForWavesPerEU: 12
; Occupancy: 16
; WaveLimiterHint : 1
; COMPUTE_PGM_RSRC2:SCRATCH_EN: 0
; COMPUTE_PGM_RSRC2:USER_SGPR: 14
; COMPUTE_PGM_RSRC2:TRAP_HANDLER: 0
; COMPUTE_PGM_RSRC2:TGID_X_EN: 1
; COMPUTE_PGM_RSRC2:TGID_Y_EN: 0
; COMPUTE_PGM_RSRC2:TGID_Z_EN: 1
; COMPUTE_PGM_RSRC2:TIDIG_COMP_CNT: 0
	.section	.text._ZL24rocblas_dot_kernel_magsqIlLb0ELi512ELi2ELb0E19rocblas_complex_numIfEPKPKS1_S1_EviT5_lT_liPT6_PT4_,"axG",@progbits,_ZL24rocblas_dot_kernel_magsqIlLb0ELi512ELi2ELb0E19rocblas_complex_numIfEPKPKS1_S1_EviT5_lT_liPT6_PT4_,comdat
	.globl	_ZL24rocblas_dot_kernel_magsqIlLb0ELi512ELi2ELb0E19rocblas_complex_numIfEPKPKS1_S1_EviT5_lT_liPT6_PT4_ ; -- Begin function _ZL24rocblas_dot_kernel_magsqIlLb0ELi512ELi2ELb0E19rocblas_complex_numIfEPKPKS1_S1_EviT5_lT_liPT6_PT4_
	.p2align	8
	.type	_ZL24rocblas_dot_kernel_magsqIlLb0ELi512ELi2ELb0E19rocblas_complex_numIfEPKPKS1_S1_EviT5_lT_liPT6_PT4_,@function
_ZL24rocblas_dot_kernel_magsqIlLb0ELi512ELi2ELb0E19rocblas_complex_numIfEPKPKS1_S1_EviT5_lT_liPT6_PT4_: ; @_ZL24rocblas_dot_kernel_magsqIlLb0ELi512ELi2ELb0E19rocblas_complex_numIfEPKPKS1_S1_EviT5_lT_liPT6_PT4_
; %bb.0:
	s_clause 0x1
	s_load_b32 s10, s[0:1], 0x0
	s_load_b32 s3, s[0:1], 0x40
	v_lshl_or_b32 v3, s14, 9, v0
	v_dual_mov_b32 v1, 0 :: v_dual_mov_b32 v2, 0
	s_mov_b32 s8, s15
	s_mov_b32 s9, 0
	s_mov_b32 s2, exec_lo
	s_waitcnt lgkmcnt(0)
	v_cmpx_gt_i32_e64 s10, v3
	s_cbranch_execz .LBB224_4
; %bb.1:
	s_clause 0x1
	s_load_b64 s[12:13], s[0:1], 0x8
	s_load_b128 s[4:7], s[0:1], 0x10
	s_lshl_b64 s[16:17], s[8:9], 3
	v_ashrrev_i32_e32 v1, 31, v3
	s_waitcnt lgkmcnt(0)
	s_add_u32 s12, s12, s16
	s_addc_u32 s13, s13, s17
	v_mul_lo_u32 v4, v3, s7
	s_load_b64 s[12:13], s[12:13], 0x0
	v_mul_lo_u32 v5, v1, s6
	v_mad_u64_u32 v[1:2], null, v3, s6, 0
	s_lshl_b64 s[4:5], s[4:5], 3
	s_delay_alu instid0(VALU_DEP_1) | instskip(NEXT) | instid1(VALU_DEP_1)
	v_add3_u32 v2, v2, v4, v5
	v_lshlrev_b64 v[1:2], 3, v[1:2]
	s_waitcnt lgkmcnt(0)
	s_add_u32 s4, s12, s4
	s_addc_u32 s5, s13, s5
	s_delay_alu instid0(VALU_DEP_1) | instskip(NEXT) | instid1(VALU_DEP_2)
	v_add_co_u32 v1, vcc_lo, s4, v1
	v_add_co_ci_u32_e32 v2, vcc_lo, s5, v2, vcc_lo
	s_add_i32 s11, s14, s3
	s_delay_alu instid0(SALU_CYCLE_1)
	v_lshl_or_b32 v3, s11, 9, v0
	global_load_b64 v[1:2], v[1:2], off
	v_cmp_gt_i32_e32 vcc_lo, s10, v3
	s_waitcnt vmcnt(0)
	v_mul_f32_e32 v4, v2, v2
	v_mul_f32_e32 v2, v1, v2
	s_delay_alu instid0(VALU_DEP_2) | instskip(NEXT) | instid1(VALU_DEP_2)
	v_fma_f32 v1, v1, v1, -v4
	v_fma_f32 v2, v2, 2.0, 0
	s_and_saveexec_b32 s10, vcc_lo
	s_cbranch_execz .LBB224_3
; %bb.2:
	v_ashrrev_i32_e32 v6, 31, v3
	v_mul_lo_u32 v7, v3, s7
	v_mad_u64_u32 v[4:5], null, v3, s6, 0
	s_delay_alu instid0(VALU_DEP_3) | instskip(NEXT) | instid1(VALU_DEP_1)
	v_mul_lo_u32 v3, v6, s6
	v_add3_u32 v5, v5, v7, v3
	s_delay_alu instid0(VALU_DEP_1) | instskip(NEXT) | instid1(VALU_DEP_1)
	v_lshlrev_b64 v[3:4], 3, v[4:5]
	v_add_co_u32 v3, vcc_lo, s4, v3
	s_delay_alu instid0(VALU_DEP_2) | instskip(SKIP_4) | instid1(VALU_DEP_2)
	v_add_co_ci_u32_e32 v4, vcc_lo, s5, v4, vcc_lo
	global_load_b64 v[3:4], v[3:4], off
	s_waitcnt vmcnt(0)
	v_mul_f32_e32 v5, v4, v4
	v_mul_f32_e32 v4, v3, v4
	v_fma_f32 v3, v3, v3, -v5
	s_delay_alu instid0(VALU_DEP_1)
	v_dual_add_f32 v1, v1, v3 :: v_dual_fmac_f32 v2, 2.0, v4
.LBB224_3:
	s_or_b32 exec_lo, exec_lo, s10
.LBB224_4:
	s_delay_alu instid0(SALU_CYCLE_1) | instskip(SKIP_2) | instid1(VALU_DEP_2)
	s_or_b32 exec_lo, exec_lo, s2
	v_and_b32_e32 v8, 31, v0
	v_cmp_gt_u32_e32 vcc_lo, 32, v0
	v_lshlrev_b32_e32 v3, 3, v8
	s_and_saveexec_b32 s2, vcc_lo
	s_cbranch_execz .LBB224_6
; %bb.5:
	v_mov_b32_e32 v4, 0
	s_delay_alu instid0(VALU_DEP_1)
	v_mov_b32_e32 v5, v4
	ds_store_b64 v3, v[4:5]
.LBB224_6:
	s_or_b32 exec_lo, exec_lo, s2
	v_mbcnt_lo_u32_b32 v7, -1, 0
	s_mov_b32 s4, exec_lo
	s_waitcnt lgkmcnt(0)
	s_barrier
	buffer_gl0_inv
	v_cmp_gt_u32_e64 s2, 16, v7
	s_delay_alu instid0(VALU_DEP_1) | instskip(SKIP_1) | instid1(VALU_DEP_2)
	v_cndmask_b32_e64 v4, 0, 1, s2
	v_cmp_gt_u32_e64 s2, 24, v7
	v_lshlrev_b32_e32 v4, 4, v4
	s_delay_alu instid0(VALU_DEP_1)
	v_add_lshl_u32 v4, v4, v7, 2
	ds_bpermute_b32 v5, v4, v1
	ds_bpermute_b32 v6, v4, v2
	v_cndmask_b32_e64 v4, 0, 1, s2
	v_cmp_gt_u32_e64 s2, 28, v7
	s_waitcnt lgkmcnt(1)
	s_delay_alu instid0(VALU_DEP_2) | instskip(NEXT) | instid1(VALU_DEP_2)
	v_dual_add_f32 v1, v1, v5 :: v_dual_lshlrev_b32 v4, 3, v4
	v_cndmask_b32_e64 v5, 0, 1, s2
	s_waitcnt lgkmcnt(0)
	v_add_f32_e32 v2, v2, v6
	v_cmp_gt_u32_e64 s2, 30, v7
	v_add_lshl_u32 v4, v4, v7, 2
	v_lshlrev_b32_e32 v5, 2, v5
	ds_bpermute_b32 v6, v4, v1
	ds_bpermute_b32 v9, v4, v2
	v_add_lshl_u32 v5, v5, v7, 2
	s_waitcnt lgkmcnt(1)
	v_add_f32_e32 v1, v1, v6
	v_cndmask_b32_e64 v6, 0, 1, s2
	v_cmp_ne_u32_e64 s2, 31, v7
	s_delay_alu instid0(VALU_DEP_2) | instskip(NEXT) | instid1(VALU_DEP_1)
	v_lshlrev_b32_e32 v6, 1, v6
	v_add_lshl_u32 v6, v6, v7, 2
	s_delay_alu instid0(VALU_DEP_3)
	v_add_co_ci_u32_e64 v7, s2, 0, v7, s2
	s_waitcnt lgkmcnt(0)
	v_add_f32_e32 v2, v2, v9
	ds_bpermute_b32 v9, v5, v1
	v_lshlrev_b32_e32 v7, 2, v7
	ds_bpermute_b32 v10, v5, v2
	s_waitcnt lgkmcnt(1)
	v_add_f32_e32 v1, v1, v9
	ds_bpermute_b32 v9, v6, v1
	s_waitcnt lgkmcnt(0)
	v_dual_add_f32 v2, v2, v10 :: v_dual_add_f32 v1, v1, v9
	ds_bpermute_b32 v10, v6, v2
	ds_bpermute_b32 v9, v7, v1
	s_waitcnt lgkmcnt(1)
	v_add_f32_e32 v2, v2, v10
	ds_bpermute_b32 v10, v7, v2
	v_cmpx_eq_u32_e32 0, v8
	s_cbranch_execz .LBB224_8
; %bb.7:
	v_lshrrev_b32_e32 v8, 2, v0
	s_waitcnt lgkmcnt(0)
	v_dual_add_f32 v1, v1, v9 :: v_dual_add_f32 v2, v2, v10
	s_delay_alu instid0(VALU_DEP_2)
	v_and_b32_e32 v8, 0x78, v8
	ds_store_b64 v8, v[1:2]
.LBB224_8:
	s_or_b32 exec_lo, exec_lo, s4
	v_dual_mov_b32 v2, 0 :: v_dual_mov_b32 v1, 0
	s_mov_b32 s4, exec_lo
	s_waitcnt lgkmcnt(0)
	s_barrier
	buffer_gl0_inv
	v_cmpx_gt_u32_e32 16, v0
	s_cbranch_execz .LBB224_10
; %bb.9:
	ds_load_b64 v[1:2], v3
.LBB224_10:
	s_or_b32 exec_lo, exec_lo, s4
	s_and_saveexec_b32 s2, vcc_lo
	s_cbranch_execz .LBB224_12
; %bb.11:
	s_waitcnt lgkmcnt(0)
	ds_bpermute_b32 v3, v4, v1
	ds_bpermute_b32 v4, v4, v2
	s_waitcnt lgkmcnt(0)
	v_dual_add_f32 v1, v1, v3 :: v_dual_add_f32 v2, v2, v4
	ds_bpermute_b32 v3, v5, v1
	ds_bpermute_b32 v4, v5, v2
	s_waitcnt lgkmcnt(0)
	v_dual_add_f32 v1, v1, v3 :: v_dual_add_f32 v2, v2, v4
	ds_bpermute_b32 v3, v6, v1
	ds_bpermute_b32 v4, v6, v2
	s_waitcnt lgkmcnt(0)
	v_dual_add_f32 v1, v1, v3 :: v_dual_add_f32 v2, v2, v4
	ds_bpermute_b32 v3, v7, v1
	ds_bpermute_b32 v4, v7, v2
	s_waitcnt lgkmcnt(0)
	v_dual_add_f32 v1, v1, v3 :: v_dual_add_f32 v2, v2, v4
.LBB224_12:
	s_or_b32 exec_lo, exec_lo, s2
	s_delay_alu instid0(SALU_CYCLE_1)
	s_mov_b32 s2, exec_lo
	v_cmpx_eq_u32_e32 0, v0
	s_cbranch_execz .LBB224_18
; %bb.13:
	s_cmp_lg_u32 s3, 1
	s_cbranch_scc0 .LBB224_15
; %bb.14:
	s_load_b64 s[4:5], s[0:1], 0x30
	s_mul_hi_u32 s7, s3, s8
	s_mul_i32 s6, s3, s8
	s_mov_b32 s15, 0
	s_lshl_b64 s[2:3], s[6:7], 3
	s_waitcnt lgkmcnt(0)
	s_add_u32 s4, s4, s2
	s_addc_u32 s5, s5, s3
	s_lshl_b64 s[2:3], s[14:15], 3
	s_delay_alu instid0(SALU_CYCLE_1)
	s_add_u32 s2, s4, s2
	s_addc_u32 s3, s5, s3
	s_cbranch_execz .LBB224_16
	s_branch .LBB224_17
.LBB224_15:
                                        ; implicit-def: $sgpr2_sgpr3
.LBB224_16:
	s_load_b64 s[0:1], s[0:1], 0x38
	s_lshl_b64 s[2:3], s[8:9], 3
	s_waitcnt lgkmcnt(0)
	s_add_u32 s2, s0, s2
	s_addc_u32 s3, s1, s3
.LBB224_17:
	v_mov_b32_e32 v0, 0
	s_waitcnt lgkmcnt(0)
	global_store_b64 v0, v[1:2], s[2:3]
.LBB224_18:
	s_nop 0
	s_sendmsg sendmsg(MSG_DEALLOC_VGPRS)
	s_endpgm
	.section	.rodata,"a",@progbits
	.p2align	6, 0x0
	.amdhsa_kernel _ZL24rocblas_dot_kernel_magsqIlLb0ELi512ELi2ELb0E19rocblas_complex_numIfEPKPKS1_S1_EviT5_lT_liPT6_PT4_
		.amdhsa_group_segment_fixed_size 256
		.amdhsa_private_segment_fixed_size 0
		.amdhsa_kernarg_size 320
		.amdhsa_user_sgpr_count 14
		.amdhsa_user_sgpr_dispatch_ptr 0
		.amdhsa_user_sgpr_queue_ptr 0
		.amdhsa_user_sgpr_kernarg_segment_ptr 1
		.amdhsa_user_sgpr_dispatch_id 0
		.amdhsa_user_sgpr_private_segment_size 0
		.amdhsa_wavefront_size32 1
		.amdhsa_uses_dynamic_stack 0
		.amdhsa_enable_private_segment 0
		.amdhsa_system_sgpr_workgroup_id_x 1
		.amdhsa_system_sgpr_workgroup_id_y 0
		.amdhsa_system_sgpr_workgroup_id_z 1
		.amdhsa_system_sgpr_workgroup_info 0
		.amdhsa_system_vgpr_workitem_id 0
		.amdhsa_next_free_vgpr 11
		.amdhsa_next_free_sgpr 18
		.amdhsa_reserve_vcc 1
		.amdhsa_float_round_mode_32 0
		.amdhsa_float_round_mode_16_64 0
		.amdhsa_float_denorm_mode_32 3
		.amdhsa_float_denorm_mode_16_64 3
		.amdhsa_dx10_clamp 1
		.amdhsa_ieee_mode 1
		.amdhsa_fp16_overflow 0
		.amdhsa_workgroup_processor_mode 1
		.amdhsa_memory_ordered 1
		.amdhsa_forward_progress 0
		.amdhsa_shared_vgpr_count 0
		.amdhsa_exception_fp_ieee_invalid_op 0
		.amdhsa_exception_fp_denorm_src 0
		.amdhsa_exception_fp_ieee_div_zero 0
		.amdhsa_exception_fp_ieee_overflow 0
		.amdhsa_exception_fp_ieee_underflow 0
		.amdhsa_exception_fp_ieee_inexact 0
		.amdhsa_exception_int_div_zero 0
	.end_amdhsa_kernel
	.section	.text._ZL24rocblas_dot_kernel_magsqIlLb0ELi512ELi2ELb0E19rocblas_complex_numIfEPKPKS1_S1_EviT5_lT_liPT6_PT4_,"axG",@progbits,_ZL24rocblas_dot_kernel_magsqIlLb0ELi512ELi2ELb0E19rocblas_complex_numIfEPKPKS1_S1_EviT5_lT_liPT6_PT4_,comdat
.Lfunc_end224:
	.size	_ZL24rocblas_dot_kernel_magsqIlLb0ELi512ELi2ELb0E19rocblas_complex_numIfEPKPKS1_S1_EviT5_lT_liPT6_PT4_, .Lfunc_end224-_ZL24rocblas_dot_kernel_magsqIlLb0ELi512ELi2ELb0E19rocblas_complex_numIfEPKPKS1_S1_EviT5_lT_liPT6_PT4_
                                        ; -- End function
	.section	.AMDGPU.csdata,"",@progbits
; Kernel info:
; codeLenInByte = 1100
; NumSgprs: 20
; NumVgprs: 11
; ScratchSize: 0
; MemoryBound: 0
; FloatMode: 240
; IeeeMode: 1
; LDSByteSize: 256 bytes/workgroup (compile time only)
; SGPRBlocks: 2
; VGPRBlocks: 1
; NumSGPRsForWavesPerEU: 20
; NumVGPRsForWavesPerEU: 11
; Occupancy: 16
; WaveLimiterHint : 1
; COMPUTE_PGM_RSRC2:SCRATCH_EN: 0
; COMPUTE_PGM_RSRC2:USER_SGPR: 14
; COMPUTE_PGM_RSRC2:TRAP_HANDLER: 0
; COMPUTE_PGM_RSRC2:TGID_X_EN: 1
; COMPUTE_PGM_RSRC2:TGID_Y_EN: 0
; COMPUTE_PGM_RSRC2:TGID_Z_EN: 1
; COMPUTE_PGM_RSRC2:TIDIG_COMP_CNT: 0
	.section	.text._ZL28rocblas_dot_batched_4_kernelIiLi32ELi4ELb0E19rocblas_complex_numIdES1_PKPKS1_EviT5_lT_lS6_lS7_liPT4_,"axG",@progbits,_ZL28rocblas_dot_batched_4_kernelIiLi32ELi4ELb0E19rocblas_complex_numIdES1_PKPKS1_EviT5_lT_lS6_lS7_liPT4_,comdat
	.globl	_ZL28rocblas_dot_batched_4_kernelIiLi32ELi4ELb0E19rocblas_complex_numIdES1_PKPKS1_EviT5_lT_lS6_lS7_liPT4_ ; -- Begin function _ZL28rocblas_dot_batched_4_kernelIiLi32ELi4ELb0E19rocblas_complex_numIdES1_PKPKS1_EviT5_lT_lS6_lS7_liPT4_
	.p2align	8
	.type	_ZL28rocblas_dot_batched_4_kernelIiLi32ELi4ELb0E19rocblas_complex_numIdES1_PKPKS1_EviT5_lT_lS6_lS7_liPT4_,@function
_ZL28rocblas_dot_batched_4_kernelIiLi32ELi4ELb0E19rocblas_complex_numIdES1_PKPKS1_EviT5_lT_lS6_lS7_liPT4_: ; @_ZL28rocblas_dot_batched_4_kernelIiLi32ELi4ELb0E19rocblas_complex_numIdES1_PKPKS1_EviT5_lT_lS6_lS7_liPT4_
; %bb.0:
	s_load_b32 s2, s[0:1], 0x48
	v_bfe_u32 v1, v0, 10, 10
	s_delay_alu instid0(VALU_DEP_1) | instskip(SKIP_1) | instid1(VALU_DEP_1)
	v_lshl_add_u32 v1, s15, 2, v1
	s_waitcnt lgkmcnt(0)
	v_cmp_gt_u32_e32 vcc_lo, s2, v1
	s_and_saveexec_b32 s2, vcc_lo
	s_cbranch_execz .LBB225_7
; %bb.1:
	s_clause 0x1
	s_load_b32 s12, s[0:1], 0x0
	s_load_b64 s[2:3], s[0:1], 0x50
	v_dual_mov_b32 v3, 0 :: v_dual_and_b32 v0, 0x3ff, v0
	v_mov_b32_e32 v4, 0
	v_mov_b32_e32 v2, 0
	s_mov_b32 s13, exec_lo
	s_delay_alu instid0(VALU_DEP_2)
	v_dual_mov_b32 v6, v4 :: v_dual_mov_b32 v5, v3
	s_waitcnt lgkmcnt(0)
	v_cmpx_gt_i32_e64 s12, v0
	s_cbranch_execz .LBB225_5
; %bb.2:
	s_clause 0x1
	s_load_b128 s[8:11], s[0:1], 0x28
	s_load_b128 s[4:7], s[0:1], 0x8
	v_lshlrev_b64 v[3:4], 3, v[1:2]
	s_clause 0x1
	s_load_b32 s14, s[0:1], 0x18
	s_load_b32 s0, s[0:1], 0x38
	v_mov_b32_e32 v11, v0
	s_waitcnt lgkmcnt(0)
	v_add_co_u32 v5, vcc_lo, s8, v3
	v_add_co_ci_u32_e32 v6, vcc_lo, s9, v4, vcc_lo
	v_add_co_u32 v3, vcc_lo, s4, v3
	v_add_co_ci_u32_e32 v4, vcc_lo, s5, v4, vcc_lo
	global_load_b64 v[5:6], v[5:6], off
	global_load_b64 v[7:8], v[3:4], off
	v_mad_i64_i32 v[9:10], null, s0, v0, 0
	v_mad_i64_i32 v[12:13], null, s14, v0, 0
	s_lshl_b64 s[4:5], s[10:11], 4
	s_lshl_b64 s[6:7], s[6:7], 4
	v_mov_b32_e32 v3, 0
	v_mov_b32_e32 v4, 0
	s_delay_alu instid0(VALU_DEP_4) | instskip(SKIP_1) | instid1(VALU_DEP_4)
	v_lshlrev_b64 v[9:10], 4, v[9:10]
	s_ashr_i32 s15, s14, 31
	v_lshlrev_b64 v[12:13], 4, v[12:13]
	s_ashr_i32 s1, s0, 31
	s_delay_alu instid0(VALU_DEP_2) | instskip(NEXT) | instid1(VALU_DEP_3)
	v_add_co_u32 v9, vcc_lo, v9, s4
	v_add_co_ci_u32_e32 v10, vcc_lo, s5, v10, vcc_lo
	s_delay_alu instid0(VALU_DEP_3) | instskip(NEXT) | instid1(VALU_DEP_4)
	v_add_co_u32 v12, vcc_lo, v12, s6
	v_add_co_ci_u32_e32 v13, vcc_lo, s7, v13, vcc_lo
	s_lshl_b64 s[4:5], s[0:1], 9
	s_lshl_b64 s[6:7], s[14:15], 9
	s_mov_b32 s1, 0
	s_waitcnt vmcnt(1)
	v_add_co_u32 v5, vcc_lo, v9, v5
	v_add_co_ci_u32_e32 v6, vcc_lo, v10, v6, vcc_lo
	s_waitcnt vmcnt(0)
	v_add_co_u32 v9, vcc_lo, v12, v7
	v_add_co_ci_u32_e32 v10, vcc_lo, v13, v8, vcc_lo
	v_add_co_u32 v7, vcc_lo, v5, 8
	v_add_co_ci_u32_e32 v8, vcc_lo, 0, v6, vcc_lo
	s_delay_alu instid0(VALU_DEP_4) | instskip(NEXT) | instid1(VALU_DEP_4)
	v_add_co_u32 v9, vcc_lo, v9, 8
	v_add_co_ci_u32_e32 v10, vcc_lo, 0, v10, vcc_lo
	v_dual_mov_b32 v6, v4 :: v_dual_mov_b32 v5, v3
	.p2align	6
.LBB225_3:                              ; =>This Inner Loop Header: Depth=1
	global_load_b128 v[12:15], v[9:10], off offset:-8
	global_load_b128 v[16:19], v[7:8], off offset:-8
	v_add_nc_u32_e32 v11, 32, v11
	v_add_co_u32 v7, vcc_lo, v7, s4
	v_add_co_ci_u32_e32 v8, vcc_lo, s5, v8, vcc_lo
	s_delay_alu instid0(VALU_DEP_3) | instskip(SKIP_1) | instid1(VALU_DEP_1)
	v_cmp_le_i32_e32 vcc_lo, s12, v11
	v_add_co_u32 v9, s0, v9, s6
	v_add_co_ci_u32_e64 v10, s0, s7, v10, s0
	s_or_b32 s1, vcc_lo, s1
	s_waitcnt vmcnt(0)
	v_mul_f64 v[20:21], v[14:15], v[18:19]
	v_mul_f64 v[18:19], v[12:13], v[18:19]
	s_delay_alu instid0(VALU_DEP_2) | instskip(NEXT) | instid1(VALU_DEP_2)
	v_fma_f64 v[12:13], v[12:13], v[16:17], -v[20:21]
	v_fma_f64 v[14:15], v[14:15], v[16:17], v[18:19]
	s_delay_alu instid0(VALU_DEP_2) | instskip(NEXT) | instid1(VALU_DEP_2)
	v_add_f64 v[3:4], v[3:4], v[12:13]
	v_add_f64 v[5:6], v[5:6], v[14:15]
	s_and_not1_b32 exec_lo, exec_lo, s1
	s_cbranch_execnz .LBB225_3
; %bb.4:
	s_or_b32 exec_lo, exec_lo, s1
.LBB225_5:
	s_delay_alu instid0(SALU_CYCLE_1)
	s_or_b32 exec_lo, exec_lo, s13
	v_mbcnt_lo_u32_b32 v11, -1, 0
	s_barrier
	buffer_gl0_inv
	v_cmp_gt_u32_e32 vcc_lo, 16, v11
	v_cndmask_b32_e64 v7, 0, 1, vcc_lo
	v_cmp_gt_u32_e32 vcc_lo, 24, v11
	s_delay_alu instid0(VALU_DEP_2) | instskip(NEXT) | instid1(VALU_DEP_1)
	v_lshlrev_b32_e32 v7, 4, v7
	v_add_lshl_u32 v10, v7, v11, 2
	ds_bpermute_b32 v7, v10, v3
	ds_bpermute_b32 v8, v10, v4
	;; [unrolled: 1-line block ×4, first 2 shown]
	s_waitcnt lgkmcnt(2)
	v_add_f64 v[3:4], v[3:4], v[7:8]
	v_cndmask_b32_e64 v7, 0, 1, vcc_lo
	s_waitcnt lgkmcnt(0)
	v_add_f64 v[5:6], v[5:6], v[9:10]
	v_cmp_gt_u32_e32 vcc_lo, 28, v11
	s_delay_alu instid0(VALU_DEP_3) | instskip(NEXT) | instid1(VALU_DEP_1)
	v_lshlrev_b32_e32 v7, 3, v7
	v_add_lshl_u32 v10, v7, v11, 2
	ds_bpermute_b32 v7, v10, v3
	ds_bpermute_b32 v8, v10, v4
	;; [unrolled: 1-line block ×4, first 2 shown]
	s_waitcnt lgkmcnt(2)
	v_add_f64 v[3:4], v[3:4], v[7:8]
	v_cndmask_b32_e64 v7, 0, 1, vcc_lo
	s_waitcnt lgkmcnt(0)
	v_add_f64 v[5:6], v[5:6], v[9:10]
	v_cmp_gt_u32_e32 vcc_lo, 30, v11
	s_delay_alu instid0(VALU_DEP_3) | instskip(NEXT) | instid1(VALU_DEP_1)
	v_lshlrev_b32_e32 v7, 2, v7
	v_add_lshl_u32 v10, v7, v11, 2
	ds_bpermute_b32 v7, v10, v3
	ds_bpermute_b32 v8, v10, v4
	;; [unrolled: 1-line block ×4, first 2 shown]
	s_waitcnt lgkmcnt(2)
	v_add_f64 v[3:4], v[3:4], v[7:8]
	v_cndmask_b32_e64 v7, 0, 1, vcc_lo
	s_waitcnt lgkmcnt(0)
	v_add_f64 v[5:6], v[5:6], v[9:10]
	v_cmp_ne_u32_e32 vcc_lo, 31, v11
	s_delay_alu instid0(VALU_DEP_3) | instskip(NEXT) | instid1(VALU_DEP_1)
	v_lshlrev_b32_e32 v7, 1, v7
	v_add_lshl_u32 v10, v7, v11, 2
	ds_bpermute_b32 v7, v10, v3
	ds_bpermute_b32 v8, v10, v4
	;; [unrolled: 1-line block ×4, first 2 shown]
	s_waitcnt lgkmcnt(2)
	v_add_f64 v[3:4], v[3:4], v[7:8]
	s_waitcnt lgkmcnt(0)
	v_add_f64 v[7:8], v[5:6], v[9:10]
	v_add_co_ci_u32_e32 v5, vcc_lo, 0, v11, vcc_lo
	v_cmp_eq_u32_e32 vcc_lo, 0, v0
	s_delay_alu instid0(VALU_DEP_2)
	v_lshlrev_b32_e32 v10, 2, v5
	ds_bpermute_b32 v5, v10, v3
	ds_bpermute_b32 v6, v10, v4
	;; [unrolled: 1-line block ×4, first 2 shown]
	s_and_b32 exec_lo, exec_lo, vcc_lo
	s_cbranch_execz .LBB225_7
; %bb.6:
	s_waitcnt lgkmcnt(0)
	v_add_f64 v[7:8], v[7:8], v[9:10]
	v_add_f64 v[5:6], v[3:4], v[5:6]
	v_lshlrev_b64 v[0:1], 4, v[1:2]
	s_delay_alu instid0(VALU_DEP_1) | instskip(NEXT) | instid1(VALU_DEP_2)
	v_add_co_u32 v0, vcc_lo, s2, v0
	v_add_co_ci_u32_e32 v1, vcc_lo, s3, v1, vcc_lo
	global_store_b128 v[0:1], v[5:8], off
.LBB225_7:
	s_nop 0
	s_sendmsg sendmsg(MSG_DEALLOC_VGPRS)
	s_endpgm
	.section	.rodata,"a",@progbits
	.p2align	6, 0x0
	.amdhsa_kernel _ZL28rocblas_dot_batched_4_kernelIiLi32ELi4ELb0E19rocblas_complex_numIdES1_PKPKS1_EviT5_lT_lS6_lS7_liPT4_
		.amdhsa_group_segment_fixed_size 0
		.amdhsa_private_segment_fixed_size 0
		.amdhsa_kernarg_size 88
		.amdhsa_user_sgpr_count 15
		.amdhsa_user_sgpr_dispatch_ptr 0
		.amdhsa_user_sgpr_queue_ptr 0
		.amdhsa_user_sgpr_kernarg_segment_ptr 1
		.amdhsa_user_sgpr_dispatch_id 0
		.amdhsa_user_sgpr_private_segment_size 0
		.amdhsa_wavefront_size32 1
		.amdhsa_uses_dynamic_stack 0
		.amdhsa_enable_private_segment 0
		.amdhsa_system_sgpr_workgroup_id_x 1
		.amdhsa_system_sgpr_workgroup_id_y 0
		.amdhsa_system_sgpr_workgroup_id_z 0
		.amdhsa_system_sgpr_workgroup_info 0
		.amdhsa_system_vgpr_workitem_id 1
		.amdhsa_next_free_vgpr 22
		.amdhsa_next_free_sgpr 16
		.amdhsa_reserve_vcc 1
		.amdhsa_float_round_mode_32 0
		.amdhsa_float_round_mode_16_64 0
		.amdhsa_float_denorm_mode_32 3
		.amdhsa_float_denorm_mode_16_64 3
		.amdhsa_dx10_clamp 1
		.amdhsa_ieee_mode 1
		.amdhsa_fp16_overflow 0
		.amdhsa_workgroup_processor_mode 1
		.amdhsa_memory_ordered 1
		.amdhsa_forward_progress 0
		.amdhsa_shared_vgpr_count 0
		.amdhsa_exception_fp_ieee_invalid_op 0
		.amdhsa_exception_fp_denorm_src 0
		.amdhsa_exception_fp_ieee_div_zero 0
		.amdhsa_exception_fp_ieee_overflow 0
		.amdhsa_exception_fp_ieee_underflow 0
		.amdhsa_exception_fp_ieee_inexact 0
		.amdhsa_exception_int_div_zero 0
	.end_amdhsa_kernel
	.section	.text._ZL28rocblas_dot_batched_4_kernelIiLi32ELi4ELb0E19rocblas_complex_numIdES1_PKPKS1_EviT5_lT_lS6_lS7_liPT4_,"axG",@progbits,_ZL28rocblas_dot_batched_4_kernelIiLi32ELi4ELb0E19rocblas_complex_numIdES1_PKPKS1_EviT5_lT_lS6_lS7_liPT4_,comdat
.Lfunc_end225:
	.size	_ZL28rocblas_dot_batched_4_kernelIiLi32ELi4ELb0E19rocblas_complex_numIdES1_PKPKS1_EviT5_lT_lS6_lS7_liPT4_, .Lfunc_end225-_ZL28rocblas_dot_batched_4_kernelIiLi32ELi4ELb0E19rocblas_complex_numIdES1_PKPKS1_EviT5_lT_lS6_lS7_liPT4_
                                        ; -- End function
	.section	.AMDGPU.csdata,"",@progbits
; Kernel info:
; codeLenInByte = 1004
; NumSgprs: 18
; NumVgprs: 22
; ScratchSize: 0
; MemoryBound: 0
; FloatMode: 240
; IeeeMode: 1
; LDSByteSize: 0 bytes/workgroup (compile time only)
; SGPRBlocks: 2
; VGPRBlocks: 2
; NumSGPRsForWavesPerEU: 18
; NumVGPRsForWavesPerEU: 22
; Occupancy: 16
; WaveLimiterHint : 0
; COMPUTE_PGM_RSRC2:SCRATCH_EN: 0
; COMPUTE_PGM_RSRC2:USER_SGPR: 15
; COMPUTE_PGM_RSRC2:TRAP_HANDLER: 0
; COMPUTE_PGM_RSRC2:TGID_X_EN: 1
; COMPUTE_PGM_RSRC2:TGID_Y_EN: 0
; COMPUTE_PGM_RSRC2:TGID_Z_EN: 0
; COMPUTE_PGM_RSRC2:TIDIG_COMP_CNT: 1
	.section	.text._ZL28rocblas_dot_batched_4_kernelIiLi64ELi4ELb0E19rocblas_complex_numIdES1_PKPKS1_EviT5_lT_lS6_lS7_liPT4_,"axG",@progbits,_ZL28rocblas_dot_batched_4_kernelIiLi64ELi4ELb0E19rocblas_complex_numIdES1_PKPKS1_EviT5_lT_lS6_lS7_liPT4_,comdat
	.globl	_ZL28rocblas_dot_batched_4_kernelIiLi64ELi4ELb0E19rocblas_complex_numIdES1_PKPKS1_EviT5_lT_lS6_lS7_liPT4_ ; -- Begin function _ZL28rocblas_dot_batched_4_kernelIiLi64ELi4ELb0E19rocblas_complex_numIdES1_PKPKS1_EviT5_lT_lS6_lS7_liPT4_
	.p2align	8
	.type	_ZL28rocblas_dot_batched_4_kernelIiLi64ELi4ELb0E19rocblas_complex_numIdES1_PKPKS1_EviT5_lT_lS6_lS7_liPT4_,@function
_ZL28rocblas_dot_batched_4_kernelIiLi64ELi4ELb0E19rocblas_complex_numIdES1_PKPKS1_EviT5_lT_lS6_lS7_liPT4_: ; @_ZL28rocblas_dot_batched_4_kernelIiLi64ELi4ELb0E19rocblas_complex_numIdES1_PKPKS1_EviT5_lT_lS6_lS7_liPT4_
; %bb.0:
	s_load_b32 s2, s[0:1], 0x48
	v_bfe_u32 v1, v0, 10, 10
	s_delay_alu instid0(VALU_DEP_1) | instskip(SKIP_1) | instid1(VALU_DEP_1)
	v_lshl_add_u32 v1, s15, 2, v1
	s_waitcnt lgkmcnt(0)
	v_cmp_gt_u32_e32 vcc_lo, s2, v1
	s_and_saveexec_b32 s2, vcc_lo
	s_cbranch_execz .LBB226_7
; %bb.1:
	s_clause 0x1
	s_load_b32 s12, s[0:1], 0x0
	s_load_b64 s[2:3], s[0:1], 0x50
	v_dual_mov_b32 v3, 0 :: v_dual_and_b32 v0, 0x3ff, v0
	v_mov_b32_e32 v4, 0
	v_mov_b32_e32 v2, 0
	s_mov_b32 s13, exec_lo
	s_delay_alu instid0(VALU_DEP_2)
	v_dual_mov_b32 v6, v4 :: v_dual_mov_b32 v5, v3
	s_waitcnt lgkmcnt(0)
	v_cmpx_gt_i32_e64 s12, v0
	s_cbranch_execz .LBB226_5
; %bb.2:
	s_clause 0x1
	s_load_b128 s[8:11], s[0:1], 0x28
	s_load_b128 s[4:7], s[0:1], 0x8
	v_lshlrev_b64 v[3:4], 3, v[1:2]
	s_clause 0x1
	s_load_b32 s14, s[0:1], 0x18
	s_load_b32 s0, s[0:1], 0x38
	v_mov_b32_e32 v11, v0
	s_waitcnt lgkmcnt(0)
	v_add_co_u32 v5, vcc_lo, s8, v3
	v_add_co_ci_u32_e32 v6, vcc_lo, s9, v4, vcc_lo
	v_add_co_u32 v3, vcc_lo, s4, v3
	v_add_co_ci_u32_e32 v4, vcc_lo, s5, v4, vcc_lo
	global_load_b64 v[5:6], v[5:6], off
	global_load_b64 v[7:8], v[3:4], off
	v_mad_i64_i32 v[9:10], null, s0, v0, 0
	v_mad_i64_i32 v[12:13], null, s14, v0, 0
	s_lshl_b64 s[4:5], s[10:11], 4
	s_lshl_b64 s[6:7], s[6:7], 4
	v_mov_b32_e32 v3, 0
	v_mov_b32_e32 v4, 0
	s_delay_alu instid0(VALU_DEP_4) | instskip(SKIP_1) | instid1(VALU_DEP_4)
	v_lshlrev_b64 v[9:10], 4, v[9:10]
	s_ashr_i32 s15, s14, 31
	v_lshlrev_b64 v[12:13], 4, v[12:13]
	s_ashr_i32 s1, s0, 31
	s_delay_alu instid0(VALU_DEP_2) | instskip(NEXT) | instid1(VALU_DEP_3)
	v_add_co_u32 v9, vcc_lo, v9, s4
	v_add_co_ci_u32_e32 v10, vcc_lo, s5, v10, vcc_lo
	s_delay_alu instid0(VALU_DEP_3) | instskip(NEXT) | instid1(VALU_DEP_4)
	v_add_co_u32 v12, vcc_lo, v12, s6
	v_add_co_ci_u32_e32 v13, vcc_lo, s7, v13, vcc_lo
	s_lshl_b64 s[4:5], s[0:1], 10
	s_lshl_b64 s[6:7], s[14:15], 10
	s_mov_b32 s1, 0
	s_waitcnt vmcnt(1)
	v_add_co_u32 v5, vcc_lo, v9, v5
	v_add_co_ci_u32_e32 v6, vcc_lo, v10, v6, vcc_lo
	s_waitcnt vmcnt(0)
	v_add_co_u32 v9, vcc_lo, v12, v7
	v_add_co_ci_u32_e32 v10, vcc_lo, v13, v8, vcc_lo
	v_add_co_u32 v7, vcc_lo, v5, 8
	v_add_co_ci_u32_e32 v8, vcc_lo, 0, v6, vcc_lo
	s_delay_alu instid0(VALU_DEP_4) | instskip(NEXT) | instid1(VALU_DEP_4)
	v_add_co_u32 v9, vcc_lo, v9, 8
	v_add_co_ci_u32_e32 v10, vcc_lo, 0, v10, vcc_lo
	v_dual_mov_b32 v6, v4 :: v_dual_mov_b32 v5, v3
	.p2align	6
.LBB226_3:                              ; =>This Inner Loop Header: Depth=1
	global_load_b128 v[12:15], v[9:10], off offset:-8
	global_load_b128 v[16:19], v[7:8], off offset:-8
	v_add_nc_u32_e32 v11, 64, v11
	v_add_co_u32 v7, vcc_lo, v7, s4
	v_add_co_ci_u32_e32 v8, vcc_lo, s5, v8, vcc_lo
	s_delay_alu instid0(VALU_DEP_3) | instskip(SKIP_1) | instid1(VALU_DEP_1)
	v_cmp_le_i32_e32 vcc_lo, s12, v11
	v_add_co_u32 v9, s0, v9, s6
	v_add_co_ci_u32_e64 v10, s0, s7, v10, s0
	s_or_b32 s1, vcc_lo, s1
	s_waitcnt vmcnt(0)
	v_mul_f64 v[20:21], v[14:15], v[18:19]
	v_mul_f64 v[18:19], v[12:13], v[18:19]
	s_delay_alu instid0(VALU_DEP_2) | instskip(NEXT) | instid1(VALU_DEP_2)
	v_fma_f64 v[12:13], v[12:13], v[16:17], -v[20:21]
	v_fma_f64 v[14:15], v[14:15], v[16:17], v[18:19]
	s_delay_alu instid0(VALU_DEP_2) | instskip(NEXT) | instid1(VALU_DEP_2)
	v_add_f64 v[3:4], v[3:4], v[12:13]
	v_add_f64 v[5:6], v[5:6], v[14:15]
	s_and_not1_b32 exec_lo, exec_lo, s1
	s_cbranch_execnz .LBB226_3
; %bb.4:
	s_or_b32 exec_lo, exec_lo, s1
.LBB226_5:
	s_delay_alu instid0(SALU_CYCLE_1)
	s_or_b32 exec_lo, exec_lo, s13
	v_mbcnt_lo_u32_b32 v11, -1, 0
	s_barrier
	buffer_gl0_inv
	v_lshlrev_b32_e32 v10, 2, v11
	v_cmp_gt_u32_e32 vcc_lo, 16, v11
	ds_bpermute_b32 v7, v10, v3
	ds_bpermute_b32 v8, v10, v4
	ds_bpermute_b32 v9, v10, v5
	ds_bpermute_b32 v10, v10, v6
	s_waitcnt lgkmcnt(2)
	v_add_f64 v[3:4], v[3:4], v[7:8]
	v_cndmask_b32_e64 v7, 0, 1, vcc_lo
	s_waitcnt lgkmcnt(0)
	v_add_f64 v[5:6], v[5:6], v[9:10]
	v_cmp_gt_u32_e32 vcc_lo, 24, v11
	s_delay_alu instid0(VALU_DEP_3) | instskip(NEXT) | instid1(VALU_DEP_1)
	v_lshlrev_b32_e32 v7, 4, v7
	v_add_lshl_u32 v10, v7, v11, 2
	ds_bpermute_b32 v7, v10, v3
	ds_bpermute_b32 v8, v10, v4
	ds_bpermute_b32 v9, v10, v5
	ds_bpermute_b32 v10, v10, v6
	s_waitcnt lgkmcnt(2)
	v_add_f64 v[3:4], v[3:4], v[7:8]
	v_cndmask_b32_e64 v7, 0, 1, vcc_lo
	s_waitcnt lgkmcnt(0)
	v_add_f64 v[5:6], v[5:6], v[9:10]
	v_cmp_gt_u32_e32 vcc_lo, 28, v11
	s_delay_alu instid0(VALU_DEP_3) | instskip(NEXT) | instid1(VALU_DEP_1)
	v_lshlrev_b32_e32 v7, 3, v7
	v_add_lshl_u32 v10, v7, v11, 2
	;; [unrolled: 13-line block ×3, first 2 shown]
	ds_bpermute_b32 v7, v10, v3
	ds_bpermute_b32 v8, v10, v4
	;; [unrolled: 1-line block ×4, first 2 shown]
	s_waitcnt lgkmcnt(2)
	v_add_f64 v[3:4], v[3:4], v[7:8]
	v_cndmask_b32_e64 v7, 0, 1, vcc_lo
	s_waitcnt lgkmcnt(0)
	v_add_f64 v[5:6], v[5:6], v[9:10]
	v_cmp_ne_u32_e32 vcc_lo, 31, v11
	s_delay_alu instid0(VALU_DEP_3) | instskip(NEXT) | instid1(VALU_DEP_1)
	v_lshlrev_b32_e32 v7, 1, v7
	v_add_lshl_u32 v10, v7, v11, 2
	ds_bpermute_b32 v7, v10, v3
	ds_bpermute_b32 v8, v10, v4
	;; [unrolled: 1-line block ×4, first 2 shown]
	s_waitcnt lgkmcnt(2)
	v_add_f64 v[3:4], v[3:4], v[7:8]
	s_waitcnt lgkmcnt(0)
	v_add_f64 v[7:8], v[5:6], v[9:10]
	v_add_co_ci_u32_e32 v5, vcc_lo, 0, v11, vcc_lo
	v_cmp_eq_u32_e32 vcc_lo, 0, v0
	s_delay_alu instid0(VALU_DEP_2)
	v_lshlrev_b32_e32 v10, 2, v5
	ds_bpermute_b32 v5, v10, v3
	ds_bpermute_b32 v6, v10, v4
	;; [unrolled: 1-line block ×4, first 2 shown]
	s_and_b32 exec_lo, exec_lo, vcc_lo
	s_cbranch_execz .LBB226_7
; %bb.6:
	s_waitcnt lgkmcnt(0)
	v_add_f64 v[7:8], v[7:8], v[9:10]
	v_add_f64 v[5:6], v[3:4], v[5:6]
	v_lshlrev_b64 v[0:1], 4, v[1:2]
	s_delay_alu instid0(VALU_DEP_1) | instskip(NEXT) | instid1(VALU_DEP_2)
	v_add_co_u32 v0, vcc_lo, s2, v0
	v_add_co_ci_u32_e32 v1, vcc_lo, s3, v1, vcc_lo
	global_store_b128 v[0:1], v[5:8], off
.LBB226_7:
	s_nop 0
	s_sendmsg sendmsg(MSG_DEALLOC_VGPRS)
	s_endpgm
	.section	.rodata,"a",@progbits
	.p2align	6, 0x0
	.amdhsa_kernel _ZL28rocblas_dot_batched_4_kernelIiLi64ELi4ELb0E19rocblas_complex_numIdES1_PKPKS1_EviT5_lT_lS6_lS7_liPT4_
		.amdhsa_group_segment_fixed_size 0
		.amdhsa_private_segment_fixed_size 0
		.amdhsa_kernarg_size 88
		.amdhsa_user_sgpr_count 15
		.amdhsa_user_sgpr_dispatch_ptr 0
		.amdhsa_user_sgpr_queue_ptr 0
		.amdhsa_user_sgpr_kernarg_segment_ptr 1
		.amdhsa_user_sgpr_dispatch_id 0
		.amdhsa_user_sgpr_private_segment_size 0
		.amdhsa_wavefront_size32 1
		.amdhsa_uses_dynamic_stack 0
		.amdhsa_enable_private_segment 0
		.amdhsa_system_sgpr_workgroup_id_x 1
		.amdhsa_system_sgpr_workgroup_id_y 0
		.amdhsa_system_sgpr_workgroup_id_z 0
		.amdhsa_system_sgpr_workgroup_info 0
		.amdhsa_system_vgpr_workitem_id 1
		.amdhsa_next_free_vgpr 22
		.amdhsa_next_free_sgpr 16
		.amdhsa_reserve_vcc 1
		.amdhsa_float_round_mode_32 0
		.amdhsa_float_round_mode_16_64 0
		.amdhsa_float_denorm_mode_32 3
		.amdhsa_float_denorm_mode_16_64 3
		.amdhsa_dx10_clamp 1
		.amdhsa_ieee_mode 1
		.amdhsa_fp16_overflow 0
		.amdhsa_workgroup_processor_mode 1
		.amdhsa_memory_ordered 1
		.amdhsa_forward_progress 0
		.amdhsa_shared_vgpr_count 0
		.amdhsa_exception_fp_ieee_invalid_op 0
		.amdhsa_exception_fp_denorm_src 0
		.amdhsa_exception_fp_ieee_div_zero 0
		.amdhsa_exception_fp_ieee_overflow 0
		.amdhsa_exception_fp_ieee_underflow 0
		.amdhsa_exception_fp_ieee_inexact 0
		.amdhsa_exception_int_div_zero 0
	.end_amdhsa_kernel
	.section	.text._ZL28rocblas_dot_batched_4_kernelIiLi64ELi4ELb0E19rocblas_complex_numIdES1_PKPKS1_EviT5_lT_lS6_lS7_liPT4_,"axG",@progbits,_ZL28rocblas_dot_batched_4_kernelIiLi64ELi4ELb0E19rocblas_complex_numIdES1_PKPKS1_EviT5_lT_lS6_lS7_liPT4_,comdat
.Lfunc_end226:
	.size	_ZL28rocblas_dot_batched_4_kernelIiLi64ELi4ELb0E19rocblas_complex_numIdES1_PKPKS1_EviT5_lT_lS6_lS7_liPT4_, .Lfunc_end226-_ZL28rocblas_dot_batched_4_kernelIiLi64ELi4ELb0E19rocblas_complex_numIdES1_PKPKS1_EviT5_lT_lS6_lS7_liPT4_
                                        ; -- End function
	.section	.AMDGPU.csdata,"",@progbits
; Kernel info:
; codeLenInByte = 1064
; NumSgprs: 18
; NumVgprs: 22
; ScratchSize: 0
; MemoryBound: 0
; FloatMode: 240
; IeeeMode: 1
; LDSByteSize: 0 bytes/workgroup (compile time only)
; SGPRBlocks: 2
; VGPRBlocks: 2
; NumSGPRsForWavesPerEU: 18
; NumVGPRsForWavesPerEU: 22
; Occupancy: 16
; WaveLimiterHint : 0
; COMPUTE_PGM_RSRC2:SCRATCH_EN: 0
; COMPUTE_PGM_RSRC2:USER_SGPR: 15
; COMPUTE_PGM_RSRC2:TRAP_HANDLER: 0
; COMPUTE_PGM_RSRC2:TGID_X_EN: 1
; COMPUTE_PGM_RSRC2:TGID_Y_EN: 0
; COMPUTE_PGM_RSRC2:TGID_Z_EN: 0
; COMPUTE_PGM_RSRC2:TIDIG_COMP_CNT: 1
	.section	.text._ZL26rocblas_dot_kernel_inc1by2ILb1ELi1024ELi32ELb0E19rocblas_complex_numIdEPKPKS1_S1_EviT4_llS6_lliPT5_PT3_,"axG",@progbits,_ZL26rocblas_dot_kernel_inc1by2ILb1ELi1024ELi32ELb0E19rocblas_complex_numIdEPKPKS1_S1_EviT4_llS6_lliPT5_PT3_,comdat
	.globl	_ZL26rocblas_dot_kernel_inc1by2ILb1ELi1024ELi32ELb0E19rocblas_complex_numIdEPKPKS1_S1_EviT4_llS6_lliPT5_PT3_ ; -- Begin function _ZL26rocblas_dot_kernel_inc1by2ILb1ELi1024ELi32ELb0E19rocblas_complex_numIdEPKPKS1_S1_EviT4_llS6_lliPT5_PT3_
	.p2align	8
	.type	_ZL26rocblas_dot_kernel_inc1by2ILb1ELi1024ELi32ELb0E19rocblas_complex_numIdEPKPKS1_S1_EviT4_llS6_lliPT5_PT3_,@function
_ZL26rocblas_dot_kernel_inc1by2ILb1ELi1024ELi32ELb0E19rocblas_complex_numIdEPKPKS1_S1_EviT4_llS6_lliPT5_PT3_: ; @_ZL26rocblas_dot_kernel_inc1by2ILb1ELi1024ELi32ELb0E19rocblas_complex_numIdEPKPKS1_S1_EviT4_llS6_lliPT5_PT3_
; %bb.0:
	s_clause 0x1
	s_load_b32 s6, s[0:1], 0x0
	s_load_b64 s[2:3], s[0:1], 0x48
	v_mov_b32_e32 v1, 0
	v_mov_b32_e32 v2, 0
	s_mov_b32 s4, s15
	s_mov_b32 s5, 0
	s_mov_b32 s7, exec_lo
	s_delay_alu instid0(VALU_DEP_1)
	v_dual_mov_b32 v4, v2 :: v_dual_mov_b32 v3, v1
	s_waitcnt lgkmcnt(0)
	v_cmpx_gt_i32_e64 s6, v0
	s_cbranch_execz .LBB227_4
; %bb.1:
	s_clause 0x1
	s_load_b128 s[8:11], s[0:1], 0x8
	s_load_b128 s[12:15], s[0:1], 0x20
	s_lshl_b64 s[0:1], s[4:5], 3
	v_lshlrev_b32_e32 v3, 4, v0
	v_mov_b32_e32 v1, 0
	v_mov_b32_e32 v2, 0
	v_or_b32_e32 v9, 0x400, v0
	s_waitcnt lgkmcnt(0)
	s_add_u32 s8, s8, s0
	s_addc_u32 s9, s9, s1
	s_add_u32 s0, s12, s0
	s_addc_u32 s1, s13, s1
	s_lshl_b64 s[12:13], s[14:15], 4
	s_load_b64 s[0:1], s[0:1], 0x0
	s_load_b64 s[8:9], s[8:9], 0x0
	s_waitcnt lgkmcnt(0)
	s_add_u32 s12, s0, s12
	s_addc_u32 s13, s1, s13
	s_lshl_b64 s[0:1], s[10:11], 4
	v_add_co_u32 v4, s10, s12, v3
	s_add_u32 s0, s8, s0
	v_add_co_ci_u32_e64 v6, null, s13, 0, s10
	s_addc_u32 s1, s9, s1
	v_add_co_u32 v3, s0, s0, v3
	s_delay_alu instid0(VALU_DEP_1) | instskip(SKIP_2) | instid1(VALU_DEP_4)
	v_add_co_ci_u32_e64 v8, null, s1, 0, s0
	v_add_co_u32 v5, vcc_lo, v4, 8
	v_add_co_ci_u32_e32 v6, vcc_lo, 0, v6, vcc_lo
	v_add_co_u32 v7, vcc_lo, v3, 8
	s_delay_alu instid0(VALU_DEP_4)
	v_add_co_ci_u32_e32 v8, vcc_lo, 0, v8, vcc_lo
	v_dual_mov_b32 v4, v2 :: v_dual_mov_b32 v3, v1
	s_mov_b32 s1, s5
	s_mov_b32 s8, s5
	s_set_inst_prefetch_distance 0x1
	.p2align	6
.LBB227_2:                              ; =>This Inner Loop Header: Depth=1
	global_load_b128 v[10:13], v[5:6], off offset:-8
	global_load_b128 v[14:17], v[7:8], off offset:-8
	s_add_i32 s9, s8, 1
	v_cmp_le_i32_e32 vcc_lo, s6, v9
	v_add_co_u32 v5, s0, 0x4000, v5
	s_cmp_gt_u32 s8, 30
	v_add_co_ci_u32_e64 v6, s0, 0, v6, s0
	s_cselect_b32 s8, -1, 0
	v_add_co_u32 v7, s0, 0x4000, v7
	s_or_b32 s8, s8, vcc_lo
	v_add_nc_u32_e32 v9, 0x400, v9
	v_add_co_ci_u32_e64 v8, vcc_lo, 0, v8, s0
	s_and_b32 s0, exec_lo, s8
	s_mov_b32 s8, s9
	s_or_b32 s1, s0, s1
	s_waitcnt vmcnt(0)
	v_mul_f64 v[18:19], v[12:13], v[16:17]
	v_mul_f64 v[16:17], v[10:11], v[16:17]
	s_delay_alu instid0(VALU_DEP_2) | instskip(NEXT) | instid1(VALU_DEP_2)
	v_fma_f64 v[10:11], v[10:11], v[14:15], -v[18:19]
	v_fma_f64 v[12:13], v[12:13], v[14:15], v[16:17]
	s_delay_alu instid0(VALU_DEP_2) | instskip(NEXT) | instid1(VALU_DEP_2)
	v_add_f64 v[3:4], v[3:4], v[10:11]
	v_add_f64 v[1:2], v[1:2], v[12:13]
	s_and_not1_b32 exec_lo, exec_lo, s1
	s_cbranch_execnz .LBB227_2
; %bb.3:
	s_set_inst_prefetch_distance 0x2
	s_or_b32 exec_lo, exec_lo, s1
.LBB227_4:
	s_delay_alu instid0(SALU_CYCLE_1) | instskip(SKIP_2) | instid1(VALU_DEP_2)
	s_or_b32 exec_lo, exec_lo, s7
	v_and_b32_e32 v15, 31, v0
	v_cmp_gt_u32_e32 vcc_lo, 32, v0
	v_lshlrev_b32_e32 v11, 4, v15
	s_and_saveexec_b32 s0, vcc_lo
	s_cbranch_execz .LBB227_6
; %bb.5:
	v_mov_b32_e32 v5, 0
	s_delay_alu instid0(VALU_DEP_1)
	v_mov_b32_e32 v6, v5
	v_mov_b32_e32 v7, v5
	;; [unrolled: 1-line block ×3, first 2 shown]
	ds_store_b128 v11, v[5:8]
.LBB227_6:
	s_or_b32 exec_lo, exec_lo, s0
	v_mbcnt_lo_u32_b32 v14, -1, 0
	s_mov_b32 s1, exec_lo
	s_waitcnt lgkmcnt(0)
	s_barrier
	buffer_gl0_inv
	v_cmp_gt_u32_e64 s0, 16, v14
	s_delay_alu instid0(VALU_DEP_1) | instskip(SKIP_1) | instid1(VALU_DEP_2)
	v_cndmask_b32_e64 v5, 0, 1, s0
	v_cmp_gt_u32_e64 s0, 24, v14
	v_lshlrev_b32_e32 v5, 4, v5
	s_delay_alu instid0(VALU_DEP_1)
	v_add_lshl_u32 v9, v5, v14, 2
	ds_bpermute_b32 v5, v9, v3
	ds_bpermute_b32 v6, v9, v4
	;; [unrolled: 1-line block ×4, first 2 shown]
	s_waitcnt lgkmcnt(2)
	v_add_f64 v[3:4], v[3:4], v[5:6]
	v_cndmask_b32_e64 v5, 0, 1, s0
	s_waitcnt lgkmcnt(0)
	v_add_f64 v[1:2], v[1:2], v[7:8]
	v_cmp_gt_u32_e64 s0, 28, v14
	s_delay_alu instid0(VALU_DEP_3) | instskip(NEXT) | instid1(VALU_DEP_1)
	v_lshlrev_b32_e32 v5, 3, v5
	v_add_lshl_u32 v10, v5, v14, 2
	ds_bpermute_b32 v5, v10, v3
	ds_bpermute_b32 v6, v10, v4
	;; [unrolled: 1-line block ×4, first 2 shown]
	s_waitcnt lgkmcnt(2)
	v_add_f64 v[3:4], v[3:4], v[5:6]
	v_cndmask_b32_e64 v5, 0, 1, s0
	s_waitcnt lgkmcnt(0)
	v_add_f64 v[1:2], v[1:2], v[7:8]
	v_cmp_gt_u32_e64 s0, 30, v14
	s_delay_alu instid0(VALU_DEP_3) | instskip(NEXT) | instid1(VALU_DEP_1)
	v_lshlrev_b32_e32 v5, 2, v5
	v_add_lshl_u32 v12, v5, v14, 2
	ds_bpermute_b32 v5, v12, v3
	ds_bpermute_b32 v6, v12, v4
	ds_bpermute_b32 v7, v12, v1
	ds_bpermute_b32 v8, v12, v2
	s_waitcnt lgkmcnt(2)
	v_add_f64 v[3:4], v[3:4], v[5:6]
	s_waitcnt lgkmcnt(0)
	v_add_f64 v[5:6], v[1:2], v[7:8]
	v_cndmask_b32_e64 v1, 0, 1, s0
	v_cmp_ne_u32_e64 s0, 31, v14
	s_delay_alu instid0(VALU_DEP_2) | instskip(NEXT) | instid1(VALU_DEP_1)
	v_lshlrev_b32_e32 v1, 1, v1
	v_add_lshl_u32 v13, v1, v14, 2
	ds_bpermute_b32 v1, v13, v3
	ds_bpermute_b32 v2, v13, v4
	;; [unrolled: 1-line block ×4, first 2 shown]
	s_waitcnt lgkmcnt(2)
	v_add_f64 v[1:2], v[3:4], v[1:2]
	v_add_co_ci_u32_e64 v3, s0, 0, v14, s0
	s_waitcnt lgkmcnt(0)
	v_add_f64 v[5:6], v[5:6], v[7:8]
	s_delay_alu instid0(VALU_DEP_2)
	v_lshlrev_b32_e32 v14, 2, v3
	ds_bpermute_b32 v3, v14, v1
	ds_bpermute_b32 v4, v14, v2
	;; [unrolled: 1-line block ×4, first 2 shown]
	v_cmpx_eq_u32_e32 0, v15
	s_cbranch_execz .LBB227_8
; %bb.7:
	s_waitcnt lgkmcnt(0)
	v_add_f64 v[5:6], v[5:6], v[7:8]
	v_add_f64 v[3:4], v[1:2], v[3:4]
	v_lshrrev_b32_e32 v1, 1, v0
	s_delay_alu instid0(VALU_DEP_1)
	v_and_b32_e32 v1, 0x1f0, v1
	ds_store_b128 v1, v[3:6]
.LBB227_8:
	s_or_b32 exec_lo, exec_lo, s1
	s_waitcnt lgkmcnt(2)
	v_mov_b32_e32 v3, 0
	v_mov_b32_e32 v4, 0
	s_delay_alu instid0(VALU_DEP_2)
	v_mov_b32_e32 v1, v3
	s_waitcnt lgkmcnt(0)
	s_barrier
	buffer_gl0_inv
	v_mov_b32_e32 v2, v4
	s_and_saveexec_b32 s0, vcc_lo
	s_cbranch_execz .LBB227_10
; %bb.9:
	ds_load_b128 v[1:4], v11
.LBB227_10:
	s_or_b32 exec_lo, exec_lo, s0
	s_and_saveexec_b32 s0, vcc_lo
	s_cbranch_execz .LBB227_12
; %bb.11:
	s_waitcnt lgkmcnt(0)
	ds_bpermute_b32 v5, v9, v1
	ds_bpermute_b32 v6, v9, v2
	ds_bpermute_b32 v7, v9, v3
	ds_bpermute_b32 v8, v9, v4
	s_waitcnt lgkmcnt(2)
	v_add_f64 v[1:2], v[1:2], v[5:6]
	s_waitcnt lgkmcnt(0)
	v_add_f64 v[3:4], v[3:4], v[7:8]
	ds_bpermute_b32 v5, v10, v1
	ds_bpermute_b32 v6, v10, v2
	ds_bpermute_b32 v7, v10, v3
	ds_bpermute_b32 v8, v10, v4
	s_waitcnt lgkmcnt(2)
	v_add_f64 v[1:2], v[1:2], v[5:6]
	s_waitcnt lgkmcnt(0)
	v_add_f64 v[3:4], v[3:4], v[7:8]
	;; [unrolled: 8-line block ×5, first 2 shown]
.LBB227_12:
	s_or_b32 exec_lo, exec_lo, s0
	s_delay_alu instid0(SALU_CYCLE_1)
	s_mov_b32 s0, exec_lo
	v_cmpx_eq_u32_e32 0, v0
	s_cbranch_execz .LBB227_14
; %bb.13:
	s_lshl_b64 s[0:1], s[4:5], 4
	v_mov_b32_e32 v0, 0
	s_add_u32 s0, s2, s0
	s_addc_u32 s1, s3, s1
	s_waitcnt lgkmcnt(0)
	global_store_b128 v0, v[1:4], s[0:1]
.LBB227_14:
	s_nop 0
	s_sendmsg sendmsg(MSG_DEALLOC_VGPRS)
	s_endpgm
	.section	.rodata,"a",@progbits
	.p2align	6, 0x0
	.amdhsa_kernel _ZL26rocblas_dot_kernel_inc1by2ILb1ELi1024ELi32ELb0E19rocblas_complex_numIdEPKPKS1_S1_EviT4_llS6_lliPT5_PT3_
		.amdhsa_group_segment_fixed_size 512
		.amdhsa_private_segment_fixed_size 0
		.amdhsa_kernarg_size 80
		.amdhsa_user_sgpr_count 14
		.amdhsa_user_sgpr_dispatch_ptr 0
		.amdhsa_user_sgpr_queue_ptr 0
		.amdhsa_user_sgpr_kernarg_segment_ptr 1
		.amdhsa_user_sgpr_dispatch_id 0
		.amdhsa_user_sgpr_private_segment_size 0
		.amdhsa_wavefront_size32 1
		.amdhsa_uses_dynamic_stack 0
		.amdhsa_enable_private_segment 0
		.amdhsa_system_sgpr_workgroup_id_x 1
		.amdhsa_system_sgpr_workgroup_id_y 0
		.amdhsa_system_sgpr_workgroup_id_z 1
		.amdhsa_system_sgpr_workgroup_info 0
		.amdhsa_system_vgpr_workitem_id 0
		.amdhsa_next_free_vgpr 20
		.amdhsa_next_free_sgpr 16
		.amdhsa_reserve_vcc 1
		.amdhsa_float_round_mode_32 0
		.amdhsa_float_round_mode_16_64 0
		.amdhsa_float_denorm_mode_32 3
		.amdhsa_float_denorm_mode_16_64 3
		.amdhsa_dx10_clamp 1
		.amdhsa_ieee_mode 1
		.amdhsa_fp16_overflow 0
		.amdhsa_workgroup_processor_mode 1
		.amdhsa_memory_ordered 1
		.amdhsa_forward_progress 0
		.amdhsa_shared_vgpr_count 0
		.amdhsa_exception_fp_ieee_invalid_op 0
		.amdhsa_exception_fp_denorm_src 0
		.amdhsa_exception_fp_ieee_div_zero 0
		.amdhsa_exception_fp_ieee_overflow 0
		.amdhsa_exception_fp_ieee_underflow 0
		.amdhsa_exception_fp_ieee_inexact 0
		.amdhsa_exception_int_div_zero 0
	.end_amdhsa_kernel
	.section	.text._ZL26rocblas_dot_kernel_inc1by2ILb1ELi1024ELi32ELb0E19rocblas_complex_numIdEPKPKS1_S1_EviT4_llS6_lliPT5_PT3_,"axG",@progbits,_ZL26rocblas_dot_kernel_inc1by2ILb1ELi1024ELi32ELb0E19rocblas_complex_numIdEPKPKS1_S1_EviT4_llS6_lliPT5_PT3_,comdat
.Lfunc_end227:
	.size	_ZL26rocblas_dot_kernel_inc1by2ILb1ELi1024ELi32ELb0E19rocblas_complex_numIdEPKPKS1_S1_EviT4_llS6_lliPT5_PT3_, .Lfunc_end227-_ZL26rocblas_dot_kernel_inc1by2ILb1ELi1024ELi32ELb0E19rocblas_complex_numIdEPKPKS1_S1_EviT4_llS6_lliPT5_PT3_
                                        ; -- End function
	.section	.AMDGPU.csdata,"",@progbits
; Kernel info:
; codeLenInByte = 1400
; NumSgprs: 18
; NumVgprs: 20
; ScratchSize: 0
; MemoryBound: 0
; FloatMode: 240
; IeeeMode: 1
; LDSByteSize: 512 bytes/workgroup (compile time only)
; SGPRBlocks: 2
; VGPRBlocks: 2
; NumSGPRsForWavesPerEU: 18
; NumVGPRsForWavesPerEU: 20
; Occupancy: 16
; WaveLimiterHint : 0
; COMPUTE_PGM_RSRC2:SCRATCH_EN: 0
; COMPUTE_PGM_RSRC2:USER_SGPR: 14
; COMPUTE_PGM_RSRC2:TRAP_HANDLER: 0
; COMPUTE_PGM_RSRC2:TGID_X_EN: 1
; COMPUTE_PGM_RSRC2:TGID_Y_EN: 0
; COMPUTE_PGM_RSRC2:TGID_Z_EN: 1
; COMPUTE_PGM_RSRC2:TIDIG_COMP_CNT: 0
	.section	.text._ZL18rocblas_dot_kernelIiLb1ELi1024ELi32ELb0E19rocblas_complex_numIdEPKPKS1_S1_EviT5_lT_lS6_lS7_liPT6_PT4_,"axG",@progbits,_ZL18rocblas_dot_kernelIiLb1ELi1024ELi32ELb0E19rocblas_complex_numIdEPKPKS1_S1_EviT5_lT_lS6_lS7_liPT6_PT4_,comdat
	.globl	_ZL18rocblas_dot_kernelIiLb1ELi1024ELi32ELb0E19rocblas_complex_numIdEPKPKS1_S1_EviT5_lT_lS6_lS7_liPT6_PT4_ ; -- Begin function _ZL18rocblas_dot_kernelIiLb1ELi1024ELi32ELb0E19rocblas_complex_numIdEPKPKS1_S1_EviT5_lT_lS6_lS7_liPT6_PT4_
	.p2align	8
	.type	_ZL18rocblas_dot_kernelIiLb1ELi1024ELi32ELb0E19rocblas_complex_numIdEPKPKS1_S1_EviT5_lT_lS6_lS7_liPT6_PT4_,@function
_ZL18rocblas_dot_kernelIiLb1ELi1024ELi32ELb0E19rocblas_complex_numIdEPKPKS1_S1_EviT5_lT_lS6_lS7_liPT6_PT4_: ; @_ZL18rocblas_dot_kernelIiLb1ELi1024ELi32ELb0E19rocblas_complex_numIdEPKPKS1_S1_EviT5_lT_lS6_lS7_liPT6_PT4_
; %bb.0:
	s_clause 0x1
	s_load_b32 s14, s[0:1], 0x0
	s_load_b64 s[2:3], s[0:1], 0x58
	v_mov_b32_e32 v1, 0
	v_mov_b32_e32 v2, 0
	s_mov_b32 s12, s15
	s_mov_b32 s13, 0
	s_mov_b32 s15, exec_lo
	s_delay_alu instid0(VALU_DEP_1)
	v_dual_mov_b32 v4, v2 :: v_dual_mov_b32 v3, v1
	s_waitcnt lgkmcnt(0)
	v_cmpx_gt_i32_e64 s14, v0
	s_cbranch_execz .LBB228_4
; %bb.1:
	s_clause 0x4
	s_load_b128 s[8:11], s[0:1], 0x8
	s_load_b128 s[4:7], s[0:1], 0x28
	s_load_b32 s18, s[0:1], 0x18
	s_load_b32 s20, s[0:1], 0x38
	;; [unrolled: 1-line block ×3, first 2 shown]
	s_lshl_b64 s[0:1], s[12:13], 3
	v_mov_b32_e32 v1, 0
	v_mov_b32_e32 v2, 0
	s_waitcnt lgkmcnt(0)
	s_add_u32 s8, s8, s0
	s_addc_u32 s9, s9, s1
	s_add_u32 s0, s4, s0
	s_load_b64 s[8:9], s[8:9], 0x0
	s_addc_u32 s1, s5, s1
	v_mad_i64_i32 v[3:4], null, s18, v0, 0
	s_load_b64 s[16:17], s[0:1], 0x0
	v_mad_i64_i32 v[5:6], null, s20, v0, 0
	s_lshl_b32 s1, s19, 10
	s_lshl_b64 s[4:5], s[10:11], 4
	s_mul_hi_i32 s11, s18, s1
	s_delay_alu instid0(VALU_DEP_2) | instskip(SKIP_2) | instid1(VALU_DEP_3)
	v_lshlrev_b64 v[3:4], 4, v[3:4]
	s_mul_i32 s10, s18, s1
	v_or_b32_e32 v9, s1, v0
	v_lshlrev_b64 v[5:6], 4, v[5:6]
	s_mul_hi_i32 s19, s20, s1
	s_mul_i32 s18, s20, s1
	s_waitcnt lgkmcnt(0)
	s_add_u32 s0, s8, s4
	s_addc_u32 s8, s9, s5
	s_lshl_b64 s[6:7], s[6:7], 4
	s_lshl_b64 s[4:5], s[10:11], 4
	v_add_co_u32 v3, vcc_lo, s0, v3
	s_add_u32 s0, s16, s6
	v_add_co_ci_u32_e32 v4, vcc_lo, s8, v4, vcc_lo
	s_addc_u32 s6, s17, s7
	v_add_co_u32 v7, vcc_lo, s0, v5
	v_add_co_ci_u32_e32 v8, vcc_lo, s6, v6, vcc_lo
	v_add_co_u32 v5, vcc_lo, v3, 8
	v_add_co_ci_u32_e32 v6, vcc_lo, 0, v4, vcc_lo
	s_delay_alu instid0(VALU_DEP_4) | instskip(NEXT) | instid1(VALU_DEP_4)
	v_add_co_u32 v7, vcc_lo, v7, 8
	v_add_co_ci_u32_e32 v8, vcc_lo, 0, v8, vcc_lo
	v_dual_mov_b32 v4, v2 :: v_dual_mov_b32 v3, v1
	s_lshl_b64 s[6:7], s[18:19], 4
	s_mov_b32 s8, s13
	s_mov_b32 s9, s13
	s_set_inst_prefetch_distance 0x1
	.p2align	6
.LBB228_2:                              ; =>This Inner Loop Header: Depth=1
	global_load_b128 v[10:13], v[7:8], off offset:-8
	global_load_b128 v[14:17], v[5:6], off offset:-8
	s_add_i32 s10, s9, 1
	v_cmp_le_i32_e32 vcc_lo, s14, v9
	v_add_co_u32 v5, s0, v5, s4
	s_cmp_gt_u32 s9, 30
	v_add_co_ci_u32_e64 v6, s0, s5, v6, s0
	s_cselect_b32 s9, -1, 0
	v_add_co_u32 v7, s0, v7, s6
	s_or_b32 s9, s9, vcc_lo
	v_add_nc_u32_e32 v9, s1, v9
	v_add_co_ci_u32_e64 v8, vcc_lo, s7, v8, s0
	s_and_b32 s0, exec_lo, s9
	s_mov_b32 s9, s10
	s_or_b32 s8, s0, s8
	s_waitcnt vmcnt(0)
	v_mul_f64 v[18:19], v[12:13], v[16:17]
	v_mul_f64 v[16:17], v[10:11], v[16:17]
	s_delay_alu instid0(VALU_DEP_2) | instskip(NEXT) | instid1(VALU_DEP_2)
	v_fma_f64 v[10:11], v[10:11], v[14:15], -v[18:19]
	v_fma_f64 v[12:13], v[12:13], v[14:15], v[16:17]
	s_delay_alu instid0(VALU_DEP_2) | instskip(NEXT) | instid1(VALU_DEP_2)
	v_add_f64 v[3:4], v[3:4], v[10:11]
	v_add_f64 v[1:2], v[1:2], v[12:13]
	s_and_not1_b32 exec_lo, exec_lo, s8
	s_cbranch_execnz .LBB228_2
; %bb.3:
	s_set_inst_prefetch_distance 0x2
	s_or_b32 exec_lo, exec_lo, s8
.LBB228_4:
	s_delay_alu instid0(SALU_CYCLE_1) | instskip(SKIP_2) | instid1(VALU_DEP_2)
	s_or_b32 exec_lo, exec_lo, s15
	v_and_b32_e32 v15, 31, v0
	v_cmp_gt_u32_e32 vcc_lo, 32, v0
	v_lshlrev_b32_e32 v11, 4, v15
	s_and_saveexec_b32 s0, vcc_lo
	s_cbranch_execz .LBB228_6
; %bb.5:
	v_mov_b32_e32 v5, 0
	s_delay_alu instid0(VALU_DEP_1)
	v_mov_b32_e32 v6, v5
	v_mov_b32_e32 v7, v5
	;; [unrolled: 1-line block ×3, first 2 shown]
	ds_store_b128 v11, v[5:8]
.LBB228_6:
	s_or_b32 exec_lo, exec_lo, s0
	v_mbcnt_lo_u32_b32 v14, -1, 0
	s_mov_b32 s1, exec_lo
	s_waitcnt lgkmcnt(0)
	s_barrier
	buffer_gl0_inv
	v_cmp_gt_u32_e64 s0, 16, v14
	s_delay_alu instid0(VALU_DEP_1) | instskip(SKIP_1) | instid1(VALU_DEP_2)
	v_cndmask_b32_e64 v5, 0, 1, s0
	v_cmp_gt_u32_e64 s0, 24, v14
	v_lshlrev_b32_e32 v5, 4, v5
	s_delay_alu instid0(VALU_DEP_1)
	v_add_lshl_u32 v9, v5, v14, 2
	ds_bpermute_b32 v5, v9, v3
	ds_bpermute_b32 v6, v9, v4
	;; [unrolled: 1-line block ×4, first 2 shown]
	s_waitcnt lgkmcnt(2)
	v_add_f64 v[3:4], v[3:4], v[5:6]
	v_cndmask_b32_e64 v5, 0, 1, s0
	s_waitcnt lgkmcnt(0)
	v_add_f64 v[1:2], v[1:2], v[7:8]
	v_cmp_gt_u32_e64 s0, 28, v14
	s_delay_alu instid0(VALU_DEP_3) | instskip(NEXT) | instid1(VALU_DEP_1)
	v_lshlrev_b32_e32 v5, 3, v5
	v_add_lshl_u32 v10, v5, v14, 2
	ds_bpermute_b32 v5, v10, v3
	ds_bpermute_b32 v6, v10, v4
	;; [unrolled: 1-line block ×4, first 2 shown]
	s_waitcnt lgkmcnt(2)
	v_add_f64 v[3:4], v[3:4], v[5:6]
	v_cndmask_b32_e64 v5, 0, 1, s0
	s_waitcnt lgkmcnt(0)
	v_add_f64 v[1:2], v[1:2], v[7:8]
	v_cmp_gt_u32_e64 s0, 30, v14
	s_delay_alu instid0(VALU_DEP_3) | instskip(NEXT) | instid1(VALU_DEP_1)
	v_lshlrev_b32_e32 v5, 2, v5
	v_add_lshl_u32 v12, v5, v14, 2
	ds_bpermute_b32 v5, v12, v3
	ds_bpermute_b32 v6, v12, v4
	;; [unrolled: 1-line block ×4, first 2 shown]
	s_waitcnt lgkmcnt(2)
	v_add_f64 v[3:4], v[3:4], v[5:6]
	s_waitcnt lgkmcnt(0)
	v_add_f64 v[5:6], v[1:2], v[7:8]
	v_cndmask_b32_e64 v1, 0, 1, s0
	v_cmp_ne_u32_e64 s0, 31, v14
	s_delay_alu instid0(VALU_DEP_2) | instskip(NEXT) | instid1(VALU_DEP_1)
	v_lshlrev_b32_e32 v1, 1, v1
	v_add_lshl_u32 v13, v1, v14, 2
	ds_bpermute_b32 v1, v13, v3
	ds_bpermute_b32 v2, v13, v4
	;; [unrolled: 1-line block ×4, first 2 shown]
	s_waitcnt lgkmcnt(2)
	v_add_f64 v[1:2], v[3:4], v[1:2]
	v_add_co_ci_u32_e64 v3, s0, 0, v14, s0
	s_waitcnt lgkmcnt(0)
	v_add_f64 v[5:6], v[5:6], v[7:8]
	s_delay_alu instid0(VALU_DEP_2)
	v_lshlrev_b32_e32 v14, 2, v3
	ds_bpermute_b32 v3, v14, v1
	ds_bpermute_b32 v4, v14, v2
	;; [unrolled: 1-line block ×4, first 2 shown]
	v_cmpx_eq_u32_e32 0, v15
	s_cbranch_execz .LBB228_8
; %bb.7:
	s_waitcnt lgkmcnt(0)
	v_add_f64 v[5:6], v[5:6], v[7:8]
	v_add_f64 v[3:4], v[1:2], v[3:4]
	v_lshrrev_b32_e32 v1, 1, v0
	s_delay_alu instid0(VALU_DEP_1)
	v_and_b32_e32 v1, 0x1f0, v1
	ds_store_b128 v1, v[3:6]
.LBB228_8:
	s_or_b32 exec_lo, exec_lo, s1
	s_waitcnt lgkmcnt(2)
	v_mov_b32_e32 v3, 0
	v_mov_b32_e32 v4, 0
	s_delay_alu instid0(VALU_DEP_2)
	v_mov_b32_e32 v1, v3
	s_waitcnt lgkmcnt(0)
	s_barrier
	buffer_gl0_inv
	v_mov_b32_e32 v2, v4
	s_and_saveexec_b32 s0, vcc_lo
	s_cbranch_execz .LBB228_10
; %bb.9:
	ds_load_b128 v[1:4], v11
.LBB228_10:
	s_or_b32 exec_lo, exec_lo, s0
	s_and_saveexec_b32 s0, vcc_lo
	s_cbranch_execz .LBB228_12
; %bb.11:
	s_waitcnt lgkmcnt(0)
	ds_bpermute_b32 v5, v9, v1
	ds_bpermute_b32 v6, v9, v2
	ds_bpermute_b32 v7, v9, v3
	ds_bpermute_b32 v8, v9, v4
	s_waitcnt lgkmcnt(2)
	v_add_f64 v[1:2], v[1:2], v[5:6]
	s_waitcnt lgkmcnt(0)
	v_add_f64 v[3:4], v[3:4], v[7:8]
	ds_bpermute_b32 v5, v10, v1
	ds_bpermute_b32 v6, v10, v2
	ds_bpermute_b32 v7, v10, v3
	ds_bpermute_b32 v8, v10, v4
	s_waitcnt lgkmcnt(2)
	v_add_f64 v[1:2], v[1:2], v[5:6]
	s_waitcnt lgkmcnt(0)
	v_add_f64 v[3:4], v[3:4], v[7:8]
	;; [unrolled: 8-line block ×5, first 2 shown]
.LBB228_12:
	s_or_b32 exec_lo, exec_lo, s0
	s_delay_alu instid0(SALU_CYCLE_1)
	s_mov_b32 s0, exec_lo
	v_cmpx_eq_u32_e32 0, v0
	s_cbranch_execz .LBB228_14
; %bb.13:
	s_lshl_b64 s[0:1], s[12:13], 4
	v_mov_b32_e32 v0, 0
	s_add_u32 s0, s2, s0
	s_addc_u32 s1, s3, s1
	s_waitcnt lgkmcnt(0)
	global_store_b128 v0, v[1:4], s[0:1]
.LBB228_14:
	s_nop 0
	s_sendmsg sendmsg(MSG_DEALLOC_VGPRS)
	s_endpgm
	.section	.rodata,"a",@progbits
	.p2align	6, 0x0
	.amdhsa_kernel _ZL18rocblas_dot_kernelIiLb1ELi1024ELi32ELb0E19rocblas_complex_numIdEPKPKS1_S1_EviT5_lT_lS6_lS7_liPT6_PT4_
		.amdhsa_group_segment_fixed_size 512
		.amdhsa_private_segment_fixed_size 0
		.amdhsa_kernarg_size 352
		.amdhsa_user_sgpr_count 14
		.amdhsa_user_sgpr_dispatch_ptr 0
		.amdhsa_user_sgpr_queue_ptr 0
		.amdhsa_user_sgpr_kernarg_segment_ptr 1
		.amdhsa_user_sgpr_dispatch_id 0
		.amdhsa_user_sgpr_private_segment_size 0
		.amdhsa_wavefront_size32 1
		.amdhsa_uses_dynamic_stack 0
		.amdhsa_enable_private_segment 0
		.amdhsa_system_sgpr_workgroup_id_x 1
		.amdhsa_system_sgpr_workgroup_id_y 0
		.amdhsa_system_sgpr_workgroup_id_z 1
		.amdhsa_system_sgpr_workgroup_info 0
		.amdhsa_system_vgpr_workitem_id 0
		.amdhsa_next_free_vgpr 20
		.amdhsa_next_free_sgpr 21
		.amdhsa_reserve_vcc 1
		.amdhsa_float_round_mode_32 0
		.amdhsa_float_round_mode_16_64 0
		.amdhsa_float_denorm_mode_32 3
		.amdhsa_float_denorm_mode_16_64 3
		.amdhsa_dx10_clamp 1
		.amdhsa_ieee_mode 1
		.amdhsa_fp16_overflow 0
		.amdhsa_workgroup_processor_mode 1
		.amdhsa_memory_ordered 1
		.amdhsa_forward_progress 0
		.amdhsa_shared_vgpr_count 0
		.amdhsa_exception_fp_ieee_invalid_op 0
		.amdhsa_exception_fp_denorm_src 0
		.amdhsa_exception_fp_ieee_div_zero 0
		.amdhsa_exception_fp_ieee_overflow 0
		.amdhsa_exception_fp_ieee_underflow 0
		.amdhsa_exception_fp_ieee_inexact 0
		.amdhsa_exception_int_div_zero 0
	.end_amdhsa_kernel
	.section	.text._ZL18rocblas_dot_kernelIiLb1ELi1024ELi32ELb0E19rocblas_complex_numIdEPKPKS1_S1_EviT5_lT_lS6_lS7_liPT6_PT4_,"axG",@progbits,_ZL18rocblas_dot_kernelIiLb1ELi1024ELi32ELb0E19rocblas_complex_numIdEPKPKS1_S1_EviT5_lT_lS6_lS7_liPT6_PT4_,comdat
.Lfunc_end228:
	.size	_ZL18rocblas_dot_kernelIiLb1ELi1024ELi32ELb0E19rocblas_complex_numIdEPKPKS1_S1_EviT5_lT_lS6_lS7_liPT6_PT4_, .Lfunc_end228-_ZL18rocblas_dot_kernelIiLb1ELi1024ELi32ELb0E19rocblas_complex_numIdEPKPKS1_S1_EviT5_lT_lS6_lS7_liPT6_PT4_
                                        ; -- End function
	.section	.AMDGPU.csdata,"",@progbits
; Kernel info:
; codeLenInByte = 1456
; NumSgprs: 23
; NumVgprs: 20
; ScratchSize: 0
; MemoryBound: 0
; FloatMode: 240
; IeeeMode: 1
; LDSByteSize: 512 bytes/workgroup (compile time only)
; SGPRBlocks: 2
; VGPRBlocks: 2
; NumSGPRsForWavesPerEU: 23
; NumVGPRsForWavesPerEU: 20
; Occupancy: 16
; WaveLimiterHint : 0
; COMPUTE_PGM_RSRC2:SCRATCH_EN: 0
; COMPUTE_PGM_RSRC2:USER_SGPR: 14
; COMPUTE_PGM_RSRC2:TRAP_HANDLER: 0
; COMPUTE_PGM_RSRC2:TGID_X_EN: 1
; COMPUTE_PGM_RSRC2:TGID_Y_EN: 0
; COMPUTE_PGM_RSRC2:TGID_Z_EN: 1
; COMPUTE_PGM_RSRC2:TIDIG_COMP_CNT: 0
	.section	.text._ZL24rocblas_dot_kernel_magsqIiLb1ELi1024ELi32ELb0E19rocblas_complex_numIdEPKPKS1_S1_EviT5_lT_liPT6_PT4_,"axG",@progbits,_ZL24rocblas_dot_kernel_magsqIiLb1ELi1024ELi32ELb0E19rocblas_complex_numIdEPKPKS1_S1_EviT5_lT_liPT6_PT4_,comdat
	.globl	_ZL24rocblas_dot_kernel_magsqIiLb1ELi1024ELi32ELb0E19rocblas_complex_numIdEPKPKS1_S1_EviT5_lT_liPT6_PT4_ ; -- Begin function _ZL24rocblas_dot_kernel_magsqIiLb1ELi1024ELi32ELb0E19rocblas_complex_numIdEPKPKS1_S1_EviT5_lT_liPT6_PT4_
	.p2align	8
	.type	_ZL24rocblas_dot_kernel_magsqIiLb1ELi1024ELi32ELb0E19rocblas_complex_numIdEPKPKS1_S1_EviT5_lT_liPT6_PT4_,@function
_ZL24rocblas_dot_kernel_magsqIiLb1ELi1024ELi32ELb0E19rocblas_complex_numIdEPKPKS1_S1_EviT5_lT_liPT6_PT4_: ; @_ZL24rocblas_dot_kernel_magsqIiLb1ELi1024ELi32ELb0E19rocblas_complex_numIdEPKPKS1_S1_EviT5_lT_liPT6_PT4_
; %bb.0:
	s_clause 0x1
	s_load_b32 s8, s[0:1], 0x0
	s_load_b64 s[2:3], s[0:1], 0x38
	v_mov_b32_e32 v1, 0
	v_mov_b32_e32 v2, 0
	s_mov_b32 s4, s15
	s_mov_b32 s5, 0
	s_mov_b32 s9, exec_lo
	s_delay_alu instid0(VALU_DEP_1)
	v_dual_mov_b32 v4, v2 :: v_dual_mov_b32 v3, v1
	s_waitcnt lgkmcnt(0)
	v_cmpx_gt_i32_e64 s8, v0
	s_cbranch_execz .LBB229_4
; %bb.1:
	s_clause 0x2
	s_load_b128 s[12:15], s[0:1], 0x8
	s_load_b32 s16, s[0:1], 0x18
	s_load_b32 s10, s[0:1], 0x40
	s_lshl_b64 s[0:1], s[4:5], 3
	v_mov_b32_e32 v1, 0
	v_mov_b32_e32 v2, 0
	s_waitcnt lgkmcnt(0)
	s_add_u32 s0, s12, s0
	s_addc_u32 s1, s13, s1
	v_mad_i64_i32 v[3:4], null, s16, v0, 0
	s_load_b64 s[6:7], s[0:1], 0x0
	s_lshl_b32 s1, s10, 10
	s_lshl_b64 s[10:11], s[14:15], 4
	v_or_b32_e32 v7, s1, v0
	s_mul_hi_i32 s13, s16, s1
	s_mul_i32 s12, s16, s1
	s_delay_alu instid0(VALU_DEP_2) | instskip(SKIP_3) | instid1(VALU_DEP_1)
	v_lshlrev_b64 v[3:4], 4, v[3:4]
	s_waitcnt lgkmcnt(0)
	s_add_u32 s0, s6, s10
	s_addc_u32 s6, s7, s11
	v_add_co_u32 v5, vcc_lo, s0, v3
	s_delay_alu instid0(VALU_DEP_2)
	v_add_co_ci_u32_e32 v6, vcc_lo, s6, v4, vcc_lo
	v_dual_mov_b32 v4, v2 :: v_dual_mov_b32 v3, v1
	s_lshl_b64 s[6:7], s[12:13], 4
	s_mov_b32 s10, s5
	s_mov_b32 s11, s5
	.p2align	6
.LBB229_2:                              ; =>This Inner Loop Header: Depth=1
	global_load_b128 v[8:11], v[5:6], off
	s_add_i32 s12, s11, 1
	v_cmp_le_i32_e32 vcc_lo, s8, v7
	s_cmp_gt_u32 s11, 30
	v_add_co_u32 v5, s0, v5, s6
	s_cselect_b32 s11, -1, 0
	v_add_nc_u32_e32 v7, s1, v7
	s_or_b32 s11, s11, vcc_lo
	v_add_co_ci_u32_e64 v6, vcc_lo, s7, v6, s0
	s_and_b32 s0, exec_lo, s11
	s_mov_b32 s11, s12
	s_or_b32 s10, s0, s10
	s_waitcnt vmcnt(0)
	v_mul_f64 v[12:13], v[10:11], v[10:11]
	v_mul_f64 v[10:11], v[8:9], v[10:11]
	s_delay_alu instid0(VALU_DEP_2) | instskip(NEXT) | instid1(VALU_DEP_2)
	v_fma_f64 v[8:9], v[8:9], v[8:9], -v[12:13]
	v_fma_f64 v[1:2], v[10:11], 2.0, v[1:2]
	s_delay_alu instid0(VALU_DEP_2)
	v_add_f64 v[3:4], v[3:4], v[8:9]
	s_and_not1_b32 exec_lo, exec_lo, s10
	s_cbranch_execnz .LBB229_2
; %bb.3:
	s_or_b32 exec_lo, exec_lo, s10
.LBB229_4:
	s_delay_alu instid0(SALU_CYCLE_1) | instskip(SKIP_2) | instid1(VALU_DEP_2)
	s_or_b32 exec_lo, exec_lo, s9
	v_and_b32_e32 v15, 31, v0
	v_cmp_gt_u32_e32 vcc_lo, 32, v0
	v_lshlrev_b32_e32 v11, 4, v15
	s_and_saveexec_b32 s0, vcc_lo
	s_cbranch_execz .LBB229_6
; %bb.5:
	v_mov_b32_e32 v5, 0
	s_delay_alu instid0(VALU_DEP_1)
	v_mov_b32_e32 v6, v5
	v_mov_b32_e32 v7, v5
	;; [unrolled: 1-line block ×3, first 2 shown]
	ds_store_b128 v11, v[5:8]
.LBB229_6:
	s_or_b32 exec_lo, exec_lo, s0
	v_mbcnt_lo_u32_b32 v14, -1, 0
	s_mov_b32 s1, exec_lo
	s_waitcnt lgkmcnt(0)
	s_barrier
	buffer_gl0_inv
	v_cmp_gt_u32_e64 s0, 16, v14
	s_delay_alu instid0(VALU_DEP_1) | instskip(SKIP_1) | instid1(VALU_DEP_2)
	v_cndmask_b32_e64 v5, 0, 1, s0
	v_cmp_gt_u32_e64 s0, 24, v14
	v_lshlrev_b32_e32 v5, 4, v5
	s_delay_alu instid0(VALU_DEP_1)
	v_add_lshl_u32 v9, v5, v14, 2
	ds_bpermute_b32 v5, v9, v3
	ds_bpermute_b32 v6, v9, v4
	;; [unrolled: 1-line block ×4, first 2 shown]
	s_waitcnt lgkmcnt(2)
	v_add_f64 v[3:4], v[3:4], v[5:6]
	v_cndmask_b32_e64 v5, 0, 1, s0
	s_waitcnt lgkmcnt(0)
	v_add_f64 v[1:2], v[1:2], v[7:8]
	v_cmp_gt_u32_e64 s0, 28, v14
	s_delay_alu instid0(VALU_DEP_3) | instskip(NEXT) | instid1(VALU_DEP_1)
	v_lshlrev_b32_e32 v5, 3, v5
	v_add_lshl_u32 v10, v5, v14, 2
	ds_bpermute_b32 v5, v10, v3
	ds_bpermute_b32 v6, v10, v4
	ds_bpermute_b32 v7, v10, v1
	ds_bpermute_b32 v8, v10, v2
	s_waitcnt lgkmcnt(2)
	v_add_f64 v[3:4], v[3:4], v[5:6]
	v_cndmask_b32_e64 v5, 0, 1, s0
	s_waitcnt lgkmcnt(0)
	v_add_f64 v[1:2], v[1:2], v[7:8]
	v_cmp_gt_u32_e64 s0, 30, v14
	s_delay_alu instid0(VALU_DEP_3) | instskip(NEXT) | instid1(VALU_DEP_1)
	v_lshlrev_b32_e32 v5, 2, v5
	v_add_lshl_u32 v12, v5, v14, 2
	ds_bpermute_b32 v5, v12, v3
	ds_bpermute_b32 v6, v12, v4
	;; [unrolled: 1-line block ×4, first 2 shown]
	s_waitcnt lgkmcnt(2)
	v_add_f64 v[3:4], v[3:4], v[5:6]
	s_waitcnt lgkmcnt(0)
	v_add_f64 v[5:6], v[1:2], v[7:8]
	v_cndmask_b32_e64 v1, 0, 1, s0
	v_cmp_ne_u32_e64 s0, 31, v14
	s_delay_alu instid0(VALU_DEP_2) | instskip(NEXT) | instid1(VALU_DEP_1)
	v_lshlrev_b32_e32 v1, 1, v1
	v_add_lshl_u32 v13, v1, v14, 2
	ds_bpermute_b32 v1, v13, v3
	ds_bpermute_b32 v2, v13, v4
	ds_bpermute_b32 v7, v13, v5
	ds_bpermute_b32 v8, v13, v6
	s_waitcnt lgkmcnt(2)
	v_add_f64 v[1:2], v[3:4], v[1:2]
	v_add_co_ci_u32_e64 v3, s0, 0, v14, s0
	s_waitcnt lgkmcnt(0)
	v_add_f64 v[5:6], v[5:6], v[7:8]
	s_delay_alu instid0(VALU_DEP_2)
	v_lshlrev_b32_e32 v14, 2, v3
	ds_bpermute_b32 v3, v14, v1
	ds_bpermute_b32 v4, v14, v2
	;; [unrolled: 1-line block ×4, first 2 shown]
	v_cmpx_eq_u32_e32 0, v15
	s_cbranch_execz .LBB229_8
; %bb.7:
	s_waitcnt lgkmcnt(0)
	v_add_f64 v[5:6], v[5:6], v[7:8]
	v_add_f64 v[3:4], v[1:2], v[3:4]
	v_lshrrev_b32_e32 v1, 1, v0
	s_delay_alu instid0(VALU_DEP_1)
	v_and_b32_e32 v1, 0x1f0, v1
	ds_store_b128 v1, v[3:6]
.LBB229_8:
	s_or_b32 exec_lo, exec_lo, s1
	s_waitcnt lgkmcnt(2)
	v_mov_b32_e32 v3, 0
	v_mov_b32_e32 v4, 0
	s_delay_alu instid0(VALU_DEP_2)
	v_mov_b32_e32 v1, v3
	s_waitcnt lgkmcnt(0)
	s_barrier
	buffer_gl0_inv
	v_mov_b32_e32 v2, v4
	s_and_saveexec_b32 s0, vcc_lo
	s_cbranch_execz .LBB229_10
; %bb.9:
	ds_load_b128 v[1:4], v11
.LBB229_10:
	s_or_b32 exec_lo, exec_lo, s0
	s_and_saveexec_b32 s0, vcc_lo
	s_cbranch_execz .LBB229_12
; %bb.11:
	s_waitcnt lgkmcnt(0)
	ds_bpermute_b32 v5, v9, v1
	ds_bpermute_b32 v6, v9, v2
	ds_bpermute_b32 v7, v9, v3
	ds_bpermute_b32 v8, v9, v4
	s_waitcnt lgkmcnt(2)
	v_add_f64 v[1:2], v[1:2], v[5:6]
	s_waitcnt lgkmcnt(0)
	v_add_f64 v[3:4], v[3:4], v[7:8]
	ds_bpermute_b32 v5, v10, v1
	ds_bpermute_b32 v6, v10, v2
	ds_bpermute_b32 v7, v10, v3
	ds_bpermute_b32 v8, v10, v4
	s_waitcnt lgkmcnt(2)
	v_add_f64 v[1:2], v[1:2], v[5:6]
	s_waitcnt lgkmcnt(0)
	v_add_f64 v[3:4], v[3:4], v[7:8]
	;; [unrolled: 8-line block ×5, first 2 shown]
.LBB229_12:
	s_or_b32 exec_lo, exec_lo, s0
	s_delay_alu instid0(SALU_CYCLE_1)
	s_mov_b32 s0, exec_lo
	v_cmpx_eq_u32_e32 0, v0
	s_cbranch_execz .LBB229_14
; %bb.13:
	s_lshl_b64 s[0:1], s[4:5], 4
	v_mov_b32_e32 v0, 0
	s_add_u32 s0, s2, s0
	s_addc_u32 s1, s3, s1
	s_waitcnt lgkmcnt(0)
	global_store_b128 v0, v[1:4], s[0:1]
.LBB229_14:
	s_nop 0
	s_sendmsg sendmsg(MSG_DEALLOC_VGPRS)
	s_endpgm
	.section	.rodata,"a",@progbits
	.p2align	6, 0x0
	.amdhsa_kernel _ZL24rocblas_dot_kernel_magsqIiLb1ELi1024ELi32ELb0E19rocblas_complex_numIdEPKPKS1_S1_EviT5_lT_liPT6_PT4_
		.amdhsa_group_segment_fixed_size 512
		.amdhsa_private_segment_fixed_size 0
		.amdhsa_kernarg_size 320
		.amdhsa_user_sgpr_count 14
		.amdhsa_user_sgpr_dispatch_ptr 0
		.amdhsa_user_sgpr_queue_ptr 0
		.amdhsa_user_sgpr_kernarg_segment_ptr 1
		.amdhsa_user_sgpr_dispatch_id 0
		.amdhsa_user_sgpr_private_segment_size 0
		.amdhsa_wavefront_size32 1
		.amdhsa_uses_dynamic_stack 0
		.amdhsa_enable_private_segment 0
		.amdhsa_system_sgpr_workgroup_id_x 1
		.amdhsa_system_sgpr_workgroup_id_y 0
		.amdhsa_system_sgpr_workgroup_id_z 1
		.amdhsa_system_sgpr_workgroup_info 0
		.amdhsa_system_vgpr_workitem_id 0
		.amdhsa_next_free_vgpr 16
		.amdhsa_next_free_sgpr 17
		.amdhsa_reserve_vcc 1
		.amdhsa_float_round_mode_32 0
		.amdhsa_float_round_mode_16_64 0
		.amdhsa_float_denorm_mode_32 3
		.amdhsa_float_denorm_mode_16_64 3
		.amdhsa_dx10_clamp 1
		.amdhsa_ieee_mode 1
		.amdhsa_fp16_overflow 0
		.amdhsa_workgroup_processor_mode 1
		.amdhsa_memory_ordered 1
		.amdhsa_forward_progress 0
		.amdhsa_shared_vgpr_count 0
		.amdhsa_exception_fp_ieee_invalid_op 0
		.amdhsa_exception_fp_denorm_src 0
		.amdhsa_exception_fp_ieee_div_zero 0
		.amdhsa_exception_fp_ieee_overflow 0
		.amdhsa_exception_fp_ieee_underflow 0
		.amdhsa_exception_fp_ieee_inexact 0
		.amdhsa_exception_int_div_zero 0
	.end_amdhsa_kernel
	.section	.text._ZL24rocblas_dot_kernel_magsqIiLb1ELi1024ELi32ELb0E19rocblas_complex_numIdEPKPKS1_S1_EviT5_lT_liPT6_PT4_,"axG",@progbits,_ZL24rocblas_dot_kernel_magsqIiLb1ELi1024ELi32ELb0E19rocblas_complex_numIdEPKPKS1_S1_EviT5_lT_liPT6_PT4_,comdat
.Lfunc_end229:
	.size	_ZL24rocblas_dot_kernel_magsqIiLb1ELi1024ELi32ELb0E19rocblas_complex_numIdEPKPKS1_S1_EviT5_lT_liPT6_PT4_, .Lfunc_end229-_ZL24rocblas_dot_kernel_magsqIiLb1ELi1024ELi32ELb0E19rocblas_complex_numIdEPKPKS1_S1_EviT5_lT_liPT6_PT4_
                                        ; -- End function
	.section	.AMDGPU.csdata,"",@progbits
; Kernel info:
; codeLenInByte = 1308
; NumSgprs: 19
; NumVgprs: 16
; ScratchSize: 0
; MemoryBound: 0
; FloatMode: 240
; IeeeMode: 1
; LDSByteSize: 512 bytes/workgroup (compile time only)
; SGPRBlocks: 2
; VGPRBlocks: 1
; NumSGPRsForWavesPerEU: 19
; NumVGPRsForWavesPerEU: 16
; Occupancy: 16
; WaveLimiterHint : 0
; COMPUTE_PGM_RSRC2:SCRATCH_EN: 0
; COMPUTE_PGM_RSRC2:USER_SGPR: 14
; COMPUTE_PGM_RSRC2:TRAP_HANDLER: 0
; COMPUTE_PGM_RSRC2:TGID_X_EN: 1
; COMPUTE_PGM_RSRC2:TGID_Y_EN: 0
; COMPUTE_PGM_RSRC2:TGID_Z_EN: 1
; COMPUTE_PGM_RSRC2:TIDIG_COMP_CNT: 0
	.section	.text._ZL38rocblas_dot_kernel_gfx942_float_doubleIiLi1024E19rocblas_complex_numIdEPKPKS1_S1_EviT2_lT_lS6_lS7_lPT3_PT1_,"axG",@progbits,_ZL38rocblas_dot_kernel_gfx942_float_doubleIiLi1024E19rocblas_complex_numIdEPKPKS1_S1_EviT2_lT_lS6_lS7_lPT3_PT1_,comdat
	.globl	_ZL38rocblas_dot_kernel_gfx942_float_doubleIiLi1024E19rocblas_complex_numIdEPKPKS1_S1_EviT2_lT_lS6_lS7_lPT3_PT1_ ; -- Begin function _ZL38rocblas_dot_kernel_gfx942_float_doubleIiLi1024E19rocblas_complex_numIdEPKPKS1_S1_EviT2_lT_lS6_lS7_lPT3_PT1_
	.p2align	8
	.type	_ZL38rocblas_dot_kernel_gfx942_float_doubleIiLi1024E19rocblas_complex_numIdEPKPKS1_S1_EviT2_lT_lS6_lS7_lPT3_PT1_,@function
_ZL38rocblas_dot_kernel_gfx942_float_doubleIiLi1024E19rocblas_complex_numIdEPKPKS1_S1_EviT2_lT_lS6_lS7_lPT3_PT1_: ; @_ZL38rocblas_dot_kernel_gfx942_float_doubleIiLi1024E19rocblas_complex_numIdEPKPKS1_S1_EviT2_lT_lS6_lS7_lPT3_PT1_
; %bb.0:
	s_endpgm
	.section	.rodata,"a",@progbits
	.p2align	6, 0x0
	.amdhsa_kernel _ZL38rocblas_dot_kernel_gfx942_float_doubleIiLi1024E19rocblas_complex_numIdEPKPKS1_S1_EviT2_lT_lS6_lS7_lPT3_PT1_
		.amdhsa_group_segment_fixed_size 0
		.amdhsa_private_segment_fixed_size 0
		.amdhsa_kernarg_size 88
		.amdhsa_user_sgpr_count 15
		.amdhsa_user_sgpr_dispatch_ptr 0
		.amdhsa_user_sgpr_queue_ptr 0
		.amdhsa_user_sgpr_kernarg_segment_ptr 1
		.amdhsa_user_sgpr_dispatch_id 0
		.amdhsa_user_sgpr_private_segment_size 0
		.amdhsa_wavefront_size32 1
		.amdhsa_uses_dynamic_stack 0
		.amdhsa_enable_private_segment 0
		.amdhsa_system_sgpr_workgroup_id_x 1
		.amdhsa_system_sgpr_workgroup_id_y 0
		.amdhsa_system_sgpr_workgroup_id_z 0
		.amdhsa_system_sgpr_workgroup_info 0
		.amdhsa_system_vgpr_workitem_id 0
		.amdhsa_next_free_vgpr 1
		.amdhsa_next_free_sgpr 1
		.amdhsa_reserve_vcc 0
		.amdhsa_float_round_mode_32 0
		.amdhsa_float_round_mode_16_64 0
		.amdhsa_float_denorm_mode_32 3
		.amdhsa_float_denorm_mode_16_64 3
		.amdhsa_dx10_clamp 1
		.amdhsa_ieee_mode 1
		.amdhsa_fp16_overflow 0
		.amdhsa_workgroup_processor_mode 1
		.amdhsa_memory_ordered 1
		.amdhsa_forward_progress 0
		.amdhsa_shared_vgpr_count 0
		.amdhsa_exception_fp_ieee_invalid_op 0
		.amdhsa_exception_fp_denorm_src 0
		.amdhsa_exception_fp_ieee_div_zero 0
		.amdhsa_exception_fp_ieee_overflow 0
		.amdhsa_exception_fp_ieee_underflow 0
		.amdhsa_exception_fp_ieee_inexact 0
		.amdhsa_exception_int_div_zero 0
	.end_amdhsa_kernel
	.section	.text._ZL38rocblas_dot_kernel_gfx942_float_doubleIiLi1024E19rocblas_complex_numIdEPKPKS1_S1_EviT2_lT_lS6_lS7_lPT3_PT1_,"axG",@progbits,_ZL38rocblas_dot_kernel_gfx942_float_doubleIiLi1024E19rocblas_complex_numIdEPKPKS1_S1_EviT2_lT_lS6_lS7_lPT3_PT1_,comdat
.Lfunc_end230:
	.size	_ZL38rocblas_dot_kernel_gfx942_float_doubleIiLi1024E19rocblas_complex_numIdEPKPKS1_S1_EviT2_lT_lS6_lS7_lPT3_PT1_, .Lfunc_end230-_ZL38rocblas_dot_kernel_gfx942_float_doubleIiLi1024E19rocblas_complex_numIdEPKPKS1_S1_EviT2_lT_lS6_lS7_lPT3_PT1_
                                        ; -- End function
	.section	.AMDGPU.csdata,"",@progbits
; Kernel info:
; codeLenInByte = 4
; NumSgprs: 0
; NumVgprs: 0
; ScratchSize: 0
; MemoryBound: 0
; FloatMode: 240
; IeeeMode: 1
; LDSByteSize: 0 bytes/workgroup (compile time only)
; SGPRBlocks: 0
; VGPRBlocks: 0
; NumSGPRsForWavesPerEU: 1
; NumVGPRsForWavesPerEU: 1
; Occupancy: 16
; WaveLimiterHint : 0
; COMPUTE_PGM_RSRC2:SCRATCH_EN: 0
; COMPUTE_PGM_RSRC2:USER_SGPR: 15
; COMPUTE_PGM_RSRC2:TRAP_HANDLER: 0
; COMPUTE_PGM_RSRC2:TGID_X_EN: 1
; COMPUTE_PGM_RSRC2:TGID_Y_EN: 0
; COMPUTE_PGM_RSRC2:TGID_Z_EN: 0
; COMPUTE_PGM_RSRC2:TIDIG_COMP_CNT: 0
	.section	.text._ZL23rocblas_dot_kernel_inc1ILb0ELi512ELi2ELb0E19rocblas_complex_numIdEPKPKS1_S1_EviT4_llS6_lliPT5_PT3_,"axG",@progbits,_ZL23rocblas_dot_kernel_inc1ILb0ELi512ELi2ELb0E19rocblas_complex_numIdEPKPKS1_S1_EviT4_llS6_lliPT5_PT3_,comdat
	.globl	_ZL23rocblas_dot_kernel_inc1ILb0ELi512ELi2ELb0E19rocblas_complex_numIdEPKPKS1_S1_EviT4_llS6_lliPT5_PT3_ ; -- Begin function _ZL23rocblas_dot_kernel_inc1ILb0ELi512ELi2ELb0E19rocblas_complex_numIdEPKPKS1_S1_EviT4_llS6_lliPT5_PT3_
	.p2align	8
	.type	_ZL23rocblas_dot_kernel_inc1ILb0ELi512ELi2ELb0E19rocblas_complex_numIdEPKPKS1_S1_EviT4_llS6_lliPT5_PT3_,@function
_ZL23rocblas_dot_kernel_inc1ILb0ELi512ELi2ELb0E19rocblas_complex_numIdEPKPKS1_S1_EviT4_llS6_lliPT5_PT3_: ; @_ZL23rocblas_dot_kernel_inc1ILb0ELi512ELi2ELb0E19rocblas_complex_numIdEPKPKS1_S1_EviT4_llS6_lliPT5_PT3_
; %bb.0:
	s_clause 0x1
	s_load_b32 s6, s[0:1], 0x0
	s_load_b32 s3, s[0:1], 0x50
	v_mov_b32_e32 v1, 0
	v_mov_b32_e32 v2, 0
	v_lshl_or_b32 v5, s14, 9, v0
	s_mov_b32 s4, s15
	s_mov_b32 s5, 0
	s_mov_b32 s2, exec_lo
	v_dual_mov_b32 v4, v2 :: v_dual_mov_b32 v3, v1
	s_waitcnt lgkmcnt(0)
	v_cmpx_gt_i32_e64 s6, v5
	s_cbranch_execz .LBB231_4
; %bb.1:
	s_clause 0x1
	s_load_b128 s[8:11], s[0:1], 0x8
	s_load_b128 s[16:19], s[0:1], 0x20
	s_lshl_b64 s[12:13], s[4:5], 3
	v_ashrrev_i32_e32 v6, 31, v5
	s_delay_alu instid0(VALU_DEP_1)
	v_lshlrev_b64 v[1:2], 4, v[5:6]
	s_waitcnt lgkmcnt(0)
	s_add_u32 s8, s8, s12
	s_addc_u32 s9, s9, s13
	s_lshl_b64 s[10:11], s[10:11], 4
	s_load_b64 s[8:9], s[8:9], 0x0
	s_waitcnt lgkmcnt(0)
	s_add_u32 s7, s8, s10
	s_addc_u32 s8, s9, s11
	s_add_u32 s10, s16, s12
	s_addc_u32 s11, s17, s13
	s_lshl_b64 s[12:13], s[18:19], 4
	s_load_b64 s[10:11], s[10:11], 0x0
	v_add_co_u32 v3, vcc_lo, s7, v1
	v_add_co_ci_u32_e32 v4, vcc_lo, s8, v2, vcc_lo
	s_waitcnt lgkmcnt(0)
	s_add_u32 s9, s10, s12
	s_addc_u32 s10, s11, s13
	v_add_co_u32 v5, vcc_lo, s9, v1
	v_add_co_ci_u32_e32 v6, vcc_lo, s10, v2, vcc_lo
	s_add_i32 s11, s14, s3
	global_load_b128 v[1:4], v[3:4], off
	global_load_b128 v[5:8], v[5:6], off
	s_waitcnt vmcnt(0)
	v_mul_f64 v[9:10], v[7:8], v[3:4]
	v_mul_f64 v[3:4], v[5:6], v[3:4]
	s_delay_alu instid0(VALU_DEP_2) | instskip(NEXT) | instid1(VALU_DEP_2)
	v_fma_f64 v[5:6], v[5:6], v[1:2], -v[9:10]
	v_fma_f64 v[3:4], v[7:8], v[1:2], v[3:4]
	s_delay_alu instid0(VALU_DEP_2) | instskip(NEXT) | instid1(VALU_DEP_2)
	v_add_f64 v[1:2], v[5:6], 0
	v_add_f64 v[3:4], v[3:4], 0
	v_lshl_or_b32 v5, s11, 9, v0
	s_delay_alu instid0(VALU_DEP_1)
	v_cmp_gt_i32_e32 vcc_lo, s6, v5
	s_and_saveexec_b32 s6, vcc_lo
	s_cbranch_execz .LBB231_3
; %bb.2:
	v_ashrrev_i32_e32 v6, 31, v5
	s_delay_alu instid0(VALU_DEP_1) | instskip(NEXT) | instid1(VALU_DEP_1)
	v_lshlrev_b64 v[5:6], 4, v[5:6]
	v_add_co_u32 v7, vcc_lo, s9, v5
	s_delay_alu instid0(VALU_DEP_2)
	v_add_co_ci_u32_e32 v8, vcc_lo, s10, v6, vcc_lo
	v_add_co_u32 v9, vcc_lo, s7, v5
	v_add_co_ci_u32_e32 v10, vcc_lo, s8, v6, vcc_lo
	global_load_b128 v[5:8], v[7:8], off
	global_load_b128 v[9:12], v[9:10], off
	s_waitcnt vmcnt(0)
	v_mul_f64 v[13:14], v[5:6], v[11:12]
	v_mul_f64 v[11:12], v[7:8], v[11:12]
	s_delay_alu instid0(VALU_DEP_2) | instskip(NEXT) | instid1(VALU_DEP_2)
	v_fma_f64 v[7:8], v[7:8], v[9:10], v[13:14]
	v_fma_f64 v[5:6], v[5:6], v[9:10], -v[11:12]
	s_delay_alu instid0(VALU_DEP_2) | instskip(NEXT) | instid1(VALU_DEP_2)
	v_add_f64 v[3:4], v[3:4], v[7:8]
	v_add_f64 v[1:2], v[1:2], v[5:6]
.LBB231_3:
	s_or_b32 exec_lo, exec_lo, s6
.LBB231_4:
	s_delay_alu instid0(SALU_CYCLE_1) | instskip(SKIP_2) | instid1(VALU_DEP_2)
	s_or_b32 exec_lo, exec_lo, s2
	v_and_b32_e32 v14, 31, v0
	v_cmp_gt_u32_e32 vcc_lo, 32, v0
	v_lshlrev_b32_e32 v9, 4, v14
	s_and_saveexec_b32 s2, vcc_lo
	s_cbranch_execz .LBB231_6
; %bb.5:
	v_mov_b32_e32 v5, 0
	s_delay_alu instid0(VALU_DEP_1)
	v_mov_b32_e32 v6, v5
	v_mov_b32_e32 v7, v5
	;; [unrolled: 1-line block ×3, first 2 shown]
	ds_store_b128 v9, v[5:8]
.LBB231_6:
	s_or_b32 exec_lo, exec_lo, s2
	v_mbcnt_lo_u32_b32 v13, -1, 0
	s_mov_b32 s6, exec_lo
	s_waitcnt lgkmcnt(0)
	s_barrier
	buffer_gl0_inv
	v_cmp_gt_u32_e64 s2, 16, v13
	s_delay_alu instid0(VALU_DEP_1) | instskip(SKIP_1) | instid1(VALU_DEP_2)
	v_cndmask_b32_e64 v5, 0, 1, s2
	v_cmp_gt_u32_e64 s2, 24, v13
	v_lshlrev_b32_e32 v5, 4, v5
	s_delay_alu instid0(VALU_DEP_1)
	v_add_lshl_u32 v8, v5, v13, 2
	ds_bpermute_b32 v5, v8, v1
	ds_bpermute_b32 v6, v8, v2
	;; [unrolled: 1-line block ×4, first 2 shown]
	s_waitcnt lgkmcnt(2)
	v_add_f64 v[1:2], v[1:2], v[5:6]
	v_cndmask_b32_e64 v5, 0, 1, s2
	s_waitcnt lgkmcnt(0)
	v_add_f64 v[3:4], v[3:4], v[7:8]
	v_cmp_gt_u32_e64 s2, 28, v13
	s_delay_alu instid0(VALU_DEP_3) | instskip(NEXT) | instid1(VALU_DEP_1)
	v_lshlrev_b32_e32 v5, 3, v5
	v_add_lshl_u32 v10, v5, v13, 2
	ds_bpermute_b32 v5, v10, v1
	ds_bpermute_b32 v6, v10, v2
	;; [unrolled: 1-line block ×4, first 2 shown]
	s_waitcnt lgkmcnt(2)
	v_add_f64 v[1:2], v[1:2], v[5:6]
	v_cndmask_b32_e64 v5, 0, 1, s2
	s_waitcnt lgkmcnt(0)
	v_add_f64 v[3:4], v[3:4], v[7:8]
	v_cmp_gt_u32_e64 s2, 30, v13
	s_delay_alu instid0(VALU_DEP_3) | instskip(NEXT) | instid1(VALU_DEP_1)
	v_lshlrev_b32_e32 v5, 2, v5
	v_add_lshl_u32 v11, v5, v13, 2
	ds_bpermute_b32 v5, v11, v1
	ds_bpermute_b32 v6, v11, v2
	;; [unrolled: 1-line block ×4, first 2 shown]
	s_waitcnt lgkmcnt(2)
	v_add_f64 v[1:2], v[1:2], v[5:6]
	v_cndmask_b32_e64 v5, 0, 1, s2
	s_waitcnt lgkmcnt(0)
	v_add_f64 v[3:4], v[3:4], v[7:8]
	v_cmp_ne_u32_e64 s2, 31, v13
	s_delay_alu instid0(VALU_DEP_3) | instskip(NEXT) | instid1(VALU_DEP_1)
	v_lshlrev_b32_e32 v5, 1, v5
	v_add_lshl_u32 v12, v5, v13, 2
	ds_bpermute_b32 v5, v12, v1
	ds_bpermute_b32 v6, v12, v2
	ds_bpermute_b32 v7, v12, v3
	ds_bpermute_b32 v8, v12, v4
	s_waitcnt lgkmcnt(2)
	v_add_f64 v[1:2], v[1:2], v[5:6]
	s_waitcnt lgkmcnt(0)
	v_add_f64 v[5:6], v[3:4], v[7:8]
	v_add_co_ci_u32_e64 v3, s2, 0, v13, s2
	s_delay_alu instid0(VALU_DEP_1)
	v_lshlrev_b32_e32 v13, 2, v3
	ds_bpermute_b32 v3, v13, v1
	ds_bpermute_b32 v4, v13, v2
	;; [unrolled: 1-line block ×4, first 2 shown]
	v_cmpx_eq_u32_e32 0, v14
	s_cbranch_execz .LBB231_8
; %bb.7:
	s_waitcnt lgkmcnt(0)
	v_add_f64 v[5:6], v[5:6], v[7:8]
	v_add_f64 v[3:4], v[1:2], v[3:4]
	v_lshrrev_b32_e32 v1, 1, v0
	s_delay_alu instid0(VALU_DEP_1)
	v_and_b32_e32 v1, 0xf0, v1
	ds_store_b128 v1, v[3:6]
.LBB231_8:
	s_or_b32 exec_lo, exec_lo, s6
	s_waitcnt lgkmcnt(2)
	v_mov_b32_e32 v3, 0
	v_mov_b32_e32 v4, 0
	s_delay_alu instid0(VALU_DEP_2)
	v_mov_b32_e32 v1, v3
	s_mov_b32 s6, exec_lo
	s_waitcnt lgkmcnt(0)
	s_barrier
	v_mov_b32_e32 v2, v4
	buffer_gl0_inv
	v_cmpx_gt_u32_e32 16, v0
	s_cbranch_execz .LBB231_10
; %bb.9:
	ds_load_b128 v[1:4], v9
.LBB231_10:
	s_or_b32 exec_lo, exec_lo, s6
	s_and_saveexec_b32 s2, vcc_lo
	s_cbranch_execz .LBB231_12
; %bb.11:
	s_waitcnt lgkmcnt(0)
	ds_bpermute_b32 v5, v10, v1
	ds_bpermute_b32 v6, v10, v2
	ds_bpermute_b32 v7, v10, v3
	ds_bpermute_b32 v8, v10, v4
	s_waitcnt lgkmcnt(2)
	v_add_f64 v[1:2], v[1:2], v[5:6]
	s_waitcnt lgkmcnt(0)
	v_add_f64 v[3:4], v[3:4], v[7:8]
	ds_bpermute_b32 v5, v11, v1
	ds_bpermute_b32 v6, v11, v2
	ds_bpermute_b32 v7, v11, v3
	ds_bpermute_b32 v8, v11, v4
	s_waitcnt lgkmcnt(2)
	v_add_f64 v[1:2], v[1:2], v[5:6]
	s_waitcnt lgkmcnt(0)
	v_add_f64 v[3:4], v[3:4], v[7:8]
	;; [unrolled: 8-line block ×4, first 2 shown]
.LBB231_12:
	s_or_b32 exec_lo, exec_lo, s2
	s_delay_alu instid0(SALU_CYCLE_1)
	s_mov_b32 s2, exec_lo
	v_cmpx_eq_u32_e32 0, v0
	s_cbranch_execz .LBB231_18
; %bb.13:
	s_cmp_lg_u32 s3, 1
	s_cbranch_scc0 .LBB231_15
; %bb.14:
	s_load_b64 s[6:7], s[0:1], 0x40
	s_mul_hi_u32 s9, s3, s4
	s_mul_i32 s8, s3, s4
	s_mov_b32 s15, 0
	s_lshl_b64 s[2:3], s[8:9], 4
	s_waitcnt lgkmcnt(0)
	s_add_u32 s6, s6, s2
	s_addc_u32 s7, s7, s3
	s_lshl_b64 s[2:3], s[14:15], 4
	s_delay_alu instid0(SALU_CYCLE_1)
	s_add_u32 s2, s6, s2
	s_addc_u32 s3, s7, s3
	s_cbranch_execz .LBB231_16
	s_branch .LBB231_17
.LBB231_15:
                                        ; implicit-def: $sgpr2_sgpr3
.LBB231_16:
	s_load_b64 s[0:1], s[0:1], 0x48
	s_lshl_b64 s[2:3], s[4:5], 4
	s_waitcnt lgkmcnt(0)
	s_add_u32 s2, s0, s2
	s_addc_u32 s3, s1, s3
.LBB231_17:
	v_mov_b32_e32 v0, 0
	s_waitcnt lgkmcnt(0)
	global_store_b128 v0, v[1:4], s[2:3]
.LBB231_18:
	s_nop 0
	s_sendmsg sendmsg(MSG_DEALLOC_VGPRS)
	s_endpgm
	.section	.rodata,"a",@progbits
	.p2align	6, 0x0
	.amdhsa_kernel _ZL23rocblas_dot_kernel_inc1ILb0ELi512ELi2ELb0E19rocblas_complex_numIdEPKPKS1_S1_EviT4_llS6_lliPT5_PT3_
		.amdhsa_group_segment_fixed_size 512
		.amdhsa_private_segment_fixed_size 0
		.amdhsa_kernarg_size 336
		.amdhsa_user_sgpr_count 14
		.amdhsa_user_sgpr_dispatch_ptr 0
		.amdhsa_user_sgpr_queue_ptr 0
		.amdhsa_user_sgpr_kernarg_segment_ptr 1
		.amdhsa_user_sgpr_dispatch_id 0
		.amdhsa_user_sgpr_private_segment_size 0
		.amdhsa_wavefront_size32 1
		.amdhsa_uses_dynamic_stack 0
		.amdhsa_enable_private_segment 0
		.amdhsa_system_sgpr_workgroup_id_x 1
		.amdhsa_system_sgpr_workgroup_id_y 0
		.amdhsa_system_sgpr_workgroup_id_z 1
		.amdhsa_system_sgpr_workgroup_info 0
		.amdhsa_system_vgpr_workitem_id 0
		.amdhsa_next_free_vgpr 15
		.amdhsa_next_free_sgpr 20
		.amdhsa_reserve_vcc 1
		.amdhsa_float_round_mode_32 0
		.amdhsa_float_round_mode_16_64 0
		.amdhsa_float_denorm_mode_32 3
		.amdhsa_float_denorm_mode_16_64 3
		.amdhsa_dx10_clamp 1
		.amdhsa_ieee_mode 1
		.amdhsa_fp16_overflow 0
		.amdhsa_workgroup_processor_mode 1
		.amdhsa_memory_ordered 1
		.amdhsa_forward_progress 0
		.amdhsa_shared_vgpr_count 0
		.amdhsa_exception_fp_ieee_invalid_op 0
		.amdhsa_exception_fp_denorm_src 0
		.amdhsa_exception_fp_ieee_div_zero 0
		.amdhsa_exception_fp_ieee_overflow 0
		.amdhsa_exception_fp_ieee_underflow 0
		.amdhsa_exception_fp_ieee_inexact 0
		.amdhsa_exception_int_div_zero 0
	.end_amdhsa_kernel
	.section	.text._ZL23rocblas_dot_kernel_inc1ILb0ELi512ELi2ELb0E19rocblas_complex_numIdEPKPKS1_S1_EviT4_llS6_lliPT5_PT3_,"axG",@progbits,_ZL23rocblas_dot_kernel_inc1ILb0ELi512ELi2ELb0E19rocblas_complex_numIdEPKPKS1_S1_EviT4_llS6_lliPT5_PT3_,comdat
.Lfunc_end231:
	.size	_ZL23rocblas_dot_kernel_inc1ILb0ELi512ELi2ELb0E19rocblas_complex_numIdEPKPKS1_S1_EviT4_llS6_lliPT5_PT3_, .Lfunc_end231-_ZL23rocblas_dot_kernel_inc1ILb0ELi512ELi2ELb0E19rocblas_complex_numIdEPKPKS1_S1_EviT4_llS6_lliPT5_PT3_
                                        ; -- End function
	.section	.AMDGPU.csdata,"",@progbits
; Kernel info:
; codeLenInByte = 1428
; NumSgprs: 22
; NumVgprs: 15
; ScratchSize: 0
; MemoryBound: 0
; FloatMode: 240
; IeeeMode: 1
; LDSByteSize: 512 bytes/workgroup (compile time only)
; SGPRBlocks: 2
; VGPRBlocks: 1
; NumSGPRsForWavesPerEU: 22
; NumVGPRsForWavesPerEU: 15
; Occupancy: 16
; WaveLimiterHint : 1
; COMPUTE_PGM_RSRC2:SCRATCH_EN: 0
; COMPUTE_PGM_RSRC2:USER_SGPR: 14
; COMPUTE_PGM_RSRC2:TRAP_HANDLER: 0
; COMPUTE_PGM_RSRC2:TGID_X_EN: 1
; COMPUTE_PGM_RSRC2:TGID_Y_EN: 0
; COMPUTE_PGM_RSRC2:TGID_Z_EN: 1
; COMPUTE_PGM_RSRC2:TIDIG_COMP_CNT: 0
	.section	.text._ZL18rocblas_dot_kernelIiLb0ELi512ELi2ELb0E19rocblas_complex_numIdEPKPKS1_S1_EviT5_lT_lS6_lS7_liPT6_PT4_,"axG",@progbits,_ZL18rocblas_dot_kernelIiLb0ELi512ELi2ELb0E19rocblas_complex_numIdEPKPKS1_S1_EviT5_lT_lS6_lS7_liPT6_PT4_,comdat
	.globl	_ZL18rocblas_dot_kernelIiLb0ELi512ELi2ELb0E19rocblas_complex_numIdEPKPKS1_S1_EviT5_lT_lS6_lS7_liPT6_PT4_ ; -- Begin function _ZL18rocblas_dot_kernelIiLb0ELi512ELi2ELb0E19rocblas_complex_numIdEPKPKS1_S1_EviT5_lT_lS6_lS7_liPT6_PT4_
	.p2align	8
	.type	_ZL18rocblas_dot_kernelIiLb0ELi512ELi2ELb0E19rocblas_complex_numIdEPKPKS1_S1_EviT5_lT_lS6_lS7_liPT6_PT4_,@function
_ZL18rocblas_dot_kernelIiLb0ELi512ELi2ELb0E19rocblas_complex_numIdEPKPKS1_S1_EviT5_lT_lS6_lS7_liPT6_PT4_: ; @_ZL18rocblas_dot_kernelIiLb0ELi512ELi2ELb0E19rocblas_complex_numIdEPKPKS1_S1_EviT5_lT_lS6_lS7_liPT6_PT4_
; %bb.0:
	s_clause 0x1
	s_load_b32 s7, s[0:1], 0x0
	s_load_b32 s3, s[0:1], 0x60
	v_mov_b32_e32 v1, 0
	v_mov_b32_e32 v2, 0
	v_lshl_or_b32 v5, s14, 9, v0
	s_mov_b32 s4, s15
	s_mov_b32 s5, 0
	s_mov_b32 s2, exec_lo
	v_dual_mov_b32 v4, v2 :: v_dual_mov_b32 v3, v1
	s_waitcnt lgkmcnt(0)
	v_cmpx_gt_i32_e64 s7, v5
	s_cbranch_execz .LBB232_4
; %bb.1:
	s_clause 0x1
	s_load_b128 s[16:19], s[0:1], 0x8
	s_load_b32 s6, s[0:1], 0x18
	s_lshl_b64 s[12:13], s[4:5], 3
	s_waitcnt lgkmcnt(0)
	s_add_u32 s8, s16, s12
	s_addc_u32 s9, s17, s13
	s_lshl_b64 s[16:17], s[18:19], 4
	s_load_b64 s[8:9], s[8:9], 0x0
	s_clause 0x1
	s_load_b128 s[20:23], s[0:1], 0x28
	s_load_b32 s10, s[0:1], 0x38
	v_mad_i64_i32 v[1:2], null, v5, s6, 0
	s_delay_alu instid0(VALU_DEP_1)
	v_lshlrev_b64 v[1:2], 4, v[1:2]
	s_waitcnt lgkmcnt(0)
	s_add_u32 s8, s8, s16
	s_addc_u32 s9, s9, s17
	s_add_u32 s12, s20, s12
	s_addc_u32 s13, s21, s13
	v_mad_i64_i32 v[3:4], null, v5, s10, 0
	s_load_b64 s[12:13], s[12:13], 0x0
	s_lshl_b64 s[16:17], s[22:23], 4
	v_add_co_u32 v1, vcc_lo, s8, v1
	v_add_co_ci_u32_e32 v2, vcc_lo, s9, v2, vcc_lo
	s_delay_alu instid0(VALU_DEP_3) | instskip(SKIP_3) | instid1(VALU_DEP_1)
	v_lshlrev_b64 v[3:4], 4, v[3:4]
	s_waitcnt lgkmcnt(0)
	s_add_u32 s11, s12, s16
	s_addc_u32 s12, s13, s17
	v_add_co_u32 v5, vcc_lo, s11, v3
	s_delay_alu instid0(VALU_DEP_2)
	v_add_co_ci_u32_e32 v6, vcc_lo, s12, v4, vcc_lo
	s_add_i32 s13, s14, s3
	global_load_b128 v[1:4], v[1:2], off
	global_load_b128 v[5:8], v[5:6], off
	s_waitcnt vmcnt(0)
	v_mul_f64 v[9:10], v[7:8], v[3:4]
	v_mul_f64 v[3:4], v[5:6], v[3:4]
	s_delay_alu instid0(VALU_DEP_2) | instskip(NEXT) | instid1(VALU_DEP_2)
	v_fma_f64 v[5:6], v[5:6], v[1:2], -v[9:10]
	v_fma_f64 v[3:4], v[7:8], v[1:2], v[3:4]
	s_delay_alu instid0(VALU_DEP_2) | instskip(NEXT) | instid1(VALU_DEP_2)
	v_add_f64 v[1:2], v[5:6], 0
	v_add_f64 v[3:4], v[3:4], 0
	v_lshl_or_b32 v5, s13, 9, v0
	s_delay_alu instid0(VALU_DEP_1)
	v_cmp_gt_i32_e32 vcc_lo, s7, v5
	s_and_saveexec_b32 s7, vcc_lo
	s_cbranch_execz .LBB232_3
; %bb.2:
	v_mad_i64_i32 v[6:7], null, v5, s10, 0
	v_mad_i64_i32 v[8:9], null, v5, s6, 0
	s_delay_alu instid0(VALU_DEP_2) | instskip(NEXT) | instid1(VALU_DEP_2)
	v_lshlrev_b64 v[5:6], 4, v[6:7]
	v_lshlrev_b64 v[7:8], 4, v[8:9]
	s_delay_alu instid0(VALU_DEP_2) | instskip(NEXT) | instid1(VALU_DEP_3)
	v_add_co_u32 v5, vcc_lo, s11, v5
	v_add_co_ci_u32_e32 v6, vcc_lo, s12, v6, vcc_lo
	s_delay_alu instid0(VALU_DEP_3) | instskip(NEXT) | instid1(VALU_DEP_4)
	v_add_co_u32 v9, vcc_lo, s8, v7
	v_add_co_ci_u32_e32 v10, vcc_lo, s9, v8, vcc_lo
	global_load_b128 v[5:8], v[5:6], off
	global_load_b128 v[9:12], v[9:10], off
	s_waitcnt vmcnt(0)
	v_mul_f64 v[13:14], v[5:6], v[11:12]
	v_mul_f64 v[11:12], v[7:8], v[11:12]
	s_delay_alu instid0(VALU_DEP_2) | instskip(NEXT) | instid1(VALU_DEP_2)
	v_fma_f64 v[7:8], v[7:8], v[9:10], v[13:14]
	v_fma_f64 v[5:6], v[5:6], v[9:10], -v[11:12]
	s_delay_alu instid0(VALU_DEP_2) | instskip(NEXT) | instid1(VALU_DEP_2)
	v_add_f64 v[3:4], v[3:4], v[7:8]
	v_add_f64 v[1:2], v[1:2], v[5:6]
.LBB232_3:
	s_or_b32 exec_lo, exec_lo, s7
.LBB232_4:
	s_delay_alu instid0(SALU_CYCLE_1) | instskip(SKIP_2) | instid1(VALU_DEP_2)
	s_or_b32 exec_lo, exec_lo, s2
	v_and_b32_e32 v14, 31, v0
	v_cmp_gt_u32_e32 vcc_lo, 32, v0
	v_lshlrev_b32_e32 v9, 4, v14
	s_and_saveexec_b32 s2, vcc_lo
	s_cbranch_execz .LBB232_6
; %bb.5:
	v_mov_b32_e32 v5, 0
	s_delay_alu instid0(VALU_DEP_1)
	v_mov_b32_e32 v6, v5
	v_mov_b32_e32 v7, v5
	;; [unrolled: 1-line block ×3, first 2 shown]
	ds_store_b128 v9, v[5:8]
.LBB232_6:
	s_or_b32 exec_lo, exec_lo, s2
	v_mbcnt_lo_u32_b32 v13, -1, 0
	s_mov_b32 s6, exec_lo
	s_waitcnt lgkmcnt(0)
	s_barrier
	buffer_gl0_inv
	v_cmp_gt_u32_e64 s2, 16, v13
	s_delay_alu instid0(VALU_DEP_1) | instskip(SKIP_1) | instid1(VALU_DEP_2)
	v_cndmask_b32_e64 v5, 0, 1, s2
	v_cmp_gt_u32_e64 s2, 24, v13
	v_lshlrev_b32_e32 v5, 4, v5
	s_delay_alu instid0(VALU_DEP_1)
	v_add_lshl_u32 v8, v5, v13, 2
	ds_bpermute_b32 v5, v8, v1
	ds_bpermute_b32 v6, v8, v2
	;; [unrolled: 1-line block ×4, first 2 shown]
	s_waitcnt lgkmcnt(2)
	v_add_f64 v[1:2], v[1:2], v[5:6]
	v_cndmask_b32_e64 v5, 0, 1, s2
	s_waitcnt lgkmcnt(0)
	v_add_f64 v[3:4], v[3:4], v[7:8]
	v_cmp_gt_u32_e64 s2, 28, v13
	s_delay_alu instid0(VALU_DEP_3) | instskip(NEXT) | instid1(VALU_DEP_1)
	v_lshlrev_b32_e32 v5, 3, v5
	v_add_lshl_u32 v10, v5, v13, 2
	ds_bpermute_b32 v5, v10, v1
	ds_bpermute_b32 v6, v10, v2
	;; [unrolled: 1-line block ×4, first 2 shown]
	s_waitcnt lgkmcnt(2)
	v_add_f64 v[1:2], v[1:2], v[5:6]
	v_cndmask_b32_e64 v5, 0, 1, s2
	s_waitcnt lgkmcnt(0)
	v_add_f64 v[3:4], v[3:4], v[7:8]
	v_cmp_gt_u32_e64 s2, 30, v13
	s_delay_alu instid0(VALU_DEP_3) | instskip(NEXT) | instid1(VALU_DEP_1)
	v_lshlrev_b32_e32 v5, 2, v5
	v_add_lshl_u32 v11, v5, v13, 2
	ds_bpermute_b32 v5, v11, v1
	ds_bpermute_b32 v6, v11, v2
	;; [unrolled: 1-line block ×4, first 2 shown]
	s_waitcnt lgkmcnt(2)
	v_add_f64 v[1:2], v[1:2], v[5:6]
	v_cndmask_b32_e64 v5, 0, 1, s2
	s_waitcnt lgkmcnt(0)
	v_add_f64 v[3:4], v[3:4], v[7:8]
	v_cmp_ne_u32_e64 s2, 31, v13
	s_delay_alu instid0(VALU_DEP_3) | instskip(NEXT) | instid1(VALU_DEP_1)
	v_lshlrev_b32_e32 v5, 1, v5
	v_add_lshl_u32 v12, v5, v13, 2
	ds_bpermute_b32 v5, v12, v1
	ds_bpermute_b32 v6, v12, v2
	;; [unrolled: 1-line block ×4, first 2 shown]
	s_waitcnt lgkmcnt(2)
	v_add_f64 v[1:2], v[1:2], v[5:6]
	s_waitcnt lgkmcnt(0)
	v_add_f64 v[5:6], v[3:4], v[7:8]
	v_add_co_ci_u32_e64 v3, s2, 0, v13, s2
	s_delay_alu instid0(VALU_DEP_1)
	v_lshlrev_b32_e32 v13, 2, v3
	ds_bpermute_b32 v3, v13, v1
	ds_bpermute_b32 v4, v13, v2
	;; [unrolled: 1-line block ×4, first 2 shown]
	v_cmpx_eq_u32_e32 0, v14
	s_cbranch_execz .LBB232_8
; %bb.7:
	s_waitcnt lgkmcnt(0)
	v_add_f64 v[5:6], v[5:6], v[7:8]
	v_add_f64 v[3:4], v[1:2], v[3:4]
	v_lshrrev_b32_e32 v1, 1, v0
	s_delay_alu instid0(VALU_DEP_1)
	v_and_b32_e32 v1, 0xf0, v1
	ds_store_b128 v1, v[3:6]
.LBB232_8:
	s_or_b32 exec_lo, exec_lo, s6
	s_waitcnt lgkmcnt(2)
	v_mov_b32_e32 v3, 0
	v_mov_b32_e32 v4, 0
	s_delay_alu instid0(VALU_DEP_2)
	v_mov_b32_e32 v1, v3
	s_mov_b32 s6, exec_lo
	s_waitcnt lgkmcnt(0)
	s_barrier
	v_mov_b32_e32 v2, v4
	buffer_gl0_inv
	v_cmpx_gt_u32_e32 16, v0
	s_cbranch_execz .LBB232_10
; %bb.9:
	ds_load_b128 v[1:4], v9
.LBB232_10:
	s_or_b32 exec_lo, exec_lo, s6
	s_and_saveexec_b32 s2, vcc_lo
	s_cbranch_execz .LBB232_12
; %bb.11:
	s_waitcnt lgkmcnt(0)
	ds_bpermute_b32 v5, v10, v1
	ds_bpermute_b32 v6, v10, v2
	ds_bpermute_b32 v7, v10, v3
	ds_bpermute_b32 v8, v10, v4
	s_waitcnt lgkmcnt(2)
	v_add_f64 v[1:2], v[1:2], v[5:6]
	s_waitcnt lgkmcnt(0)
	v_add_f64 v[3:4], v[3:4], v[7:8]
	ds_bpermute_b32 v5, v11, v1
	ds_bpermute_b32 v6, v11, v2
	ds_bpermute_b32 v7, v11, v3
	ds_bpermute_b32 v8, v11, v4
	s_waitcnt lgkmcnt(2)
	v_add_f64 v[1:2], v[1:2], v[5:6]
	s_waitcnt lgkmcnt(0)
	v_add_f64 v[3:4], v[3:4], v[7:8]
	;; [unrolled: 8-line block ×4, first 2 shown]
.LBB232_12:
	s_or_b32 exec_lo, exec_lo, s2
	s_delay_alu instid0(SALU_CYCLE_1)
	s_mov_b32 s2, exec_lo
	v_cmpx_eq_u32_e32 0, v0
	s_cbranch_execz .LBB232_18
; %bb.13:
	s_cmp_lg_u32 s3, 1
	s_cbranch_scc0 .LBB232_15
; %bb.14:
	s_load_b64 s[6:7], s[0:1], 0x50
	s_mul_hi_u32 s9, s3, s4
	s_mul_i32 s8, s3, s4
	s_mov_b32 s15, 0
	s_lshl_b64 s[2:3], s[8:9], 4
	s_waitcnt lgkmcnt(0)
	s_add_u32 s6, s6, s2
	s_addc_u32 s7, s7, s3
	s_lshl_b64 s[2:3], s[14:15], 4
	s_delay_alu instid0(SALU_CYCLE_1)
	s_add_u32 s2, s6, s2
	s_addc_u32 s3, s7, s3
	s_cbranch_execz .LBB232_16
	s_branch .LBB232_17
.LBB232_15:
                                        ; implicit-def: $sgpr2_sgpr3
.LBB232_16:
	s_load_b64 s[0:1], s[0:1], 0x58
	s_lshl_b64 s[2:3], s[4:5], 4
	s_waitcnt lgkmcnt(0)
	s_add_u32 s2, s0, s2
	s_addc_u32 s3, s1, s3
.LBB232_17:
	v_mov_b32_e32 v0, 0
	s_waitcnt lgkmcnt(0)
	global_store_b128 v0, v[1:4], s[2:3]
.LBB232_18:
	s_nop 0
	s_sendmsg sendmsg(MSG_DEALLOC_VGPRS)
	s_endpgm
	.section	.rodata,"a",@progbits
	.p2align	6, 0x0
	.amdhsa_kernel _ZL18rocblas_dot_kernelIiLb0ELi512ELi2ELb0E19rocblas_complex_numIdEPKPKS1_S1_EviT5_lT_lS6_lS7_liPT6_PT4_
		.amdhsa_group_segment_fixed_size 512
		.amdhsa_private_segment_fixed_size 0
		.amdhsa_kernarg_size 352
		.amdhsa_user_sgpr_count 14
		.amdhsa_user_sgpr_dispatch_ptr 0
		.amdhsa_user_sgpr_queue_ptr 0
		.amdhsa_user_sgpr_kernarg_segment_ptr 1
		.amdhsa_user_sgpr_dispatch_id 0
		.amdhsa_user_sgpr_private_segment_size 0
		.amdhsa_wavefront_size32 1
		.amdhsa_uses_dynamic_stack 0
		.amdhsa_enable_private_segment 0
		.amdhsa_system_sgpr_workgroup_id_x 1
		.amdhsa_system_sgpr_workgroup_id_y 0
		.amdhsa_system_sgpr_workgroup_id_z 1
		.amdhsa_system_sgpr_workgroup_info 0
		.amdhsa_system_vgpr_workitem_id 0
		.amdhsa_next_free_vgpr 15
		.amdhsa_next_free_sgpr 24
		.amdhsa_reserve_vcc 1
		.amdhsa_float_round_mode_32 0
		.amdhsa_float_round_mode_16_64 0
		.amdhsa_float_denorm_mode_32 3
		.amdhsa_float_denorm_mode_16_64 3
		.amdhsa_dx10_clamp 1
		.amdhsa_ieee_mode 1
		.amdhsa_fp16_overflow 0
		.amdhsa_workgroup_processor_mode 1
		.amdhsa_memory_ordered 1
		.amdhsa_forward_progress 0
		.amdhsa_shared_vgpr_count 0
		.amdhsa_exception_fp_ieee_invalid_op 0
		.amdhsa_exception_fp_denorm_src 0
		.amdhsa_exception_fp_ieee_div_zero 0
		.amdhsa_exception_fp_ieee_overflow 0
		.amdhsa_exception_fp_ieee_underflow 0
		.amdhsa_exception_fp_ieee_inexact 0
		.amdhsa_exception_int_div_zero 0
	.end_amdhsa_kernel
	.section	.text._ZL18rocblas_dot_kernelIiLb0ELi512ELi2ELb0E19rocblas_complex_numIdEPKPKS1_S1_EviT5_lT_lS6_lS7_liPT6_PT4_,"axG",@progbits,_ZL18rocblas_dot_kernelIiLb0ELi512ELi2ELb0E19rocblas_complex_numIdEPKPKS1_S1_EviT5_lT_lS6_lS7_liPT6_PT4_,comdat
.Lfunc_end232:
	.size	_ZL18rocblas_dot_kernelIiLb0ELi512ELi2ELb0E19rocblas_complex_numIdEPKPKS1_S1_EviT5_lT_lS6_lS7_liPT6_PT4_, .Lfunc_end232-_ZL18rocblas_dot_kernelIiLb0ELi512ELi2ELb0E19rocblas_complex_numIdEPKPKS1_S1_EviT5_lT_lS6_lS7_liPT6_PT4_
                                        ; -- End function
	.section	.AMDGPU.csdata,"",@progbits
; Kernel info:
; codeLenInByte = 1500
; NumSgprs: 26
; NumVgprs: 15
; ScratchSize: 0
; MemoryBound: 0
; FloatMode: 240
; IeeeMode: 1
; LDSByteSize: 512 bytes/workgroup (compile time only)
; SGPRBlocks: 3
; VGPRBlocks: 1
; NumSGPRsForWavesPerEU: 26
; NumVGPRsForWavesPerEU: 15
; Occupancy: 16
; WaveLimiterHint : 1
; COMPUTE_PGM_RSRC2:SCRATCH_EN: 0
; COMPUTE_PGM_RSRC2:USER_SGPR: 14
; COMPUTE_PGM_RSRC2:TRAP_HANDLER: 0
; COMPUTE_PGM_RSRC2:TGID_X_EN: 1
; COMPUTE_PGM_RSRC2:TGID_Y_EN: 0
; COMPUTE_PGM_RSRC2:TGID_Z_EN: 1
; COMPUTE_PGM_RSRC2:TIDIG_COMP_CNT: 0
	.section	.text._ZL24rocblas_dot_kernel_magsqIiLb0ELi512ELi2ELb0E19rocblas_complex_numIdEPKPKS1_S1_EviT5_lT_liPT6_PT4_,"axG",@progbits,_ZL24rocblas_dot_kernel_magsqIiLb0ELi512ELi2ELb0E19rocblas_complex_numIdEPKPKS1_S1_EviT5_lT_liPT6_PT4_,comdat
	.globl	_ZL24rocblas_dot_kernel_magsqIiLb0ELi512ELi2ELb0E19rocblas_complex_numIdEPKPKS1_S1_EviT5_lT_liPT6_PT4_ ; -- Begin function _ZL24rocblas_dot_kernel_magsqIiLb0ELi512ELi2ELb0E19rocblas_complex_numIdEPKPKS1_S1_EviT5_lT_liPT6_PT4_
	.p2align	8
	.type	_ZL24rocblas_dot_kernel_magsqIiLb0ELi512ELi2ELb0E19rocblas_complex_numIdEPKPKS1_S1_EviT5_lT_liPT6_PT4_,@function
_ZL24rocblas_dot_kernel_magsqIiLb0ELi512ELi2ELb0E19rocblas_complex_numIdEPKPKS1_S1_EviT5_lT_liPT6_PT4_: ; @_ZL24rocblas_dot_kernel_magsqIiLb0ELi512ELi2ELb0E19rocblas_complex_numIdEPKPKS1_S1_EviT5_lT_liPT6_PT4_
; %bb.0:
	s_clause 0x1
	s_load_b32 s6, s[0:1], 0x0
	s_load_b32 s3, s[0:1], 0x40
	v_mov_b32_e32 v1, 0
	v_mov_b32_e32 v2, 0
	v_lshl_or_b32 v5, s14, 9, v0
	s_mov_b32 s4, s15
	s_mov_b32 s5, 0
	s_mov_b32 s2, exec_lo
	v_dual_mov_b32 v4, v2 :: v_dual_mov_b32 v3, v1
	s_waitcnt lgkmcnt(0)
	v_cmpx_gt_i32_e64 s6, v5
	s_cbranch_execz .LBB233_4
; %bb.1:
	s_clause 0x1
	s_load_b128 s[8:11], s[0:1], 0x8
	s_load_b32 s7, s[0:1], 0x18
	s_lshl_b64 s[12:13], s[4:5], 3
	s_waitcnt lgkmcnt(0)
	s_add_u32 s8, s8, s12
	s_addc_u32 s9, s9, s13
	v_mad_i64_i32 v[1:2], null, v5, s7, 0
	s_load_b64 s[8:9], s[8:9], 0x0
	s_lshl_b64 s[10:11], s[10:11], 4
	s_delay_alu instid0(VALU_DEP_1) | instskip(SKIP_3) | instid1(VALU_DEP_1)
	v_lshlrev_b64 v[1:2], 4, v[1:2]
	s_waitcnt lgkmcnt(0)
	s_add_u32 s8, s8, s10
	s_addc_u32 s9, s9, s11
	v_add_co_u32 v1, vcc_lo, s8, v1
	s_delay_alu instid0(VALU_DEP_2)
	v_add_co_ci_u32_e32 v2, vcc_lo, s9, v2, vcc_lo
	s_add_i32 s10, s14, s3
	global_load_b128 v[1:4], v[1:2], off
	s_waitcnt vmcnt(0)
	v_mul_f64 v[5:6], v[3:4], v[3:4]
	v_mul_f64 v[3:4], v[1:2], v[3:4]
	s_delay_alu instid0(VALU_DEP_2) | instskip(NEXT) | instid1(VALU_DEP_2)
	v_fma_f64 v[1:2], v[1:2], v[1:2], -v[5:6]
	v_fma_f64 v[3:4], v[3:4], 2.0, 0
	v_lshl_or_b32 v5, s10, 9, v0
	s_delay_alu instid0(VALU_DEP_1)
	v_cmp_gt_i32_e32 vcc_lo, s6, v5
	s_and_saveexec_b32 s6, vcc_lo
	s_cbranch_execz .LBB233_3
; %bb.2:
	v_mad_i64_i32 v[6:7], null, v5, s7, 0
	s_delay_alu instid0(VALU_DEP_1) | instskip(NEXT) | instid1(VALU_DEP_1)
	v_lshlrev_b64 v[5:6], 4, v[6:7]
	v_add_co_u32 v5, vcc_lo, s8, v5
	s_delay_alu instid0(VALU_DEP_2) | instskip(SKIP_4) | instid1(VALU_DEP_2)
	v_add_co_ci_u32_e32 v6, vcc_lo, s9, v6, vcc_lo
	global_load_b128 v[5:8], v[5:6], off
	s_waitcnt vmcnt(0)
	v_mul_f64 v[9:10], v[7:8], v[7:8]
	v_mul_f64 v[7:8], v[5:6], v[7:8]
	v_fma_f64 v[5:6], v[5:6], v[5:6], -v[9:10]
	s_delay_alu instid0(VALU_DEP_2) | instskip(NEXT) | instid1(VALU_DEP_2)
	v_fma_f64 v[3:4], v[7:8], 2.0, v[3:4]
	v_add_f64 v[1:2], v[1:2], v[5:6]
.LBB233_3:
	s_or_b32 exec_lo, exec_lo, s6
.LBB233_4:
	s_delay_alu instid0(SALU_CYCLE_1) | instskip(SKIP_2) | instid1(VALU_DEP_2)
	s_or_b32 exec_lo, exec_lo, s2
	v_and_b32_e32 v14, 31, v0
	v_cmp_gt_u32_e32 vcc_lo, 32, v0
	v_lshlrev_b32_e32 v9, 4, v14
	s_and_saveexec_b32 s2, vcc_lo
	s_cbranch_execz .LBB233_6
; %bb.5:
	v_mov_b32_e32 v5, 0
	s_delay_alu instid0(VALU_DEP_1)
	v_mov_b32_e32 v6, v5
	v_mov_b32_e32 v7, v5
	;; [unrolled: 1-line block ×3, first 2 shown]
	ds_store_b128 v9, v[5:8]
.LBB233_6:
	s_or_b32 exec_lo, exec_lo, s2
	v_mbcnt_lo_u32_b32 v13, -1, 0
	s_mov_b32 s6, exec_lo
	s_waitcnt lgkmcnt(0)
	s_barrier
	buffer_gl0_inv
	v_cmp_gt_u32_e64 s2, 16, v13
	s_delay_alu instid0(VALU_DEP_1) | instskip(SKIP_1) | instid1(VALU_DEP_2)
	v_cndmask_b32_e64 v5, 0, 1, s2
	v_cmp_gt_u32_e64 s2, 24, v13
	v_lshlrev_b32_e32 v5, 4, v5
	s_delay_alu instid0(VALU_DEP_1)
	v_add_lshl_u32 v8, v5, v13, 2
	ds_bpermute_b32 v5, v8, v1
	ds_bpermute_b32 v6, v8, v2
	;; [unrolled: 1-line block ×4, first 2 shown]
	s_waitcnt lgkmcnt(2)
	v_add_f64 v[1:2], v[1:2], v[5:6]
	v_cndmask_b32_e64 v5, 0, 1, s2
	s_waitcnt lgkmcnt(0)
	v_add_f64 v[3:4], v[3:4], v[7:8]
	v_cmp_gt_u32_e64 s2, 28, v13
	s_delay_alu instid0(VALU_DEP_3) | instskip(NEXT) | instid1(VALU_DEP_1)
	v_lshlrev_b32_e32 v5, 3, v5
	v_add_lshl_u32 v10, v5, v13, 2
	ds_bpermute_b32 v5, v10, v1
	ds_bpermute_b32 v6, v10, v2
	;; [unrolled: 1-line block ×4, first 2 shown]
	s_waitcnt lgkmcnt(2)
	v_add_f64 v[1:2], v[1:2], v[5:6]
	v_cndmask_b32_e64 v5, 0, 1, s2
	s_waitcnt lgkmcnt(0)
	v_add_f64 v[3:4], v[3:4], v[7:8]
	v_cmp_gt_u32_e64 s2, 30, v13
	s_delay_alu instid0(VALU_DEP_3) | instskip(NEXT) | instid1(VALU_DEP_1)
	v_lshlrev_b32_e32 v5, 2, v5
	v_add_lshl_u32 v11, v5, v13, 2
	ds_bpermute_b32 v5, v11, v1
	ds_bpermute_b32 v6, v11, v2
	;; [unrolled: 1-line block ×4, first 2 shown]
	s_waitcnt lgkmcnt(2)
	v_add_f64 v[1:2], v[1:2], v[5:6]
	v_cndmask_b32_e64 v5, 0, 1, s2
	s_waitcnt lgkmcnt(0)
	v_add_f64 v[3:4], v[3:4], v[7:8]
	v_cmp_ne_u32_e64 s2, 31, v13
	s_delay_alu instid0(VALU_DEP_3) | instskip(NEXT) | instid1(VALU_DEP_1)
	v_lshlrev_b32_e32 v5, 1, v5
	v_add_lshl_u32 v12, v5, v13, 2
	ds_bpermute_b32 v5, v12, v1
	ds_bpermute_b32 v6, v12, v2
	;; [unrolled: 1-line block ×4, first 2 shown]
	s_waitcnt lgkmcnt(2)
	v_add_f64 v[1:2], v[1:2], v[5:6]
	s_waitcnt lgkmcnt(0)
	v_add_f64 v[5:6], v[3:4], v[7:8]
	v_add_co_ci_u32_e64 v3, s2, 0, v13, s2
	s_delay_alu instid0(VALU_DEP_1)
	v_lshlrev_b32_e32 v13, 2, v3
	ds_bpermute_b32 v3, v13, v1
	ds_bpermute_b32 v4, v13, v2
	;; [unrolled: 1-line block ×4, first 2 shown]
	v_cmpx_eq_u32_e32 0, v14
	s_cbranch_execz .LBB233_8
; %bb.7:
	s_waitcnt lgkmcnt(0)
	v_add_f64 v[5:6], v[5:6], v[7:8]
	v_add_f64 v[3:4], v[1:2], v[3:4]
	v_lshrrev_b32_e32 v1, 1, v0
	s_delay_alu instid0(VALU_DEP_1)
	v_and_b32_e32 v1, 0xf0, v1
	ds_store_b128 v1, v[3:6]
.LBB233_8:
	s_or_b32 exec_lo, exec_lo, s6
	s_waitcnt lgkmcnt(2)
	v_mov_b32_e32 v3, 0
	v_mov_b32_e32 v4, 0
	s_delay_alu instid0(VALU_DEP_2)
	v_mov_b32_e32 v1, v3
	s_mov_b32 s6, exec_lo
	s_waitcnt lgkmcnt(0)
	s_barrier
	v_mov_b32_e32 v2, v4
	buffer_gl0_inv
	v_cmpx_gt_u32_e32 16, v0
	s_cbranch_execz .LBB233_10
; %bb.9:
	ds_load_b128 v[1:4], v9
.LBB233_10:
	s_or_b32 exec_lo, exec_lo, s6
	s_and_saveexec_b32 s2, vcc_lo
	s_cbranch_execz .LBB233_12
; %bb.11:
	s_waitcnt lgkmcnt(0)
	ds_bpermute_b32 v5, v10, v1
	ds_bpermute_b32 v6, v10, v2
	ds_bpermute_b32 v7, v10, v3
	ds_bpermute_b32 v8, v10, v4
	s_waitcnt lgkmcnt(2)
	v_add_f64 v[1:2], v[1:2], v[5:6]
	s_waitcnt lgkmcnt(0)
	v_add_f64 v[3:4], v[3:4], v[7:8]
	ds_bpermute_b32 v5, v11, v1
	ds_bpermute_b32 v6, v11, v2
	ds_bpermute_b32 v7, v11, v3
	ds_bpermute_b32 v8, v11, v4
	s_waitcnt lgkmcnt(2)
	v_add_f64 v[1:2], v[1:2], v[5:6]
	s_waitcnt lgkmcnt(0)
	v_add_f64 v[3:4], v[3:4], v[7:8]
	;; [unrolled: 8-line block ×4, first 2 shown]
.LBB233_12:
	s_or_b32 exec_lo, exec_lo, s2
	s_delay_alu instid0(SALU_CYCLE_1)
	s_mov_b32 s2, exec_lo
	v_cmpx_eq_u32_e32 0, v0
	s_cbranch_execz .LBB233_18
; %bb.13:
	s_cmp_lg_u32 s3, 1
	s_cbranch_scc0 .LBB233_15
; %bb.14:
	s_load_b64 s[6:7], s[0:1], 0x30
	s_mul_hi_u32 s9, s3, s4
	s_mul_i32 s8, s3, s4
	s_mov_b32 s15, 0
	s_lshl_b64 s[2:3], s[8:9], 4
	s_waitcnt lgkmcnt(0)
	s_add_u32 s6, s6, s2
	s_addc_u32 s7, s7, s3
	s_lshl_b64 s[2:3], s[14:15], 4
	s_delay_alu instid0(SALU_CYCLE_1)
	s_add_u32 s2, s6, s2
	s_addc_u32 s3, s7, s3
	s_cbranch_execz .LBB233_16
	s_branch .LBB233_17
.LBB233_15:
                                        ; implicit-def: $sgpr2_sgpr3
.LBB233_16:
	s_load_b64 s[0:1], s[0:1], 0x38
	s_lshl_b64 s[2:3], s[4:5], 4
	s_waitcnt lgkmcnt(0)
	s_add_u32 s2, s0, s2
	s_addc_u32 s3, s1, s3
.LBB233_17:
	v_mov_b32_e32 v0, 0
	s_waitcnt lgkmcnt(0)
	global_store_b128 v0, v[1:4], s[2:3]
.LBB233_18:
	s_nop 0
	s_sendmsg sendmsg(MSG_DEALLOC_VGPRS)
	s_endpgm
	.section	.rodata,"a",@progbits
	.p2align	6, 0x0
	.amdhsa_kernel _ZL24rocblas_dot_kernel_magsqIiLb0ELi512ELi2ELb0E19rocblas_complex_numIdEPKPKS1_S1_EviT5_lT_liPT6_PT4_
		.amdhsa_group_segment_fixed_size 512
		.amdhsa_private_segment_fixed_size 0
		.amdhsa_kernarg_size 320
		.amdhsa_user_sgpr_count 14
		.amdhsa_user_sgpr_dispatch_ptr 0
		.amdhsa_user_sgpr_queue_ptr 0
		.amdhsa_user_sgpr_kernarg_segment_ptr 1
		.amdhsa_user_sgpr_dispatch_id 0
		.amdhsa_user_sgpr_private_segment_size 0
		.amdhsa_wavefront_size32 1
		.amdhsa_uses_dynamic_stack 0
		.amdhsa_enable_private_segment 0
		.amdhsa_system_sgpr_workgroup_id_x 1
		.amdhsa_system_sgpr_workgroup_id_y 0
		.amdhsa_system_sgpr_workgroup_id_z 1
		.amdhsa_system_sgpr_workgroup_info 0
		.amdhsa_system_vgpr_workitem_id 0
		.amdhsa_next_free_vgpr 15
		.amdhsa_next_free_sgpr 16
		.amdhsa_reserve_vcc 1
		.amdhsa_float_round_mode_32 0
		.amdhsa_float_round_mode_16_64 0
		.amdhsa_float_denorm_mode_32 3
		.amdhsa_float_denorm_mode_16_64 3
		.amdhsa_dx10_clamp 1
		.amdhsa_ieee_mode 1
		.amdhsa_fp16_overflow 0
		.amdhsa_workgroup_processor_mode 1
		.amdhsa_memory_ordered 1
		.amdhsa_forward_progress 0
		.amdhsa_shared_vgpr_count 0
		.amdhsa_exception_fp_ieee_invalid_op 0
		.amdhsa_exception_fp_denorm_src 0
		.amdhsa_exception_fp_ieee_div_zero 0
		.amdhsa_exception_fp_ieee_overflow 0
		.amdhsa_exception_fp_ieee_underflow 0
		.amdhsa_exception_fp_ieee_inexact 0
		.amdhsa_exception_int_div_zero 0
	.end_amdhsa_kernel
	.section	.text._ZL24rocblas_dot_kernel_magsqIiLb0ELi512ELi2ELb0E19rocblas_complex_numIdEPKPKS1_S1_EviT5_lT_liPT6_PT4_,"axG",@progbits,_ZL24rocblas_dot_kernel_magsqIiLb0ELi512ELi2ELb0E19rocblas_complex_numIdEPKPKS1_S1_EviT5_lT_liPT6_PT4_,comdat
.Lfunc_end233:
	.size	_ZL24rocblas_dot_kernel_magsqIiLb0ELi512ELi2ELb0E19rocblas_complex_numIdEPKPKS1_S1_EviT5_lT_liPT6_PT4_, .Lfunc_end233-_ZL24rocblas_dot_kernel_magsqIiLb0ELi512ELi2ELb0E19rocblas_complex_numIdEPKPKS1_S1_EviT5_lT_liPT6_PT4_
                                        ; -- End function
	.section	.AMDGPU.csdata,"",@progbits
; Kernel info:
; codeLenInByte = 1336
; NumSgprs: 18
; NumVgprs: 15
; ScratchSize: 0
; MemoryBound: 0
; FloatMode: 240
; IeeeMode: 1
; LDSByteSize: 512 bytes/workgroup (compile time only)
; SGPRBlocks: 2
; VGPRBlocks: 1
; NumSGPRsForWavesPerEU: 18
; NumVGPRsForWavesPerEU: 15
; Occupancy: 16
; WaveLimiterHint : 1
; COMPUTE_PGM_RSRC2:SCRATCH_EN: 0
; COMPUTE_PGM_RSRC2:USER_SGPR: 14
; COMPUTE_PGM_RSRC2:TRAP_HANDLER: 0
; COMPUTE_PGM_RSRC2:TGID_X_EN: 1
; COMPUTE_PGM_RSRC2:TGID_Y_EN: 0
; COMPUTE_PGM_RSRC2:TGID_Z_EN: 1
; COMPUTE_PGM_RSRC2:TIDIG_COMP_CNT: 0
	.section	.text._ZL28rocblas_dot_batched_4_kernelIlLi32ELi4ELb0E19rocblas_complex_numIdES1_PKPKS1_EviT5_lT_lS6_lS7_liPT4_,"axG",@progbits,_ZL28rocblas_dot_batched_4_kernelIlLi32ELi4ELb0E19rocblas_complex_numIdES1_PKPKS1_EviT5_lT_lS6_lS7_liPT4_,comdat
	.globl	_ZL28rocblas_dot_batched_4_kernelIlLi32ELi4ELb0E19rocblas_complex_numIdES1_PKPKS1_EviT5_lT_lS6_lS7_liPT4_ ; -- Begin function _ZL28rocblas_dot_batched_4_kernelIlLi32ELi4ELb0E19rocblas_complex_numIdES1_PKPKS1_EviT5_lT_lS6_lS7_liPT4_
	.p2align	8
	.type	_ZL28rocblas_dot_batched_4_kernelIlLi32ELi4ELb0E19rocblas_complex_numIdES1_PKPKS1_EviT5_lT_lS6_lS7_liPT4_,@function
_ZL28rocblas_dot_batched_4_kernelIlLi32ELi4ELb0E19rocblas_complex_numIdES1_PKPKS1_EviT5_lT_lS6_lS7_liPT4_: ; @_ZL28rocblas_dot_batched_4_kernelIlLi32ELi4ELb0E19rocblas_complex_numIdES1_PKPKS1_EviT5_lT_lS6_lS7_liPT4_
; %bb.0:
	s_load_b32 s2, s[0:1], 0x48
	v_bfe_u32 v1, v0, 10, 10
	s_delay_alu instid0(VALU_DEP_1) | instskip(SKIP_1) | instid1(VALU_DEP_1)
	v_lshl_add_u32 v1, s15, 2, v1
	s_waitcnt lgkmcnt(0)
	v_cmp_gt_u32_e32 vcc_lo, s2, v1
	s_and_saveexec_b32 s2, vcc_lo
	s_cbranch_execz .LBB234_7
; %bb.1:
	s_clause 0x1
	s_load_b32 s10, s[0:1], 0x0
	s_load_b64 s[8:9], s[0:1], 0x50
	v_dual_mov_b32 v3, 0 :: v_dual_and_b32 v0, 0x3ff, v0
	v_mov_b32_e32 v4, 0
	v_mov_b32_e32 v2, 0
	s_mov_b32 s11, exec_lo
	s_delay_alu instid0(VALU_DEP_2)
	v_dual_mov_b32 v6, v4 :: v_dual_mov_b32 v5, v3
	s_waitcnt lgkmcnt(0)
	v_cmpx_gt_i32_e64 s10, v0
	s_cbranch_execz .LBB234_5
; %bb.2:
	s_clause 0x1
	s_load_b64 s[12:13], s[0:1], 0x28
	s_load_b64 s[14:15], s[0:1], 0x8
	v_lshlrev_b64 v[3:4], 3, v[1:2]
	s_clause 0x1
	s_load_b128 s[4:7], s[0:1], 0x10
	s_load_b128 s[0:3], s[0:1], 0x30
	s_waitcnt lgkmcnt(0)
	s_delay_alu instid0(VALU_DEP_1)
	v_add_co_u32 v5, vcc_lo, s12, v3
	v_add_co_ci_u32_e32 v6, vcc_lo, s13, v4, vcc_lo
	v_add_co_u32 v3, vcc_lo, s14, v3
	v_add_co_ci_u32_e32 v4, vcc_lo, s15, v4, vcc_lo
	v_mad_u64_u32 v[9:10], null, s2, v0, 0
	global_load_b64 v[5:6], v[5:6], off
	global_load_b64 v[7:8], v[3:4], off
	v_mad_u64_u32 v[12:13], null, s6, v0, 0
	s_lshl_b64 s[0:1], s[0:1], 4
	s_lshl_b64 s[4:5], s[4:5], 4
	s_delay_alu instid0(VALU_DEP_1) | instskip(NEXT) | instid1(VALU_DEP_1)
	v_dual_mov_b32 v3, v10 :: v_dual_mov_b32 v4, v13
	v_mad_u64_u32 v[10:11], null, s3, v0, v[3:4]
	s_lshl_b64 s[2:3], s[2:3], 9
	v_mov_b32_e32 v11, v0
	s_delay_alu instid0(VALU_DEP_2) | instskip(NEXT) | instid1(VALU_DEP_1)
	v_lshlrev_b64 v[9:10], 4, v[9:10]
	v_add_co_u32 v9, vcc_lo, v9, s0
	s_delay_alu instid0(VALU_DEP_2)
	v_add_co_ci_u32_e32 v10, vcc_lo, s1, v10, vcc_lo
	s_mov_b32 s1, 0
	s_waitcnt vmcnt(1)
	v_mad_u64_u32 v[13:14], null, s7, v0, v[4:5]
	v_mov_b32_e32 v3, 0
	v_mov_b32_e32 v4, 0
	s_delay_alu instid0(VALU_DEP_3) | instskip(NEXT) | instid1(VALU_DEP_1)
	v_lshlrev_b64 v[12:13], 4, v[12:13]
	v_add_co_u32 v12, vcc_lo, v12, s4
	s_delay_alu instid0(VALU_DEP_2)
	v_add_co_ci_u32_e32 v13, vcc_lo, s5, v13, vcc_lo
	v_add_co_u32 v5, vcc_lo, v9, v5
	v_add_co_ci_u32_e32 v6, vcc_lo, v10, v6, vcc_lo
	s_waitcnt vmcnt(0)
	v_add_co_u32 v9, vcc_lo, v12, v7
	v_add_co_ci_u32_e32 v10, vcc_lo, v13, v8, vcc_lo
	v_add_co_u32 v7, vcc_lo, v5, 8
	v_add_co_ci_u32_e32 v8, vcc_lo, 0, v6, vcc_lo
	s_delay_alu instid0(VALU_DEP_4) | instskip(NEXT) | instid1(VALU_DEP_4)
	v_add_co_u32 v9, vcc_lo, v9, 8
	v_add_co_ci_u32_e32 v10, vcc_lo, 0, v10, vcc_lo
	v_dual_mov_b32 v6, v4 :: v_dual_mov_b32 v5, v3
	s_lshl_b64 s[4:5], s[6:7], 9
	.p2align	6
.LBB234_3:                              ; =>This Inner Loop Header: Depth=1
	global_load_b128 v[12:15], v[9:10], off offset:-8
	global_load_b128 v[16:19], v[7:8], off offset:-8
	v_add_nc_u32_e32 v11, 32, v11
	v_add_co_u32 v7, vcc_lo, v7, s2
	v_add_co_ci_u32_e32 v8, vcc_lo, s3, v8, vcc_lo
	s_delay_alu instid0(VALU_DEP_3) | instskip(SKIP_1) | instid1(VALU_DEP_1)
	v_cmp_le_i32_e32 vcc_lo, s10, v11
	v_add_co_u32 v9, s0, v9, s4
	v_add_co_ci_u32_e64 v10, s0, s5, v10, s0
	s_or_b32 s1, vcc_lo, s1
	s_waitcnt vmcnt(0)
	v_mul_f64 v[20:21], v[14:15], v[18:19]
	v_mul_f64 v[18:19], v[12:13], v[18:19]
	s_delay_alu instid0(VALU_DEP_2) | instskip(NEXT) | instid1(VALU_DEP_2)
	v_fma_f64 v[12:13], v[12:13], v[16:17], -v[20:21]
	v_fma_f64 v[14:15], v[14:15], v[16:17], v[18:19]
	s_delay_alu instid0(VALU_DEP_2) | instskip(NEXT) | instid1(VALU_DEP_2)
	v_add_f64 v[3:4], v[3:4], v[12:13]
	v_add_f64 v[5:6], v[5:6], v[14:15]
	s_and_not1_b32 exec_lo, exec_lo, s1
	s_cbranch_execnz .LBB234_3
; %bb.4:
	s_or_b32 exec_lo, exec_lo, s1
.LBB234_5:
	s_delay_alu instid0(SALU_CYCLE_1)
	s_or_b32 exec_lo, exec_lo, s11
	v_mbcnt_lo_u32_b32 v11, -1, 0
	s_barrier
	buffer_gl0_inv
	v_cmp_gt_u32_e32 vcc_lo, 16, v11
	v_cndmask_b32_e64 v7, 0, 1, vcc_lo
	v_cmp_gt_u32_e32 vcc_lo, 24, v11
	s_delay_alu instid0(VALU_DEP_2) | instskip(NEXT) | instid1(VALU_DEP_1)
	v_lshlrev_b32_e32 v7, 4, v7
	v_add_lshl_u32 v10, v7, v11, 2
	ds_bpermute_b32 v7, v10, v3
	ds_bpermute_b32 v8, v10, v4
	;; [unrolled: 1-line block ×4, first 2 shown]
	s_waitcnt lgkmcnt(2)
	v_add_f64 v[3:4], v[3:4], v[7:8]
	v_cndmask_b32_e64 v7, 0, 1, vcc_lo
	s_waitcnt lgkmcnt(0)
	v_add_f64 v[5:6], v[5:6], v[9:10]
	v_cmp_gt_u32_e32 vcc_lo, 28, v11
	s_delay_alu instid0(VALU_DEP_3) | instskip(NEXT) | instid1(VALU_DEP_1)
	v_lshlrev_b32_e32 v7, 3, v7
	v_add_lshl_u32 v10, v7, v11, 2
	ds_bpermute_b32 v7, v10, v3
	ds_bpermute_b32 v8, v10, v4
	;; [unrolled: 1-line block ×4, first 2 shown]
	s_waitcnt lgkmcnt(2)
	v_add_f64 v[3:4], v[3:4], v[7:8]
	v_cndmask_b32_e64 v7, 0, 1, vcc_lo
	s_waitcnt lgkmcnt(0)
	v_add_f64 v[5:6], v[5:6], v[9:10]
	v_cmp_gt_u32_e32 vcc_lo, 30, v11
	s_delay_alu instid0(VALU_DEP_3) | instskip(NEXT) | instid1(VALU_DEP_1)
	v_lshlrev_b32_e32 v7, 2, v7
	v_add_lshl_u32 v10, v7, v11, 2
	ds_bpermute_b32 v7, v10, v3
	ds_bpermute_b32 v8, v10, v4
	;; [unrolled: 1-line block ×4, first 2 shown]
	s_waitcnt lgkmcnt(2)
	v_add_f64 v[3:4], v[3:4], v[7:8]
	v_cndmask_b32_e64 v7, 0, 1, vcc_lo
	s_waitcnt lgkmcnt(0)
	v_add_f64 v[5:6], v[5:6], v[9:10]
	v_cmp_ne_u32_e32 vcc_lo, 31, v11
	s_delay_alu instid0(VALU_DEP_3) | instskip(NEXT) | instid1(VALU_DEP_1)
	v_lshlrev_b32_e32 v7, 1, v7
	v_add_lshl_u32 v10, v7, v11, 2
	ds_bpermute_b32 v7, v10, v3
	ds_bpermute_b32 v8, v10, v4
	;; [unrolled: 1-line block ×4, first 2 shown]
	s_waitcnt lgkmcnt(2)
	v_add_f64 v[3:4], v[3:4], v[7:8]
	s_waitcnt lgkmcnt(0)
	v_add_f64 v[7:8], v[5:6], v[9:10]
	v_add_co_ci_u32_e32 v5, vcc_lo, 0, v11, vcc_lo
	v_cmp_eq_u32_e32 vcc_lo, 0, v0
	s_delay_alu instid0(VALU_DEP_2)
	v_lshlrev_b32_e32 v10, 2, v5
	ds_bpermute_b32 v5, v10, v3
	ds_bpermute_b32 v6, v10, v4
	;; [unrolled: 1-line block ×4, first 2 shown]
	s_and_b32 exec_lo, exec_lo, vcc_lo
	s_cbranch_execz .LBB234_7
; %bb.6:
	s_waitcnt lgkmcnt(0)
	v_add_f64 v[7:8], v[7:8], v[9:10]
	v_add_f64 v[5:6], v[3:4], v[5:6]
	v_lshlrev_b64 v[0:1], 4, v[1:2]
	s_delay_alu instid0(VALU_DEP_1) | instskip(NEXT) | instid1(VALU_DEP_2)
	v_add_co_u32 v0, vcc_lo, s8, v0
	v_add_co_ci_u32_e32 v1, vcc_lo, s9, v1, vcc_lo
	global_store_b128 v[0:1], v[5:8], off
.LBB234_7:
	s_nop 0
	s_sendmsg sendmsg(MSG_DEALLOC_VGPRS)
	s_endpgm
	.section	.rodata,"a",@progbits
	.p2align	6, 0x0
	.amdhsa_kernel _ZL28rocblas_dot_batched_4_kernelIlLi32ELi4ELb0E19rocblas_complex_numIdES1_PKPKS1_EviT5_lT_lS6_lS7_liPT4_
		.amdhsa_group_segment_fixed_size 0
		.amdhsa_private_segment_fixed_size 0
		.amdhsa_kernarg_size 88
		.amdhsa_user_sgpr_count 15
		.amdhsa_user_sgpr_dispatch_ptr 0
		.amdhsa_user_sgpr_queue_ptr 0
		.amdhsa_user_sgpr_kernarg_segment_ptr 1
		.amdhsa_user_sgpr_dispatch_id 0
		.amdhsa_user_sgpr_private_segment_size 0
		.amdhsa_wavefront_size32 1
		.amdhsa_uses_dynamic_stack 0
		.amdhsa_enable_private_segment 0
		.amdhsa_system_sgpr_workgroup_id_x 1
		.amdhsa_system_sgpr_workgroup_id_y 0
		.amdhsa_system_sgpr_workgroup_id_z 0
		.amdhsa_system_sgpr_workgroup_info 0
		.amdhsa_system_vgpr_workitem_id 1
		.amdhsa_next_free_vgpr 22
		.amdhsa_next_free_sgpr 16
		.amdhsa_reserve_vcc 1
		.amdhsa_float_round_mode_32 0
		.amdhsa_float_round_mode_16_64 0
		.amdhsa_float_denorm_mode_32 3
		.amdhsa_float_denorm_mode_16_64 3
		.amdhsa_dx10_clamp 1
		.amdhsa_ieee_mode 1
		.amdhsa_fp16_overflow 0
		.amdhsa_workgroup_processor_mode 1
		.amdhsa_memory_ordered 1
		.amdhsa_forward_progress 0
		.amdhsa_shared_vgpr_count 0
		.amdhsa_exception_fp_ieee_invalid_op 0
		.amdhsa_exception_fp_denorm_src 0
		.amdhsa_exception_fp_ieee_div_zero 0
		.amdhsa_exception_fp_ieee_overflow 0
		.amdhsa_exception_fp_ieee_underflow 0
		.amdhsa_exception_fp_ieee_inexact 0
		.amdhsa_exception_int_div_zero 0
	.end_amdhsa_kernel
	.section	.text._ZL28rocblas_dot_batched_4_kernelIlLi32ELi4ELb0E19rocblas_complex_numIdES1_PKPKS1_EviT5_lT_lS6_lS7_liPT4_,"axG",@progbits,_ZL28rocblas_dot_batched_4_kernelIlLi32ELi4ELb0E19rocblas_complex_numIdES1_PKPKS1_EviT5_lT_lS6_lS7_liPT4_,comdat
.Lfunc_end234:
	.size	_ZL28rocblas_dot_batched_4_kernelIlLi32ELi4ELb0E19rocblas_complex_numIdES1_PKPKS1_EviT5_lT_lS6_lS7_liPT4_, .Lfunc_end234-_ZL28rocblas_dot_batched_4_kernelIlLi32ELi4ELb0E19rocblas_complex_numIdES1_PKPKS1_EviT5_lT_lS6_lS7_liPT4_
                                        ; -- End function
	.section	.AMDGPU.csdata,"",@progbits
; Kernel info:
; codeLenInByte = 1032
; NumSgprs: 18
; NumVgprs: 22
; ScratchSize: 0
; MemoryBound: 0
; FloatMode: 240
; IeeeMode: 1
; LDSByteSize: 0 bytes/workgroup (compile time only)
; SGPRBlocks: 2
; VGPRBlocks: 2
; NumSGPRsForWavesPerEU: 18
; NumVGPRsForWavesPerEU: 22
; Occupancy: 16
; WaveLimiterHint : 0
; COMPUTE_PGM_RSRC2:SCRATCH_EN: 0
; COMPUTE_PGM_RSRC2:USER_SGPR: 15
; COMPUTE_PGM_RSRC2:TRAP_HANDLER: 0
; COMPUTE_PGM_RSRC2:TGID_X_EN: 1
; COMPUTE_PGM_RSRC2:TGID_Y_EN: 0
; COMPUTE_PGM_RSRC2:TGID_Z_EN: 0
; COMPUTE_PGM_RSRC2:TIDIG_COMP_CNT: 1
	.section	.text._ZL28rocblas_dot_batched_4_kernelIlLi64ELi4ELb0E19rocblas_complex_numIdES1_PKPKS1_EviT5_lT_lS6_lS7_liPT4_,"axG",@progbits,_ZL28rocblas_dot_batched_4_kernelIlLi64ELi4ELb0E19rocblas_complex_numIdES1_PKPKS1_EviT5_lT_lS6_lS7_liPT4_,comdat
	.globl	_ZL28rocblas_dot_batched_4_kernelIlLi64ELi4ELb0E19rocblas_complex_numIdES1_PKPKS1_EviT5_lT_lS6_lS7_liPT4_ ; -- Begin function _ZL28rocblas_dot_batched_4_kernelIlLi64ELi4ELb0E19rocblas_complex_numIdES1_PKPKS1_EviT5_lT_lS6_lS7_liPT4_
	.p2align	8
	.type	_ZL28rocblas_dot_batched_4_kernelIlLi64ELi4ELb0E19rocblas_complex_numIdES1_PKPKS1_EviT5_lT_lS6_lS7_liPT4_,@function
_ZL28rocblas_dot_batched_4_kernelIlLi64ELi4ELb0E19rocblas_complex_numIdES1_PKPKS1_EviT5_lT_lS6_lS7_liPT4_: ; @_ZL28rocblas_dot_batched_4_kernelIlLi64ELi4ELb0E19rocblas_complex_numIdES1_PKPKS1_EviT5_lT_lS6_lS7_liPT4_
; %bb.0:
	s_load_b32 s2, s[0:1], 0x48
	v_bfe_u32 v1, v0, 10, 10
	s_delay_alu instid0(VALU_DEP_1) | instskip(SKIP_1) | instid1(VALU_DEP_1)
	v_lshl_add_u32 v1, s15, 2, v1
	s_waitcnt lgkmcnt(0)
	v_cmp_gt_u32_e32 vcc_lo, s2, v1
	s_and_saveexec_b32 s2, vcc_lo
	s_cbranch_execz .LBB235_7
; %bb.1:
	s_clause 0x1
	s_load_b32 s10, s[0:1], 0x0
	s_load_b64 s[8:9], s[0:1], 0x50
	v_dual_mov_b32 v3, 0 :: v_dual_and_b32 v0, 0x3ff, v0
	v_mov_b32_e32 v4, 0
	v_mov_b32_e32 v2, 0
	s_mov_b32 s11, exec_lo
	s_delay_alu instid0(VALU_DEP_2)
	v_dual_mov_b32 v6, v4 :: v_dual_mov_b32 v5, v3
	s_waitcnt lgkmcnt(0)
	v_cmpx_gt_i32_e64 s10, v0
	s_cbranch_execz .LBB235_5
; %bb.2:
	s_clause 0x1
	s_load_b64 s[12:13], s[0:1], 0x28
	s_load_b64 s[14:15], s[0:1], 0x8
	v_lshlrev_b64 v[3:4], 3, v[1:2]
	s_clause 0x1
	s_load_b128 s[4:7], s[0:1], 0x10
	s_load_b128 s[0:3], s[0:1], 0x30
	s_waitcnt lgkmcnt(0)
	s_delay_alu instid0(VALU_DEP_1)
	v_add_co_u32 v5, vcc_lo, s12, v3
	v_add_co_ci_u32_e32 v6, vcc_lo, s13, v4, vcc_lo
	v_add_co_u32 v3, vcc_lo, s14, v3
	v_add_co_ci_u32_e32 v4, vcc_lo, s15, v4, vcc_lo
	v_mad_u64_u32 v[9:10], null, s2, v0, 0
	global_load_b64 v[5:6], v[5:6], off
	global_load_b64 v[7:8], v[3:4], off
	v_mad_u64_u32 v[12:13], null, s6, v0, 0
	s_lshl_b64 s[0:1], s[0:1], 4
	s_lshl_b64 s[4:5], s[4:5], 4
	s_delay_alu instid0(VALU_DEP_1) | instskip(NEXT) | instid1(VALU_DEP_1)
	v_dual_mov_b32 v3, v10 :: v_dual_mov_b32 v4, v13
	v_mad_u64_u32 v[10:11], null, s3, v0, v[3:4]
	s_lshl_b64 s[2:3], s[2:3], 10
	v_mov_b32_e32 v11, v0
	s_delay_alu instid0(VALU_DEP_2) | instskip(NEXT) | instid1(VALU_DEP_1)
	v_lshlrev_b64 v[9:10], 4, v[9:10]
	v_add_co_u32 v9, vcc_lo, v9, s0
	s_delay_alu instid0(VALU_DEP_2)
	v_add_co_ci_u32_e32 v10, vcc_lo, s1, v10, vcc_lo
	s_mov_b32 s1, 0
	s_waitcnt vmcnt(1)
	v_mad_u64_u32 v[13:14], null, s7, v0, v[4:5]
	v_mov_b32_e32 v3, 0
	v_mov_b32_e32 v4, 0
	s_delay_alu instid0(VALU_DEP_3) | instskip(NEXT) | instid1(VALU_DEP_1)
	v_lshlrev_b64 v[12:13], 4, v[12:13]
	v_add_co_u32 v12, vcc_lo, v12, s4
	s_delay_alu instid0(VALU_DEP_2)
	v_add_co_ci_u32_e32 v13, vcc_lo, s5, v13, vcc_lo
	v_add_co_u32 v5, vcc_lo, v9, v5
	v_add_co_ci_u32_e32 v6, vcc_lo, v10, v6, vcc_lo
	s_waitcnt vmcnt(0)
	v_add_co_u32 v9, vcc_lo, v12, v7
	v_add_co_ci_u32_e32 v10, vcc_lo, v13, v8, vcc_lo
	v_add_co_u32 v7, vcc_lo, v5, 8
	v_add_co_ci_u32_e32 v8, vcc_lo, 0, v6, vcc_lo
	s_delay_alu instid0(VALU_DEP_4) | instskip(NEXT) | instid1(VALU_DEP_4)
	v_add_co_u32 v9, vcc_lo, v9, 8
	v_add_co_ci_u32_e32 v10, vcc_lo, 0, v10, vcc_lo
	v_dual_mov_b32 v6, v4 :: v_dual_mov_b32 v5, v3
	s_lshl_b64 s[4:5], s[6:7], 10
	.p2align	6
.LBB235_3:                              ; =>This Inner Loop Header: Depth=1
	global_load_b128 v[12:15], v[9:10], off offset:-8
	global_load_b128 v[16:19], v[7:8], off offset:-8
	v_add_nc_u32_e32 v11, 64, v11
	v_add_co_u32 v7, vcc_lo, v7, s2
	v_add_co_ci_u32_e32 v8, vcc_lo, s3, v8, vcc_lo
	s_delay_alu instid0(VALU_DEP_3) | instskip(SKIP_1) | instid1(VALU_DEP_1)
	v_cmp_le_i32_e32 vcc_lo, s10, v11
	v_add_co_u32 v9, s0, v9, s4
	v_add_co_ci_u32_e64 v10, s0, s5, v10, s0
	s_or_b32 s1, vcc_lo, s1
	s_waitcnt vmcnt(0)
	v_mul_f64 v[20:21], v[14:15], v[18:19]
	v_mul_f64 v[18:19], v[12:13], v[18:19]
	s_delay_alu instid0(VALU_DEP_2) | instskip(NEXT) | instid1(VALU_DEP_2)
	v_fma_f64 v[12:13], v[12:13], v[16:17], -v[20:21]
	v_fma_f64 v[14:15], v[14:15], v[16:17], v[18:19]
	s_delay_alu instid0(VALU_DEP_2) | instskip(NEXT) | instid1(VALU_DEP_2)
	v_add_f64 v[3:4], v[3:4], v[12:13]
	v_add_f64 v[5:6], v[5:6], v[14:15]
	s_and_not1_b32 exec_lo, exec_lo, s1
	s_cbranch_execnz .LBB235_3
; %bb.4:
	s_or_b32 exec_lo, exec_lo, s1
.LBB235_5:
	s_delay_alu instid0(SALU_CYCLE_1)
	s_or_b32 exec_lo, exec_lo, s11
	v_mbcnt_lo_u32_b32 v11, -1, 0
	s_barrier
	buffer_gl0_inv
	v_lshlrev_b32_e32 v10, 2, v11
	v_cmp_gt_u32_e32 vcc_lo, 16, v11
	ds_bpermute_b32 v7, v10, v3
	ds_bpermute_b32 v8, v10, v4
	ds_bpermute_b32 v9, v10, v5
	ds_bpermute_b32 v10, v10, v6
	s_waitcnt lgkmcnt(2)
	v_add_f64 v[3:4], v[3:4], v[7:8]
	v_cndmask_b32_e64 v7, 0, 1, vcc_lo
	s_waitcnt lgkmcnt(0)
	v_add_f64 v[5:6], v[5:6], v[9:10]
	v_cmp_gt_u32_e32 vcc_lo, 24, v11
	s_delay_alu instid0(VALU_DEP_3) | instskip(NEXT) | instid1(VALU_DEP_1)
	v_lshlrev_b32_e32 v7, 4, v7
	v_add_lshl_u32 v10, v7, v11, 2
	ds_bpermute_b32 v7, v10, v3
	ds_bpermute_b32 v8, v10, v4
	ds_bpermute_b32 v9, v10, v5
	ds_bpermute_b32 v10, v10, v6
	s_waitcnt lgkmcnt(2)
	v_add_f64 v[3:4], v[3:4], v[7:8]
	v_cndmask_b32_e64 v7, 0, 1, vcc_lo
	s_waitcnt lgkmcnt(0)
	v_add_f64 v[5:6], v[5:6], v[9:10]
	v_cmp_gt_u32_e32 vcc_lo, 28, v11
	s_delay_alu instid0(VALU_DEP_3) | instskip(NEXT) | instid1(VALU_DEP_1)
	v_lshlrev_b32_e32 v7, 3, v7
	v_add_lshl_u32 v10, v7, v11, 2
	;; [unrolled: 13-line block ×3, first 2 shown]
	ds_bpermute_b32 v7, v10, v3
	ds_bpermute_b32 v8, v10, v4
	;; [unrolled: 1-line block ×4, first 2 shown]
	s_waitcnt lgkmcnt(2)
	v_add_f64 v[3:4], v[3:4], v[7:8]
	v_cndmask_b32_e64 v7, 0, 1, vcc_lo
	s_waitcnt lgkmcnt(0)
	v_add_f64 v[5:6], v[5:6], v[9:10]
	v_cmp_ne_u32_e32 vcc_lo, 31, v11
	s_delay_alu instid0(VALU_DEP_3) | instskip(NEXT) | instid1(VALU_DEP_1)
	v_lshlrev_b32_e32 v7, 1, v7
	v_add_lshl_u32 v10, v7, v11, 2
	ds_bpermute_b32 v7, v10, v3
	ds_bpermute_b32 v8, v10, v4
	;; [unrolled: 1-line block ×4, first 2 shown]
	s_waitcnt lgkmcnt(2)
	v_add_f64 v[3:4], v[3:4], v[7:8]
	s_waitcnt lgkmcnt(0)
	v_add_f64 v[7:8], v[5:6], v[9:10]
	v_add_co_ci_u32_e32 v5, vcc_lo, 0, v11, vcc_lo
	v_cmp_eq_u32_e32 vcc_lo, 0, v0
	s_delay_alu instid0(VALU_DEP_2)
	v_lshlrev_b32_e32 v10, 2, v5
	ds_bpermute_b32 v5, v10, v3
	ds_bpermute_b32 v6, v10, v4
	;; [unrolled: 1-line block ×4, first 2 shown]
	s_and_b32 exec_lo, exec_lo, vcc_lo
	s_cbranch_execz .LBB235_7
; %bb.6:
	s_waitcnt lgkmcnt(0)
	v_add_f64 v[7:8], v[7:8], v[9:10]
	v_add_f64 v[5:6], v[3:4], v[5:6]
	v_lshlrev_b64 v[0:1], 4, v[1:2]
	s_delay_alu instid0(VALU_DEP_1) | instskip(NEXT) | instid1(VALU_DEP_2)
	v_add_co_u32 v0, vcc_lo, s8, v0
	v_add_co_ci_u32_e32 v1, vcc_lo, s9, v1, vcc_lo
	global_store_b128 v[0:1], v[5:8], off
.LBB235_7:
	s_nop 0
	s_sendmsg sendmsg(MSG_DEALLOC_VGPRS)
	s_endpgm
	.section	.rodata,"a",@progbits
	.p2align	6, 0x0
	.amdhsa_kernel _ZL28rocblas_dot_batched_4_kernelIlLi64ELi4ELb0E19rocblas_complex_numIdES1_PKPKS1_EviT5_lT_lS6_lS7_liPT4_
		.amdhsa_group_segment_fixed_size 0
		.amdhsa_private_segment_fixed_size 0
		.amdhsa_kernarg_size 88
		.amdhsa_user_sgpr_count 15
		.amdhsa_user_sgpr_dispatch_ptr 0
		.amdhsa_user_sgpr_queue_ptr 0
		.amdhsa_user_sgpr_kernarg_segment_ptr 1
		.amdhsa_user_sgpr_dispatch_id 0
		.amdhsa_user_sgpr_private_segment_size 0
		.amdhsa_wavefront_size32 1
		.amdhsa_uses_dynamic_stack 0
		.amdhsa_enable_private_segment 0
		.amdhsa_system_sgpr_workgroup_id_x 1
		.amdhsa_system_sgpr_workgroup_id_y 0
		.amdhsa_system_sgpr_workgroup_id_z 0
		.amdhsa_system_sgpr_workgroup_info 0
		.amdhsa_system_vgpr_workitem_id 1
		.amdhsa_next_free_vgpr 22
		.amdhsa_next_free_sgpr 16
		.amdhsa_reserve_vcc 1
		.amdhsa_float_round_mode_32 0
		.amdhsa_float_round_mode_16_64 0
		.amdhsa_float_denorm_mode_32 3
		.amdhsa_float_denorm_mode_16_64 3
		.amdhsa_dx10_clamp 1
		.amdhsa_ieee_mode 1
		.amdhsa_fp16_overflow 0
		.amdhsa_workgroup_processor_mode 1
		.amdhsa_memory_ordered 1
		.amdhsa_forward_progress 0
		.amdhsa_shared_vgpr_count 0
		.amdhsa_exception_fp_ieee_invalid_op 0
		.amdhsa_exception_fp_denorm_src 0
		.amdhsa_exception_fp_ieee_div_zero 0
		.amdhsa_exception_fp_ieee_overflow 0
		.amdhsa_exception_fp_ieee_underflow 0
		.amdhsa_exception_fp_ieee_inexact 0
		.amdhsa_exception_int_div_zero 0
	.end_amdhsa_kernel
	.section	.text._ZL28rocblas_dot_batched_4_kernelIlLi64ELi4ELb0E19rocblas_complex_numIdES1_PKPKS1_EviT5_lT_lS6_lS7_liPT4_,"axG",@progbits,_ZL28rocblas_dot_batched_4_kernelIlLi64ELi4ELb0E19rocblas_complex_numIdES1_PKPKS1_EviT5_lT_lS6_lS7_liPT4_,comdat
.Lfunc_end235:
	.size	_ZL28rocblas_dot_batched_4_kernelIlLi64ELi4ELb0E19rocblas_complex_numIdES1_PKPKS1_EviT5_lT_lS6_lS7_liPT4_, .Lfunc_end235-_ZL28rocblas_dot_batched_4_kernelIlLi64ELi4ELb0E19rocblas_complex_numIdES1_PKPKS1_EviT5_lT_lS6_lS7_liPT4_
                                        ; -- End function
	.section	.AMDGPU.csdata,"",@progbits
; Kernel info:
; codeLenInByte = 1092
; NumSgprs: 18
; NumVgprs: 22
; ScratchSize: 0
; MemoryBound: 0
; FloatMode: 240
; IeeeMode: 1
; LDSByteSize: 0 bytes/workgroup (compile time only)
; SGPRBlocks: 2
; VGPRBlocks: 2
; NumSGPRsForWavesPerEU: 18
; NumVGPRsForWavesPerEU: 22
; Occupancy: 16
; WaveLimiterHint : 0
; COMPUTE_PGM_RSRC2:SCRATCH_EN: 0
; COMPUTE_PGM_RSRC2:USER_SGPR: 15
; COMPUTE_PGM_RSRC2:TRAP_HANDLER: 0
; COMPUTE_PGM_RSRC2:TGID_X_EN: 1
; COMPUTE_PGM_RSRC2:TGID_Y_EN: 0
; COMPUTE_PGM_RSRC2:TGID_Z_EN: 0
; COMPUTE_PGM_RSRC2:TIDIG_COMP_CNT: 1
	.section	.text._ZL18rocblas_dot_kernelIlLb1ELi1024ELi32ELb0E19rocblas_complex_numIdEPKPKS1_S1_EviT5_lT_lS6_lS7_liPT6_PT4_,"axG",@progbits,_ZL18rocblas_dot_kernelIlLb1ELi1024ELi32ELb0E19rocblas_complex_numIdEPKPKS1_S1_EviT5_lT_lS6_lS7_liPT6_PT4_,comdat
	.globl	_ZL18rocblas_dot_kernelIlLb1ELi1024ELi32ELb0E19rocblas_complex_numIdEPKPKS1_S1_EviT5_lT_lS6_lS7_liPT6_PT4_ ; -- Begin function _ZL18rocblas_dot_kernelIlLb1ELi1024ELi32ELb0E19rocblas_complex_numIdEPKPKS1_S1_EviT5_lT_lS6_lS7_liPT6_PT4_
	.p2align	8
	.type	_ZL18rocblas_dot_kernelIlLb1ELi1024ELi32ELb0E19rocblas_complex_numIdEPKPKS1_S1_EviT5_lT_lS6_lS7_liPT6_PT4_,@function
_ZL18rocblas_dot_kernelIlLb1ELi1024ELi32ELb0E19rocblas_complex_numIdEPKPKS1_S1_EviT5_lT_lS6_lS7_liPT6_PT4_: ; @_ZL18rocblas_dot_kernelIlLb1ELi1024ELi32ELb0E19rocblas_complex_numIdEPKPKS1_S1_EviT5_lT_lS6_lS7_liPT6_PT4_
; %bb.0:
	s_clause 0x1
	s_load_b32 s14, s[0:1], 0x0
	s_load_b64 s[2:3], s[0:1], 0x58
	v_mov_b32_e32 v1, 0
	v_mov_b32_e32 v2, 0
	s_mov_b32 s12, s15
	s_mov_b32 s13, 0
	s_mov_b32 s15, exec_lo
	s_delay_alu instid0(VALU_DEP_1)
	v_dual_mov_b32 v4, v2 :: v_dual_mov_b32 v3, v1
	s_waitcnt lgkmcnt(0)
	v_cmpx_gt_i32_e64 s14, v0
	s_cbranch_execz .LBB236_4
; %bb.1:
	s_clause 0x4
	s_load_b64 s[16:17], s[0:1], 0x8
	s_load_b128 s[8:11], s[0:1], 0x10
	s_load_b128 s[4:7], s[0:1], 0x30
	s_load_b64 s[18:19], s[0:1], 0x28
	s_load_b32 s20, s[0:1], 0x60
	s_lshl_b64 s[0:1], s[12:13], 3
	s_waitcnt lgkmcnt(0)
	s_add_u32 s16, s16, s0
	v_mad_u64_u32 v[3:4], null, s10, v0, 0
	v_mad_u64_u32 v[5:6], null, s6, v0, 0
	s_addc_u32 s17, s17, s1
	s_add_u32 s18, s18, s0
	s_load_b64 s[16:17], s[16:17], 0x0
	s_addc_u32 s19, s19, s1
	s_lshl_b64 s[8:9], s[8:9], 4
	s_load_b64 s[18:19], s[18:19], 0x0
	s_delay_alu instid0(VALU_DEP_1)
	v_mad_u64_u32 v[7:8], null, s11, v0, v[4:5]
	v_mov_b32_e32 v1, 0
	s_lshl_b32 s1, s20, 10
	v_mov_b32_e32 v2, 0
	s_mul_hi_u32 s0, s10, s1
	s_mul_i32 s11, s11, s1
	s_mul_i32 s20, s10, s1
	s_delay_alu instid0(VALU_DEP_3) | instskip(SKIP_3) | instid1(VALU_DEP_2)
	v_mov_b32_e32 v4, v7
	v_mad_u64_u32 v[8:9], null, s7, v0, v[6:7]
	s_mul_hi_u32 s22, s6, s1
	s_mul_i32 s7, s7, s1
	v_lshlrev_b64 v[3:4], 4, v[3:4]
	v_or_b32_e32 v9, s1, v0
	s_waitcnt lgkmcnt(0)
	s_add_u32 s16, s16, s8
	s_delay_alu instid0(VALU_DEP_3)
	v_mov_b32_e32 v6, v8
	s_addc_u32 s17, s17, s9
	s_ashr_i32 s21, s1, 31
	s_lshl_b64 s[8:9], s[4:5], 4
	s_mul_i32 s4, s10, s21
	v_lshlrev_b64 v[5:6], 4, v[5:6]
	s_add_i32 s0, s0, s4
	s_mul_i32 s10, s6, s21
	s_add_i32 s21, s0, s11
	v_add_co_u32 v3, vcc_lo, s16, v3
	s_lshl_b64 s[4:5], s[20:21], 4
	s_add_u32 s0, s18, s8
	v_add_co_ci_u32_e32 v4, vcc_lo, s17, v4, vcc_lo
	s_addc_u32 s8, s19, s9
	v_add_co_u32 v7, vcc_lo, s0, v5
	v_add_co_ci_u32_e32 v8, vcc_lo, s8, v6, vcc_lo
	v_add_co_u32 v5, vcc_lo, v3, 8
	v_add_co_ci_u32_e32 v6, vcc_lo, 0, v4, vcc_lo
	s_delay_alu instid0(VALU_DEP_4)
	v_add_co_u32 v7, vcc_lo, v7, 8
	s_add_i32 s9, s22, s10
	v_dual_mov_b32 v4, v2 :: v_dual_mov_b32 v3, v1
	v_add_co_ci_u32_e32 v8, vcc_lo, 0, v8, vcc_lo
	s_add_i32 s7, s9, s7
	s_mul_i32 s6, s6, s1
	s_mov_b32 s8, s13
	s_lshl_b64 s[6:7], s[6:7], 4
	s_mov_b32 s9, s13
	s_set_inst_prefetch_distance 0x1
	.p2align	6
.LBB236_2:                              ; =>This Inner Loop Header: Depth=1
	global_load_b128 v[10:13], v[7:8], off offset:-8
	global_load_b128 v[14:17], v[5:6], off offset:-8
	s_add_i32 s10, s9, 1
	v_cmp_le_i32_e32 vcc_lo, s14, v9
	v_add_co_u32 v5, s0, v5, s4
	s_cmp_gt_u32 s9, 30
	v_add_co_ci_u32_e64 v6, s0, s5, v6, s0
	s_cselect_b32 s9, -1, 0
	v_add_co_u32 v7, s0, v7, s6
	s_or_b32 s9, s9, vcc_lo
	v_add_nc_u32_e32 v9, s1, v9
	v_add_co_ci_u32_e64 v8, vcc_lo, s7, v8, s0
	s_and_b32 s0, exec_lo, s9
	s_mov_b32 s9, s10
	s_or_b32 s8, s0, s8
	s_waitcnt vmcnt(0)
	v_mul_f64 v[18:19], v[12:13], v[16:17]
	v_mul_f64 v[16:17], v[10:11], v[16:17]
	s_delay_alu instid0(VALU_DEP_2) | instskip(NEXT) | instid1(VALU_DEP_2)
	v_fma_f64 v[10:11], v[10:11], v[14:15], -v[18:19]
	v_fma_f64 v[12:13], v[12:13], v[14:15], v[16:17]
	s_delay_alu instid0(VALU_DEP_2) | instskip(NEXT) | instid1(VALU_DEP_2)
	v_add_f64 v[3:4], v[3:4], v[10:11]
	v_add_f64 v[1:2], v[1:2], v[12:13]
	s_and_not1_b32 exec_lo, exec_lo, s8
	s_cbranch_execnz .LBB236_2
; %bb.3:
	s_set_inst_prefetch_distance 0x2
	s_or_b32 exec_lo, exec_lo, s8
.LBB236_4:
	s_delay_alu instid0(SALU_CYCLE_1) | instskip(SKIP_2) | instid1(VALU_DEP_2)
	s_or_b32 exec_lo, exec_lo, s15
	v_and_b32_e32 v15, 31, v0
	v_cmp_gt_u32_e32 vcc_lo, 32, v0
	v_lshlrev_b32_e32 v11, 4, v15
	s_and_saveexec_b32 s0, vcc_lo
	s_cbranch_execz .LBB236_6
; %bb.5:
	v_mov_b32_e32 v5, 0
	s_delay_alu instid0(VALU_DEP_1)
	v_mov_b32_e32 v6, v5
	v_mov_b32_e32 v7, v5
	;; [unrolled: 1-line block ×3, first 2 shown]
	ds_store_b128 v11, v[5:8]
.LBB236_6:
	s_or_b32 exec_lo, exec_lo, s0
	v_mbcnt_lo_u32_b32 v14, -1, 0
	s_mov_b32 s1, exec_lo
	s_waitcnt lgkmcnt(0)
	s_barrier
	buffer_gl0_inv
	v_cmp_gt_u32_e64 s0, 16, v14
	s_delay_alu instid0(VALU_DEP_1) | instskip(SKIP_1) | instid1(VALU_DEP_2)
	v_cndmask_b32_e64 v5, 0, 1, s0
	v_cmp_gt_u32_e64 s0, 24, v14
	v_lshlrev_b32_e32 v5, 4, v5
	s_delay_alu instid0(VALU_DEP_1)
	v_add_lshl_u32 v9, v5, v14, 2
	ds_bpermute_b32 v5, v9, v3
	ds_bpermute_b32 v6, v9, v4
	;; [unrolled: 1-line block ×4, first 2 shown]
	s_waitcnt lgkmcnt(2)
	v_add_f64 v[3:4], v[3:4], v[5:6]
	v_cndmask_b32_e64 v5, 0, 1, s0
	s_waitcnt lgkmcnt(0)
	v_add_f64 v[1:2], v[1:2], v[7:8]
	v_cmp_gt_u32_e64 s0, 28, v14
	s_delay_alu instid0(VALU_DEP_3) | instskip(NEXT) | instid1(VALU_DEP_1)
	v_lshlrev_b32_e32 v5, 3, v5
	v_add_lshl_u32 v10, v5, v14, 2
	ds_bpermute_b32 v5, v10, v3
	ds_bpermute_b32 v6, v10, v4
	;; [unrolled: 1-line block ×4, first 2 shown]
	s_waitcnt lgkmcnt(2)
	v_add_f64 v[3:4], v[3:4], v[5:6]
	v_cndmask_b32_e64 v5, 0, 1, s0
	s_waitcnt lgkmcnt(0)
	v_add_f64 v[1:2], v[1:2], v[7:8]
	v_cmp_gt_u32_e64 s0, 30, v14
	s_delay_alu instid0(VALU_DEP_3) | instskip(NEXT) | instid1(VALU_DEP_1)
	v_lshlrev_b32_e32 v5, 2, v5
	v_add_lshl_u32 v12, v5, v14, 2
	ds_bpermute_b32 v5, v12, v3
	ds_bpermute_b32 v6, v12, v4
	;; [unrolled: 1-line block ×4, first 2 shown]
	s_waitcnt lgkmcnt(2)
	v_add_f64 v[3:4], v[3:4], v[5:6]
	s_waitcnt lgkmcnt(0)
	v_add_f64 v[5:6], v[1:2], v[7:8]
	v_cndmask_b32_e64 v1, 0, 1, s0
	v_cmp_ne_u32_e64 s0, 31, v14
	s_delay_alu instid0(VALU_DEP_2) | instskip(NEXT) | instid1(VALU_DEP_1)
	v_lshlrev_b32_e32 v1, 1, v1
	v_add_lshl_u32 v13, v1, v14, 2
	ds_bpermute_b32 v1, v13, v3
	ds_bpermute_b32 v2, v13, v4
	;; [unrolled: 1-line block ×4, first 2 shown]
	s_waitcnt lgkmcnt(2)
	v_add_f64 v[1:2], v[3:4], v[1:2]
	v_add_co_ci_u32_e64 v3, s0, 0, v14, s0
	s_waitcnt lgkmcnt(0)
	v_add_f64 v[5:6], v[5:6], v[7:8]
	s_delay_alu instid0(VALU_DEP_2)
	v_lshlrev_b32_e32 v14, 2, v3
	ds_bpermute_b32 v3, v14, v1
	ds_bpermute_b32 v4, v14, v2
	;; [unrolled: 1-line block ×4, first 2 shown]
	v_cmpx_eq_u32_e32 0, v15
	s_cbranch_execz .LBB236_8
; %bb.7:
	s_waitcnt lgkmcnt(0)
	v_add_f64 v[5:6], v[5:6], v[7:8]
	v_add_f64 v[3:4], v[1:2], v[3:4]
	v_lshrrev_b32_e32 v1, 1, v0
	s_delay_alu instid0(VALU_DEP_1)
	v_and_b32_e32 v1, 0x1f0, v1
	ds_store_b128 v1, v[3:6]
.LBB236_8:
	s_or_b32 exec_lo, exec_lo, s1
	s_waitcnt lgkmcnt(2)
	v_mov_b32_e32 v3, 0
	v_mov_b32_e32 v4, 0
	s_delay_alu instid0(VALU_DEP_2)
	v_mov_b32_e32 v1, v3
	s_waitcnt lgkmcnt(0)
	s_barrier
	buffer_gl0_inv
	v_mov_b32_e32 v2, v4
	s_and_saveexec_b32 s0, vcc_lo
	s_cbranch_execz .LBB236_10
; %bb.9:
	ds_load_b128 v[1:4], v11
.LBB236_10:
	s_or_b32 exec_lo, exec_lo, s0
	s_and_saveexec_b32 s0, vcc_lo
	s_cbranch_execz .LBB236_12
; %bb.11:
	s_waitcnt lgkmcnt(0)
	ds_bpermute_b32 v5, v9, v1
	ds_bpermute_b32 v6, v9, v2
	ds_bpermute_b32 v7, v9, v3
	ds_bpermute_b32 v8, v9, v4
	s_waitcnt lgkmcnt(2)
	v_add_f64 v[1:2], v[1:2], v[5:6]
	s_waitcnt lgkmcnt(0)
	v_add_f64 v[3:4], v[3:4], v[7:8]
	ds_bpermute_b32 v5, v10, v1
	ds_bpermute_b32 v6, v10, v2
	ds_bpermute_b32 v7, v10, v3
	ds_bpermute_b32 v8, v10, v4
	s_waitcnt lgkmcnt(2)
	v_add_f64 v[1:2], v[1:2], v[5:6]
	s_waitcnt lgkmcnt(0)
	v_add_f64 v[3:4], v[3:4], v[7:8]
	;; [unrolled: 8-line block ×5, first 2 shown]
.LBB236_12:
	s_or_b32 exec_lo, exec_lo, s0
	s_delay_alu instid0(SALU_CYCLE_1)
	s_mov_b32 s0, exec_lo
	v_cmpx_eq_u32_e32 0, v0
	s_cbranch_execz .LBB236_14
; %bb.13:
	s_lshl_b64 s[0:1], s[12:13], 4
	v_mov_b32_e32 v0, 0
	s_add_u32 s0, s2, s0
	s_addc_u32 s1, s3, s1
	s_waitcnt lgkmcnt(0)
	global_store_b128 v0, v[1:4], s[0:1]
.LBB236_14:
	s_nop 0
	s_sendmsg sendmsg(MSG_DEALLOC_VGPRS)
	s_endpgm
	.section	.rodata,"a",@progbits
	.p2align	6, 0x0
	.amdhsa_kernel _ZL18rocblas_dot_kernelIlLb1ELi1024ELi32ELb0E19rocblas_complex_numIdEPKPKS1_S1_EviT5_lT_lS6_lS7_liPT6_PT4_
		.amdhsa_group_segment_fixed_size 512
		.amdhsa_private_segment_fixed_size 0
		.amdhsa_kernarg_size 352
		.amdhsa_user_sgpr_count 14
		.amdhsa_user_sgpr_dispatch_ptr 0
		.amdhsa_user_sgpr_queue_ptr 0
		.amdhsa_user_sgpr_kernarg_segment_ptr 1
		.amdhsa_user_sgpr_dispatch_id 0
		.amdhsa_user_sgpr_private_segment_size 0
		.amdhsa_wavefront_size32 1
		.amdhsa_uses_dynamic_stack 0
		.amdhsa_enable_private_segment 0
		.amdhsa_system_sgpr_workgroup_id_x 1
		.amdhsa_system_sgpr_workgroup_id_y 0
		.amdhsa_system_sgpr_workgroup_id_z 1
		.amdhsa_system_sgpr_workgroup_info 0
		.amdhsa_system_vgpr_workitem_id 0
		.amdhsa_next_free_vgpr 20
		.amdhsa_next_free_sgpr 23
		.amdhsa_reserve_vcc 1
		.amdhsa_float_round_mode_32 0
		.amdhsa_float_round_mode_16_64 0
		.amdhsa_float_denorm_mode_32 3
		.amdhsa_float_denorm_mode_16_64 3
		.amdhsa_dx10_clamp 1
		.amdhsa_ieee_mode 1
		.amdhsa_fp16_overflow 0
		.amdhsa_workgroup_processor_mode 1
		.amdhsa_memory_ordered 1
		.amdhsa_forward_progress 0
		.amdhsa_shared_vgpr_count 0
		.amdhsa_exception_fp_ieee_invalid_op 0
		.amdhsa_exception_fp_denorm_src 0
		.amdhsa_exception_fp_ieee_div_zero 0
		.amdhsa_exception_fp_ieee_overflow 0
		.amdhsa_exception_fp_ieee_underflow 0
		.amdhsa_exception_fp_ieee_inexact 0
		.amdhsa_exception_int_div_zero 0
	.end_amdhsa_kernel
	.section	.text._ZL18rocblas_dot_kernelIlLb1ELi1024ELi32ELb0E19rocblas_complex_numIdEPKPKS1_S1_EviT5_lT_lS6_lS7_liPT6_PT4_,"axG",@progbits,_ZL18rocblas_dot_kernelIlLb1ELi1024ELi32ELb0E19rocblas_complex_numIdEPKPKS1_S1_EviT5_lT_lS6_lS7_liPT6_PT4_,comdat
.Lfunc_end236:
	.size	_ZL18rocblas_dot_kernelIlLb1ELi1024ELi32ELb0E19rocblas_complex_numIdEPKPKS1_S1_EviT5_lT_lS6_lS7_liPT6_PT4_, .Lfunc_end236-_ZL18rocblas_dot_kernelIlLb1ELi1024ELi32ELb0E19rocblas_complex_numIdEPKPKS1_S1_EviT5_lT_lS6_lS7_liPT6_PT4_
                                        ; -- End function
	.section	.AMDGPU.csdata,"",@progbits
; Kernel info:
; codeLenInByte = 1524
; NumSgprs: 25
; NumVgprs: 20
; ScratchSize: 0
; MemoryBound: 0
; FloatMode: 240
; IeeeMode: 1
; LDSByteSize: 512 bytes/workgroup (compile time only)
; SGPRBlocks: 3
; VGPRBlocks: 2
; NumSGPRsForWavesPerEU: 25
; NumVGPRsForWavesPerEU: 20
; Occupancy: 16
; WaveLimiterHint : 0
; COMPUTE_PGM_RSRC2:SCRATCH_EN: 0
; COMPUTE_PGM_RSRC2:USER_SGPR: 14
; COMPUTE_PGM_RSRC2:TRAP_HANDLER: 0
; COMPUTE_PGM_RSRC2:TGID_X_EN: 1
; COMPUTE_PGM_RSRC2:TGID_Y_EN: 0
; COMPUTE_PGM_RSRC2:TGID_Z_EN: 1
; COMPUTE_PGM_RSRC2:TIDIG_COMP_CNT: 0
	.section	.text._ZL24rocblas_dot_kernel_magsqIlLb1ELi1024ELi32ELb0E19rocblas_complex_numIdEPKPKS1_S1_EviT5_lT_liPT6_PT4_,"axG",@progbits,_ZL24rocblas_dot_kernel_magsqIlLb1ELi1024ELi32ELb0E19rocblas_complex_numIdEPKPKS1_S1_EviT5_lT_liPT6_PT4_,comdat
	.globl	_ZL24rocblas_dot_kernel_magsqIlLb1ELi1024ELi32ELb0E19rocblas_complex_numIdEPKPKS1_S1_EviT5_lT_liPT6_PT4_ ; -- Begin function _ZL24rocblas_dot_kernel_magsqIlLb1ELi1024ELi32ELb0E19rocblas_complex_numIdEPKPKS1_S1_EviT5_lT_liPT6_PT4_
	.p2align	8
	.type	_ZL24rocblas_dot_kernel_magsqIlLb1ELi1024ELi32ELb0E19rocblas_complex_numIdEPKPKS1_S1_EviT5_lT_liPT6_PT4_,@function
_ZL24rocblas_dot_kernel_magsqIlLb1ELi1024ELi32ELb0E19rocblas_complex_numIdEPKPKS1_S1_EviT5_lT_liPT6_PT4_: ; @_ZL24rocblas_dot_kernel_magsqIlLb1ELi1024ELi32ELb0E19rocblas_complex_numIdEPKPKS1_S1_EviT5_lT_liPT6_PT4_
; %bb.0:
	s_clause 0x1
	s_load_b32 s10, s[0:1], 0x0
	s_load_b64 s[2:3], s[0:1], 0x38
	v_mov_b32_e32 v1, 0
	v_mov_b32_e32 v2, 0
	s_mov_b32 s8, s15
	s_mov_b32 s9, 0
	s_mov_b32 s11, exec_lo
	s_delay_alu instid0(VALU_DEP_1)
	v_dual_mov_b32 v4, v2 :: v_dual_mov_b32 v3, v1
	s_waitcnt lgkmcnt(0)
	v_cmpx_gt_i32_e64 s10, v0
	s_cbranch_execz .LBB237_4
; %bb.1:
	s_clause 0x1
	s_load_b64 s[12:13], s[0:1], 0x8
	s_load_b128 s[4:7], s[0:1], 0x10
	s_lshl_b64 s[14:15], s[8:9], 3
	s_load_b32 s16, s[0:1], 0x40
	s_waitcnt lgkmcnt(0)
	s_add_u32 s0, s12, s14
	v_mad_u64_u32 v[3:4], null, s6, v0, 0
	s_addc_u32 s1, s13, s15
	s_lshl_b64 s[4:5], s[4:5], 4
	s_load_b64 s[12:13], s[0:1], 0x0
	s_lshl_b32 s1, s16, 10
	s_delay_alu instid0(SALU_CYCLE_1) | instskip(NEXT) | instid1(VALU_DEP_1)
	s_mul_hi_u32 s0, s6, s1
	v_mov_b32_e32 v1, v4
	v_or_b32_e32 v7, s1, v0
	s_delay_alu instid0(VALU_DEP_2) | instskip(SKIP_2) | instid1(VALU_DEP_3)
	v_mad_u64_u32 v[4:5], null, s7, v0, v[1:2]
	v_mov_b32_e32 v1, 0
	v_mov_b32_e32 v2, 0
	v_lshlrev_b64 v[3:4], 4, v[3:4]
	s_waitcnt lgkmcnt(0)
	s_add_u32 s12, s12, s4
	s_addc_u32 s13, s13, s5
	s_ashr_i32 s4, s1, 31
	s_delay_alu instid0(VALU_DEP_1)
	v_add_co_u32 v5, vcc_lo, s12, v3
	s_mul_i32 s4, s6, s4
	s_mul_i32 s5, s7, s1
	s_add_i32 s0, s0, s4
	v_add_co_ci_u32_e32 v6, vcc_lo, s13, v4, vcc_lo
	v_dual_mov_b32 v4, v2 :: v_dual_mov_b32 v3, v1
	s_mul_i32 s4, s6, s1
	s_add_i32 s5, s0, s5
	s_mov_b32 s6, s9
	s_lshl_b64 s[4:5], s[4:5], 4
	s_mov_b32 s7, s9
	.p2align	6
.LBB237_2:                              ; =>This Inner Loop Header: Depth=1
	global_load_b128 v[8:11], v[5:6], off
	s_add_i32 s12, s7, 1
	v_cmp_le_i32_e32 vcc_lo, s10, v7
	s_cmp_gt_u32 s7, 30
	v_add_co_u32 v5, s0, v5, s4
	s_cselect_b32 s7, -1, 0
	v_add_nc_u32_e32 v7, s1, v7
	s_or_b32 s7, s7, vcc_lo
	v_add_co_ci_u32_e64 v6, vcc_lo, s5, v6, s0
	s_and_b32 s0, exec_lo, s7
	s_mov_b32 s7, s12
	s_or_b32 s6, s0, s6
	s_waitcnt vmcnt(0)
	v_mul_f64 v[12:13], v[10:11], v[10:11]
	v_mul_f64 v[10:11], v[8:9], v[10:11]
	s_delay_alu instid0(VALU_DEP_2) | instskip(NEXT) | instid1(VALU_DEP_2)
	v_fma_f64 v[8:9], v[8:9], v[8:9], -v[12:13]
	v_fma_f64 v[1:2], v[10:11], 2.0, v[1:2]
	s_delay_alu instid0(VALU_DEP_2)
	v_add_f64 v[3:4], v[3:4], v[8:9]
	s_and_not1_b32 exec_lo, exec_lo, s6
	s_cbranch_execnz .LBB237_2
; %bb.3:
	s_or_b32 exec_lo, exec_lo, s6
.LBB237_4:
	s_delay_alu instid0(SALU_CYCLE_1) | instskip(SKIP_2) | instid1(VALU_DEP_2)
	s_or_b32 exec_lo, exec_lo, s11
	v_and_b32_e32 v15, 31, v0
	v_cmp_gt_u32_e32 vcc_lo, 32, v0
	v_lshlrev_b32_e32 v11, 4, v15
	s_and_saveexec_b32 s0, vcc_lo
	s_cbranch_execz .LBB237_6
; %bb.5:
	v_mov_b32_e32 v5, 0
	s_delay_alu instid0(VALU_DEP_1)
	v_mov_b32_e32 v6, v5
	v_mov_b32_e32 v7, v5
	;; [unrolled: 1-line block ×3, first 2 shown]
	ds_store_b128 v11, v[5:8]
.LBB237_6:
	s_or_b32 exec_lo, exec_lo, s0
	v_mbcnt_lo_u32_b32 v14, -1, 0
	s_mov_b32 s1, exec_lo
	s_waitcnt lgkmcnt(0)
	s_barrier
	buffer_gl0_inv
	v_cmp_gt_u32_e64 s0, 16, v14
	s_delay_alu instid0(VALU_DEP_1) | instskip(SKIP_1) | instid1(VALU_DEP_2)
	v_cndmask_b32_e64 v5, 0, 1, s0
	v_cmp_gt_u32_e64 s0, 24, v14
	v_lshlrev_b32_e32 v5, 4, v5
	s_delay_alu instid0(VALU_DEP_1)
	v_add_lshl_u32 v9, v5, v14, 2
	ds_bpermute_b32 v5, v9, v3
	ds_bpermute_b32 v6, v9, v4
	;; [unrolled: 1-line block ×4, first 2 shown]
	s_waitcnt lgkmcnt(2)
	v_add_f64 v[3:4], v[3:4], v[5:6]
	v_cndmask_b32_e64 v5, 0, 1, s0
	s_waitcnt lgkmcnt(0)
	v_add_f64 v[1:2], v[1:2], v[7:8]
	v_cmp_gt_u32_e64 s0, 28, v14
	s_delay_alu instid0(VALU_DEP_3) | instskip(NEXT) | instid1(VALU_DEP_1)
	v_lshlrev_b32_e32 v5, 3, v5
	v_add_lshl_u32 v10, v5, v14, 2
	ds_bpermute_b32 v5, v10, v3
	ds_bpermute_b32 v6, v10, v4
	;; [unrolled: 1-line block ×4, first 2 shown]
	s_waitcnt lgkmcnt(2)
	v_add_f64 v[3:4], v[3:4], v[5:6]
	v_cndmask_b32_e64 v5, 0, 1, s0
	s_waitcnt lgkmcnt(0)
	v_add_f64 v[1:2], v[1:2], v[7:8]
	v_cmp_gt_u32_e64 s0, 30, v14
	s_delay_alu instid0(VALU_DEP_3) | instskip(NEXT) | instid1(VALU_DEP_1)
	v_lshlrev_b32_e32 v5, 2, v5
	v_add_lshl_u32 v12, v5, v14, 2
	ds_bpermute_b32 v5, v12, v3
	ds_bpermute_b32 v6, v12, v4
	;; [unrolled: 1-line block ×4, first 2 shown]
	s_waitcnt lgkmcnt(2)
	v_add_f64 v[3:4], v[3:4], v[5:6]
	s_waitcnt lgkmcnt(0)
	v_add_f64 v[5:6], v[1:2], v[7:8]
	v_cndmask_b32_e64 v1, 0, 1, s0
	v_cmp_ne_u32_e64 s0, 31, v14
	s_delay_alu instid0(VALU_DEP_2) | instskip(NEXT) | instid1(VALU_DEP_1)
	v_lshlrev_b32_e32 v1, 1, v1
	v_add_lshl_u32 v13, v1, v14, 2
	ds_bpermute_b32 v1, v13, v3
	ds_bpermute_b32 v2, v13, v4
	;; [unrolled: 1-line block ×4, first 2 shown]
	s_waitcnt lgkmcnt(2)
	v_add_f64 v[1:2], v[3:4], v[1:2]
	v_add_co_ci_u32_e64 v3, s0, 0, v14, s0
	s_waitcnt lgkmcnt(0)
	v_add_f64 v[5:6], v[5:6], v[7:8]
	s_delay_alu instid0(VALU_DEP_2)
	v_lshlrev_b32_e32 v14, 2, v3
	ds_bpermute_b32 v3, v14, v1
	ds_bpermute_b32 v4, v14, v2
	;; [unrolled: 1-line block ×4, first 2 shown]
	v_cmpx_eq_u32_e32 0, v15
	s_cbranch_execz .LBB237_8
; %bb.7:
	s_waitcnt lgkmcnt(0)
	v_add_f64 v[5:6], v[5:6], v[7:8]
	v_add_f64 v[3:4], v[1:2], v[3:4]
	v_lshrrev_b32_e32 v1, 1, v0
	s_delay_alu instid0(VALU_DEP_1)
	v_and_b32_e32 v1, 0x1f0, v1
	ds_store_b128 v1, v[3:6]
.LBB237_8:
	s_or_b32 exec_lo, exec_lo, s1
	s_waitcnt lgkmcnt(2)
	v_mov_b32_e32 v3, 0
	v_mov_b32_e32 v4, 0
	s_delay_alu instid0(VALU_DEP_2)
	v_mov_b32_e32 v1, v3
	s_waitcnt lgkmcnt(0)
	s_barrier
	buffer_gl0_inv
	v_mov_b32_e32 v2, v4
	s_and_saveexec_b32 s0, vcc_lo
	s_cbranch_execz .LBB237_10
; %bb.9:
	ds_load_b128 v[1:4], v11
.LBB237_10:
	s_or_b32 exec_lo, exec_lo, s0
	s_and_saveexec_b32 s0, vcc_lo
	s_cbranch_execz .LBB237_12
; %bb.11:
	s_waitcnt lgkmcnt(0)
	ds_bpermute_b32 v5, v9, v1
	ds_bpermute_b32 v6, v9, v2
	ds_bpermute_b32 v7, v9, v3
	ds_bpermute_b32 v8, v9, v4
	s_waitcnt lgkmcnt(2)
	v_add_f64 v[1:2], v[1:2], v[5:6]
	s_waitcnt lgkmcnt(0)
	v_add_f64 v[3:4], v[3:4], v[7:8]
	ds_bpermute_b32 v5, v10, v1
	ds_bpermute_b32 v6, v10, v2
	ds_bpermute_b32 v7, v10, v3
	ds_bpermute_b32 v8, v10, v4
	s_waitcnt lgkmcnt(2)
	v_add_f64 v[1:2], v[1:2], v[5:6]
	s_waitcnt lgkmcnt(0)
	v_add_f64 v[3:4], v[3:4], v[7:8]
	;; [unrolled: 8-line block ×5, first 2 shown]
.LBB237_12:
	s_or_b32 exec_lo, exec_lo, s0
	s_delay_alu instid0(SALU_CYCLE_1)
	s_mov_b32 s0, exec_lo
	v_cmpx_eq_u32_e32 0, v0
	s_cbranch_execz .LBB237_14
; %bb.13:
	s_lshl_b64 s[0:1], s[8:9], 4
	v_mov_b32_e32 v0, 0
	s_add_u32 s0, s2, s0
	s_addc_u32 s1, s3, s1
	s_waitcnt lgkmcnt(0)
	global_store_b128 v0, v[1:4], s[0:1]
.LBB237_14:
	s_nop 0
	s_sendmsg sendmsg(MSG_DEALLOC_VGPRS)
	s_endpgm
	.section	.rodata,"a",@progbits
	.p2align	6, 0x0
	.amdhsa_kernel _ZL24rocblas_dot_kernel_magsqIlLb1ELi1024ELi32ELb0E19rocblas_complex_numIdEPKPKS1_S1_EviT5_lT_liPT6_PT4_
		.amdhsa_group_segment_fixed_size 512
		.amdhsa_private_segment_fixed_size 0
		.amdhsa_kernarg_size 320
		.amdhsa_user_sgpr_count 14
		.amdhsa_user_sgpr_dispatch_ptr 0
		.amdhsa_user_sgpr_queue_ptr 0
		.amdhsa_user_sgpr_kernarg_segment_ptr 1
		.amdhsa_user_sgpr_dispatch_id 0
		.amdhsa_user_sgpr_private_segment_size 0
		.amdhsa_wavefront_size32 1
		.amdhsa_uses_dynamic_stack 0
		.amdhsa_enable_private_segment 0
		.amdhsa_system_sgpr_workgroup_id_x 1
		.amdhsa_system_sgpr_workgroup_id_y 0
		.amdhsa_system_sgpr_workgroup_id_z 1
		.amdhsa_system_sgpr_workgroup_info 0
		.amdhsa_system_vgpr_workitem_id 0
		.amdhsa_next_free_vgpr 16
		.amdhsa_next_free_sgpr 17
		.amdhsa_reserve_vcc 1
		.amdhsa_float_round_mode_32 0
		.amdhsa_float_round_mode_16_64 0
		.amdhsa_float_denorm_mode_32 3
		.amdhsa_float_denorm_mode_16_64 3
		.amdhsa_dx10_clamp 1
		.amdhsa_ieee_mode 1
		.amdhsa_fp16_overflow 0
		.amdhsa_workgroup_processor_mode 1
		.amdhsa_memory_ordered 1
		.amdhsa_forward_progress 0
		.amdhsa_shared_vgpr_count 0
		.amdhsa_exception_fp_ieee_invalid_op 0
		.amdhsa_exception_fp_denorm_src 0
		.amdhsa_exception_fp_ieee_div_zero 0
		.amdhsa_exception_fp_ieee_overflow 0
		.amdhsa_exception_fp_ieee_underflow 0
		.amdhsa_exception_fp_ieee_inexact 0
		.amdhsa_exception_int_div_zero 0
	.end_amdhsa_kernel
	.section	.text._ZL24rocblas_dot_kernel_magsqIlLb1ELi1024ELi32ELb0E19rocblas_complex_numIdEPKPKS1_S1_EviT5_lT_liPT6_PT4_,"axG",@progbits,_ZL24rocblas_dot_kernel_magsqIlLb1ELi1024ELi32ELb0E19rocblas_complex_numIdEPKPKS1_S1_EviT5_lT_liPT6_PT4_,comdat
.Lfunc_end237:
	.size	_ZL24rocblas_dot_kernel_magsqIlLb1ELi1024ELi32ELb0E19rocblas_complex_numIdEPKPKS1_S1_EviT5_lT_liPT6_PT4_, .Lfunc_end237-_ZL24rocblas_dot_kernel_magsqIlLb1ELi1024ELi32ELb0E19rocblas_complex_numIdEPKPKS1_S1_EviT5_lT_liPT6_PT4_
                                        ; -- End function
	.section	.AMDGPU.csdata,"",@progbits
; Kernel info:
; codeLenInByte = 1344
; NumSgprs: 19
; NumVgprs: 16
; ScratchSize: 0
; MemoryBound: 0
; FloatMode: 240
; IeeeMode: 1
; LDSByteSize: 512 bytes/workgroup (compile time only)
; SGPRBlocks: 2
; VGPRBlocks: 1
; NumSGPRsForWavesPerEU: 19
; NumVGPRsForWavesPerEU: 16
; Occupancy: 16
; WaveLimiterHint : 0
; COMPUTE_PGM_RSRC2:SCRATCH_EN: 0
; COMPUTE_PGM_RSRC2:USER_SGPR: 14
; COMPUTE_PGM_RSRC2:TRAP_HANDLER: 0
; COMPUTE_PGM_RSRC2:TGID_X_EN: 1
; COMPUTE_PGM_RSRC2:TGID_Y_EN: 0
; COMPUTE_PGM_RSRC2:TGID_Z_EN: 1
; COMPUTE_PGM_RSRC2:TIDIG_COMP_CNT: 0
	.section	.text._ZL38rocblas_dot_kernel_gfx942_float_doubleIlLi1024E19rocblas_complex_numIdEPKPKS1_S1_EviT2_lT_lS6_lS7_lPT3_PT1_,"axG",@progbits,_ZL38rocblas_dot_kernel_gfx942_float_doubleIlLi1024E19rocblas_complex_numIdEPKPKS1_S1_EviT2_lT_lS6_lS7_lPT3_PT1_,comdat
	.globl	_ZL38rocblas_dot_kernel_gfx942_float_doubleIlLi1024E19rocblas_complex_numIdEPKPKS1_S1_EviT2_lT_lS6_lS7_lPT3_PT1_ ; -- Begin function _ZL38rocblas_dot_kernel_gfx942_float_doubleIlLi1024E19rocblas_complex_numIdEPKPKS1_S1_EviT2_lT_lS6_lS7_lPT3_PT1_
	.p2align	8
	.type	_ZL38rocblas_dot_kernel_gfx942_float_doubleIlLi1024E19rocblas_complex_numIdEPKPKS1_S1_EviT2_lT_lS6_lS7_lPT3_PT1_,@function
_ZL38rocblas_dot_kernel_gfx942_float_doubleIlLi1024E19rocblas_complex_numIdEPKPKS1_S1_EviT2_lT_lS6_lS7_lPT3_PT1_: ; @_ZL38rocblas_dot_kernel_gfx942_float_doubleIlLi1024E19rocblas_complex_numIdEPKPKS1_S1_EviT2_lT_lS6_lS7_lPT3_PT1_
; %bb.0:
	s_endpgm
	.section	.rodata,"a",@progbits
	.p2align	6, 0x0
	.amdhsa_kernel _ZL38rocblas_dot_kernel_gfx942_float_doubleIlLi1024E19rocblas_complex_numIdEPKPKS1_S1_EviT2_lT_lS6_lS7_lPT3_PT1_
		.amdhsa_group_segment_fixed_size 0
		.amdhsa_private_segment_fixed_size 0
		.amdhsa_kernarg_size 88
		.amdhsa_user_sgpr_count 15
		.amdhsa_user_sgpr_dispatch_ptr 0
		.amdhsa_user_sgpr_queue_ptr 0
		.amdhsa_user_sgpr_kernarg_segment_ptr 1
		.amdhsa_user_sgpr_dispatch_id 0
		.amdhsa_user_sgpr_private_segment_size 0
		.amdhsa_wavefront_size32 1
		.amdhsa_uses_dynamic_stack 0
		.amdhsa_enable_private_segment 0
		.amdhsa_system_sgpr_workgroup_id_x 1
		.amdhsa_system_sgpr_workgroup_id_y 0
		.amdhsa_system_sgpr_workgroup_id_z 0
		.amdhsa_system_sgpr_workgroup_info 0
		.amdhsa_system_vgpr_workitem_id 0
		.amdhsa_next_free_vgpr 1
		.amdhsa_next_free_sgpr 1
		.amdhsa_reserve_vcc 0
		.amdhsa_float_round_mode_32 0
		.amdhsa_float_round_mode_16_64 0
		.amdhsa_float_denorm_mode_32 3
		.amdhsa_float_denorm_mode_16_64 3
		.amdhsa_dx10_clamp 1
		.amdhsa_ieee_mode 1
		.amdhsa_fp16_overflow 0
		.amdhsa_workgroup_processor_mode 1
		.amdhsa_memory_ordered 1
		.amdhsa_forward_progress 0
		.amdhsa_shared_vgpr_count 0
		.amdhsa_exception_fp_ieee_invalid_op 0
		.amdhsa_exception_fp_denorm_src 0
		.amdhsa_exception_fp_ieee_div_zero 0
		.amdhsa_exception_fp_ieee_overflow 0
		.amdhsa_exception_fp_ieee_underflow 0
		.amdhsa_exception_fp_ieee_inexact 0
		.amdhsa_exception_int_div_zero 0
	.end_amdhsa_kernel
	.section	.text._ZL38rocblas_dot_kernel_gfx942_float_doubleIlLi1024E19rocblas_complex_numIdEPKPKS1_S1_EviT2_lT_lS6_lS7_lPT3_PT1_,"axG",@progbits,_ZL38rocblas_dot_kernel_gfx942_float_doubleIlLi1024E19rocblas_complex_numIdEPKPKS1_S1_EviT2_lT_lS6_lS7_lPT3_PT1_,comdat
.Lfunc_end238:
	.size	_ZL38rocblas_dot_kernel_gfx942_float_doubleIlLi1024E19rocblas_complex_numIdEPKPKS1_S1_EviT2_lT_lS6_lS7_lPT3_PT1_, .Lfunc_end238-_ZL38rocblas_dot_kernel_gfx942_float_doubleIlLi1024E19rocblas_complex_numIdEPKPKS1_S1_EviT2_lT_lS6_lS7_lPT3_PT1_
                                        ; -- End function
	.section	.AMDGPU.csdata,"",@progbits
; Kernel info:
; codeLenInByte = 4
; NumSgprs: 0
; NumVgprs: 0
; ScratchSize: 0
; MemoryBound: 0
; FloatMode: 240
; IeeeMode: 1
; LDSByteSize: 0 bytes/workgroup (compile time only)
; SGPRBlocks: 0
; VGPRBlocks: 0
; NumSGPRsForWavesPerEU: 1
; NumVGPRsForWavesPerEU: 1
; Occupancy: 16
; WaveLimiterHint : 0
; COMPUTE_PGM_RSRC2:SCRATCH_EN: 0
; COMPUTE_PGM_RSRC2:USER_SGPR: 15
; COMPUTE_PGM_RSRC2:TRAP_HANDLER: 0
; COMPUTE_PGM_RSRC2:TGID_X_EN: 1
; COMPUTE_PGM_RSRC2:TGID_Y_EN: 0
; COMPUTE_PGM_RSRC2:TGID_Z_EN: 0
; COMPUTE_PGM_RSRC2:TIDIG_COMP_CNT: 0
	.section	.text._ZL18rocblas_dot_kernelIlLb0ELi512ELi2ELb0E19rocblas_complex_numIdEPKPKS1_S1_EviT5_lT_lS6_lS7_liPT6_PT4_,"axG",@progbits,_ZL18rocblas_dot_kernelIlLb0ELi512ELi2ELb0E19rocblas_complex_numIdEPKPKS1_S1_EviT5_lT_lS6_lS7_liPT6_PT4_,comdat
	.globl	_ZL18rocblas_dot_kernelIlLb0ELi512ELi2ELb0E19rocblas_complex_numIdEPKPKS1_S1_EviT5_lT_lS6_lS7_liPT6_PT4_ ; -- Begin function _ZL18rocblas_dot_kernelIlLb0ELi512ELi2ELb0E19rocblas_complex_numIdEPKPKS1_S1_EviT5_lT_lS6_lS7_liPT6_PT4_
	.p2align	8
	.type	_ZL18rocblas_dot_kernelIlLb0ELi512ELi2ELb0E19rocblas_complex_numIdEPKPKS1_S1_EviT5_lT_lS6_lS7_liPT6_PT4_,@function
_ZL18rocblas_dot_kernelIlLb0ELi512ELi2ELb0E19rocblas_complex_numIdEPKPKS1_S1_EviT5_lT_lS6_lS7_liPT6_PT4_: ; @_ZL18rocblas_dot_kernelIlLb0ELi512ELi2ELb0E19rocblas_complex_numIdEPKPKS1_S1_EviT5_lT_lS6_lS7_liPT6_PT4_
; %bb.0:
	s_mov_b32 s12, s15
	s_clause 0x1
	s_load_b32 s15, s[0:1], 0x0
	s_load_b32 s3, s[0:1], 0x60
	v_mov_b32_e32 v1, 0
	v_mov_b32_e32 v2, 0
	v_lshl_or_b32 v5, s14, 9, v0
	s_mov_b32 s13, 0
	s_mov_b32 s2, exec_lo
	s_delay_alu instid0(VALU_DEP_2)
	v_dual_mov_b32 v4, v2 :: v_dual_mov_b32 v3, v1
	s_waitcnt lgkmcnt(0)
	v_cmpx_gt_i32_e64 s15, v5
	s_cbranch_execz .LBB239_4
; %bb.1:
	s_clause 0x1
	s_load_b64 s[16:17], s[0:1], 0x8
	s_load_b128 s[8:11], s[0:1], 0x30
	s_lshl_b64 s[18:19], s[12:13], 3
	s_load_b128 s[4:7], s[0:1], 0x10
	v_ashrrev_i32_e32 v1, 31, v5
	s_waitcnt lgkmcnt(0)
	s_add_u32 s16, s16, s18
	s_addc_u32 s17, s17, s19
	s_delay_alu instid0(VALU_DEP_1)
	v_mul_lo_u32 v7, v1, s10
	s_load_b64 s[16:17], s[16:17], 0x0
	s_load_b64 s[20:21], s[0:1], 0x28
	s_lshl_b64 s[4:5], s[4:5], 4
	v_mul_lo_u32 v8, v5, s7
	v_mul_lo_u32 v9, v1, s6
	v_mad_u64_u32 v[1:2], null, v5, s6, 0
	v_mul_lo_u32 v6, v5, s11
	v_mad_u64_u32 v[3:4], null, v5, s10, 0
	s_delay_alu instid0(VALU_DEP_3) | instskip(NEXT) | instid1(VALU_DEP_2)
	v_add3_u32 v2, v2, v8, v9
	v_add3_u32 v4, v4, v6, v7
	s_delay_alu instid0(VALU_DEP_2)
	v_lshlrev_b64 v[1:2], 4, v[1:2]
	s_waitcnt lgkmcnt(0)
	s_add_u32 s4, s16, s4
	s_addc_u32 s5, s17, s5
	s_add_u32 s16, s20, s18
	s_addc_u32 s17, s21, s19
	v_lshlrev_b64 v[3:4], 4, v[3:4]
	s_load_b64 s[16:17], s[16:17], 0x0
	s_lshl_b64 s[18:19], s[8:9], 4
	v_add_co_u32 v1, vcc_lo, s4, v1
	v_add_co_ci_u32_e32 v2, vcc_lo, s5, v2, vcc_lo
	s_waitcnt lgkmcnt(0)
	s_add_u32 s9, s16, s18
	s_addc_u32 s16, s17, s19
	v_add_co_u32 v5, vcc_lo, s9, v3
	v_add_co_ci_u32_e32 v6, vcc_lo, s16, v4, vcc_lo
	s_add_i32 s8, s14, s3
	global_load_b128 v[1:4], v[1:2], off
	global_load_b128 v[5:8], v[5:6], off
	s_waitcnt vmcnt(0)
	v_mul_f64 v[9:10], v[7:8], v[3:4]
	v_mul_f64 v[3:4], v[5:6], v[3:4]
	s_delay_alu instid0(VALU_DEP_2) | instskip(NEXT) | instid1(VALU_DEP_2)
	v_fma_f64 v[5:6], v[5:6], v[1:2], -v[9:10]
	v_fma_f64 v[3:4], v[7:8], v[1:2], v[3:4]
	s_delay_alu instid0(VALU_DEP_2) | instskip(NEXT) | instid1(VALU_DEP_2)
	v_add_f64 v[1:2], v[5:6], 0
	v_add_f64 v[3:4], v[3:4], 0
	v_lshl_or_b32 v5, s8, 9, v0
	s_mov_b32 s8, exec_lo
	s_delay_alu instid0(VALU_DEP_1)
	v_cmpx_gt_i32_e64 s15, v5
	s_cbranch_execz .LBB239_3
; %bb.2:
	v_ashrrev_i32_e32 v10, 31, v5
	v_mul_lo_u32 v11, v5, s11
	v_mad_u64_u32 v[6:7], null, v5, s10, 0
	v_mul_lo_u32 v13, v5, s7
	s_delay_alu instid0(VALU_DEP_4) | instskip(SKIP_2) | instid1(VALU_DEP_3)
	v_mul_lo_u32 v12, v10, s10
	v_mad_u64_u32 v[8:9], null, v5, s6, 0
	v_mul_lo_u32 v5, v10, s6
	v_add3_u32 v7, v7, v11, v12
	s_delay_alu instid0(VALU_DEP_2) | instskip(NEXT) | instid1(VALU_DEP_2)
	v_add3_u32 v9, v9, v13, v5
	v_lshlrev_b64 v[5:6], 4, v[6:7]
	s_delay_alu instid0(VALU_DEP_2) | instskip(NEXT) | instid1(VALU_DEP_2)
	v_lshlrev_b64 v[7:8], 4, v[8:9]
	v_add_co_u32 v5, vcc_lo, s9, v5
	s_delay_alu instid0(VALU_DEP_3) | instskip(NEXT) | instid1(VALU_DEP_3)
	v_add_co_ci_u32_e32 v6, vcc_lo, s16, v6, vcc_lo
	v_add_co_u32 v9, vcc_lo, s4, v7
	s_delay_alu instid0(VALU_DEP_4)
	v_add_co_ci_u32_e32 v10, vcc_lo, s5, v8, vcc_lo
	global_load_b128 v[5:8], v[5:6], off
	global_load_b128 v[9:12], v[9:10], off
	s_waitcnt vmcnt(0)
	v_mul_f64 v[13:14], v[5:6], v[11:12]
	v_mul_f64 v[11:12], v[7:8], v[11:12]
	s_delay_alu instid0(VALU_DEP_2) | instskip(NEXT) | instid1(VALU_DEP_2)
	v_fma_f64 v[7:8], v[7:8], v[9:10], v[13:14]
	v_fma_f64 v[5:6], v[5:6], v[9:10], -v[11:12]
	s_delay_alu instid0(VALU_DEP_2) | instskip(NEXT) | instid1(VALU_DEP_2)
	v_add_f64 v[3:4], v[3:4], v[7:8]
	v_add_f64 v[1:2], v[1:2], v[5:6]
.LBB239_3:
	s_or_b32 exec_lo, exec_lo, s8
.LBB239_4:
	s_delay_alu instid0(SALU_CYCLE_1) | instskip(SKIP_2) | instid1(VALU_DEP_2)
	s_or_b32 exec_lo, exec_lo, s2
	v_and_b32_e32 v14, 31, v0
	v_cmp_gt_u32_e32 vcc_lo, 32, v0
	v_lshlrev_b32_e32 v9, 4, v14
	s_and_saveexec_b32 s2, vcc_lo
	s_cbranch_execz .LBB239_6
; %bb.5:
	v_mov_b32_e32 v5, 0
	s_delay_alu instid0(VALU_DEP_1)
	v_mov_b32_e32 v6, v5
	v_mov_b32_e32 v7, v5
	;; [unrolled: 1-line block ×3, first 2 shown]
	ds_store_b128 v9, v[5:8]
.LBB239_6:
	s_or_b32 exec_lo, exec_lo, s2
	v_mbcnt_lo_u32_b32 v13, -1, 0
	s_mov_b32 s4, exec_lo
	s_waitcnt lgkmcnt(0)
	s_barrier
	buffer_gl0_inv
	v_cmp_gt_u32_e64 s2, 16, v13
	s_delay_alu instid0(VALU_DEP_1) | instskip(SKIP_1) | instid1(VALU_DEP_2)
	v_cndmask_b32_e64 v5, 0, 1, s2
	v_cmp_gt_u32_e64 s2, 24, v13
	v_lshlrev_b32_e32 v5, 4, v5
	s_delay_alu instid0(VALU_DEP_1)
	v_add_lshl_u32 v8, v5, v13, 2
	ds_bpermute_b32 v5, v8, v1
	ds_bpermute_b32 v6, v8, v2
	;; [unrolled: 1-line block ×4, first 2 shown]
	s_waitcnt lgkmcnt(2)
	v_add_f64 v[1:2], v[1:2], v[5:6]
	v_cndmask_b32_e64 v5, 0, 1, s2
	s_waitcnt lgkmcnt(0)
	v_add_f64 v[3:4], v[3:4], v[7:8]
	v_cmp_gt_u32_e64 s2, 28, v13
	s_delay_alu instid0(VALU_DEP_3) | instskip(NEXT) | instid1(VALU_DEP_1)
	v_lshlrev_b32_e32 v5, 3, v5
	v_add_lshl_u32 v10, v5, v13, 2
	ds_bpermute_b32 v5, v10, v1
	ds_bpermute_b32 v6, v10, v2
	;; [unrolled: 1-line block ×4, first 2 shown]
	s_waitcnt lgkmcnt(2)
	v_add_f64 v[1:2], v[1:2], v[5:6]
	v_cndmask_b32_e64 v5, 0, 1, s2
	s_waitcnt lgkmcnt(0)
	v_add_f64 v[3:4], v[3:4], v[7:8]
	v_cmp_gt_u32_e64 s2, 30, v13
	s_delay_alu instid0(VALU_DEP_3) | instskip(NEXT) | instid1(VALU_DEP_1)
	v_lshlrev_b32_e32 v5, 2, v5
	v_add_lshl_u32 v11, v5, v13, 2
	ds_bpermute_b32 v5, v11, v1
	ds_bpermute_b32 v6, v11, v2
	;; [unrolled: 1-line block ×4, first 2 shown]
	s_waitcnt lgkmcnt(2)
	v_add_f64 v[1:2], v[1:2], v[5:6]
	v_cndmask_b32_e64 v5, 0, 1, s2
	s_waitcnt lgkmcnt(0)
	v_add_f64 v[3:4], v[3:4], v[7:8]
	v_cmp_ne_u32_e64 s2, 31, v13
	s_delay_alu instid0(VALU_DEP_3) | instskip(NEXT) | instid1(VALU_DEP_1)
	v_lshlrev_b32_e32 v5, 1, v5
	v_add_lshl_u32 v12, v5, v13, 2
	ds_bpermute_b32 v5, v12, v1
	ds_bpermute_b32 v6, v12, v2
	;; [unrolled: 1-line block ×4, first 2 shown]
	s_waitcnt lgkmcnt(2)
	v_add_f64 v[1:2], v[1:2], v[5:6]
	s_waitcnt lgkmcnt(0)
	v_add_f64 v[5:6], v[3:4], v[7:8]
	v_add_co_ci_u32_e64 v3, s2, 0, v13, s2
	s_delay_alu instid0(VALU_DEP_1)
	v_lshlrev_b32_e32 v13, 2, v3
	ds_bpermute_b32 v3, v13, v1
	ds_bpermute_b32 v4, v13, v2
	;; [unrolled: 1-line block ×4, first 2 shown]
	v_cmpx_eq_u32_e32 0, v14
	s_cbranch_execz .LBB239_8
; %bb.7:
	s_waitcnt lgkmcnt(0)
	v_add_f64 v[5:6], v[5:6], v[7:8]
	v_add_f64 v[3:4], v[1:2], v[3:4]
	v_lshrrev_b32_e32 v1, 1, v0
	s_delay_alu instid0(VALU_DEP_1)
	v_and_b32_e32 v1, 0xf0, v1
	ds_store_b128 v1, v[3:6]
.LBB239_8:
	s_or_b32 exec_lo, exec_lo, s4
	s_waitcnt lgkmcnt(2)
	v_mov_b32_e32 v3, 0
	v_mov_b32_e32 v4, 0
	s_delay_alu instid0(VALU_DEP_2)
	v_mov_b32_e32 v1, v3
	s_mov_b32 s4, exec_lo
	s_waitcnt lgkmcnt(0)
	s_barrier
	v_mov_b32_e32 v2, v4
	buffer_gl0_inv
	v_cmpx_gt_u32_e32 16, v0
	s_cbranch_execz .LBB239_10
; %bb.9:
	ds_load_b128 v[1:4], v9
.LBB239_10:
	s_or_b32 exec_lo, exec_lo, s4
	s_and_saveexec_b32 s2, vcc_lo
	s_cbranch_execz .LBB239_12
; %bb.11:
	s_waitcnt lgkmcnt(0)
	ds_bpermute_b32 v5, v10, v1
	ds_bpermute_b32 v6, v10, v2
	ds_bpermute_b32 v7, v10, v3
	ds_bpermute_b32 v8, v10, v4
	s_waitcnt lgkmcnt(2)
	v_add_f64 v[1:2], v[1:2], v[5:6]
	s_waitcnt lgkmcnt(0)
	v_add_f64 v[3:4], v[3:4], v[7:8]
	ds_bpermute_b32 v5, v11, v1
	ds_bpermute_b32 v6, v11, v2
	ds_bpermute_b32 v7, v11, v3
	ds_bpermute_b32 v8, v11, v4
	s_waitcnt lgkmcnt(2)
	v_add_f64 v[1:2], v[1:2], v[5:6]
	s_waitcnt lgkmcnt(0)
	v_add_f64 v[3:4], v[3:4], v[7:8]
	;; [unrolled: 8-line block ×4, first 2 shown]
.LBB239_12:
	s_or_b32 exec_lo, exec_lo, s2
	s_delay_alu instid0(SALU_CYCLE_1)
	s_mov_b32 s2, exec_lo
	v_cmpx_eq_u32_e32 0, v0
	s_cbranch_execz .LBB239_18
; %bb.13:
	s_cmp_lg_u32 s3, 1
	s_cbranch_scc0 .LBB239_15
; %bb.14:
	s_load_b64 s[4:5], s[0:1], 0x50
	s_mul_hi_u32 s7, s3, s12
	s_mul_i32 s6, s3, s12
	s_mov_b32 s15, 0
	s_lshl_b64 s[2:3], s[6:7], 4
	s_waitcnt lgkmcnt(0)
	s_add_u32 s4, s4, s2
	s_addc_u32 s5, s5, s3
	s_lshl_b64 s[2:3], s[14:15], 4
	s_delay_alu instid0(SALU_CYCLE_1)
	s_add_u32 s2, s4, s2
	s_addc_u32 s3, s5, s3
	s_cbranch_execz .LBB239_16
	s_branch .LBB239_17
.LBB239_15:
                                        ; implicit-def: $sgpr2_sgpr3
.LBB239_16:
	s_load_b64 s[0:1], s[0:1], 0x58
	s_lshl_b64 s[2:3], s[12:13], 4
	s_waitcnt lgkmcnt(0)
	s_add_u32 s2, s0, s2
	s_addc_u32 s3, s1, s3
.LBB239_17:
	v_mov_b32_e32 v0, 0
	s_waitcnt lgkmcnt(0)
	global_store_b128 v0, v[1:4], s[2:3]
.LBB239_18:
	s_nop 0
	s_sendmsg sendmsg(MSG_DEALLOC_VGPRS)
	s_endpgm
	.section	.rodata,"a",@progbits
	.p2align	6, 0x0
	.amdhsa_kernel _ZL18rocblas_dot_kernelIlLb0ELi512ELi2ELb0E19rocblas_complex_numIdEPKPKS1_S1_EviT5_lT_lS6_lS7_liPT6_PT4_
		.amdhsa_group_segment_fixed_size 512
		.amdhsa_private_segment_fixed_size 0
		.amdhsa_kernarg_size 352
		.amdhsa_user_sgpr_count 14
		.amdhsa_user_sgpr_dispatch_ptr 0
		.amdhsa_user_sgpr_queue_ptr 0
		.amdhsa_user_sgpr_kernarg_segment_ptr 1
		.amdhsa_user_sgpr_dispatch_id 0
		.amdhsa_user_sgpr_private_segment_size 0
		.amdhsa_wavefront_size32 1
		.amdhsa_uses_dynamic_stack 0
		.amdhsa_enable_private_segment 0
		.amdhsa_system_sgpr_workgroup_id_x 1
		.amdhsa_system_sgpr_workgroup_id_y 0
		.amdhsa_system_sgpr_workgroup_id_z 1
		.amdhsa_system_sgpr_workgroup_info 0
		.amdhsa_system_vgpr_workitem_id 0
		.amdhsa_next_free_vgpr 15
		.amdhsa_next_free_sgpr 22
		.amdhsa_reserve_vcc 1
		.amdhsa_float_round_mode_32 0
		.amdhsa_float_round_mode_16_64 0
		.amdhsa_float_denorm_mode_32 3
		.amdhsa_float_denorm_mode_16_64 3
		.amdhsa_dx10_clamp 1
		.amdhsa_ieee_mode 1
		.amdhsa_fp16_overflow 0
		.amdhsa_workgroup_processor_mode 1
		.amdhsa_memory_ordered 1
		.amdhsa_forward_progress 0
		.amdhsa_shared_vgpr_count 0
		.amdhsa_exception_fp_ieee_invalid_op 0
		.amdhsa_exception_fp_denorm_src 0
		.amdhsa_exception_fp_ieee_div_zero 0
		.amdhsa_exception_fp_ieee_overflow 0
		.amdhsa_exception_fp_ieee_underflow 0
		.amdhsa_exception_fp_ieee_inexact 0
		.amdhsa_exception_int_div_zero 0
	.end_amdhsa_kernel
	.section	.text._ZL18rocblas_dot_kernelIlLb0ELi512ELi2ELb0E19rocblas_complex_numIdEPKPKS1_S1_EviT5_lT_lS6_lS7_liPT6_PT4_,"axG",@progbits,_ZL18rocblas_dot_kernelIlLb0ELi512ELi2ELb0E19rocblas_complex_numIdEPKPKS1_S1_EviT5_lT_lS6_lS7_liPT6_PT4_,comdat
.Lfunc_end239:
	.size	_ZL18rocblas_dot_kernelIlLb0ELi512ELi2ELb0E19rocblas_complex_numIdEPKPKS1_S1_EviT5_lT_lS6_lS7_liPT6_PT4_, .Lfunc_end239-_ZL18rocblas_dot_kernelIlLb0ELi512ELi2ELb0E19rocblas_complex_numIdEPKPKS1_S1_EviT5_lT_lS6_lS7_liPT6_PT4_
                                        ; -- End function
	.section	.AMDGPU.csdata,"",@progbits
; Kernel info:
; codeLenInByte = 1616
; NumSgprs: 24
; NumVgprs: 15
; ScratchSize: 0
; MemoryBound: 0
; FloatMode: 240
; IeeeMode: 1
; LDSByteSize: 512 bytes/workgroup (compile time only)
; SGPRBlocks: 2
; VGPRBlocks: 1
; NumSGPRsForWavesPerEU: 24
; NumVGPRsForWavesPerEU: 15
; Occupancy: 16
; WaveLimiterHint : 1
; COMPUTE_PGM_RSRC2:SCRATCH_EN: 0
; COMPUTE_PGM_RSRC2:USER_SGPR: 14
; COMPUTE_PGM_RSRC2:TRAP_HANDLER: 0
; COMPUTE_PGM_RSRC2:TGID_X_EN: 1
; COMPUTE_PGM_RSRC2:TGID_Y_EN: 0
; COMPUTE_PGM_RSRC2:TGID_Z_EN: 1
; COMPUTE_PGM_RSRC2:TIDIG_COMP_CNT: 0
	.section	.text._ZL24rocblas_dot_kernel_magsqIlLb0ELi512ELi2ELb0E19rocblas_complex_numIdEPKPKS1_S1_EviT5_lT_liPT6_PT4_,"axG",@progbits,_ZL24rocblas_dot_kernel_magsqIlLb0ELi512ELi2ELb0E19rocblas_complex_numIdEPKPKS1_S1_EviT5_lT_liPT6_PT4_,comdat
	.globl	_ZL24rocblas_dot_kernel_magsqIlLb0ELi512ELi2ELb0E19rocblas_complex_numIdEPKPKS1_S1_EviT5_lT_liPT6_PT4_ ; -- Begin function _ZL24rocblas_dot_kernel_magsqIlLb0ELi512ELi2ELb0E19rocblas_complex_numIdEPKPKS1_S1_EviT5_lT_liPT6_PT4_
	.p2align	8
	.type	_ZL24rocblas_dot_kernel_magsqIlLb0ELi512ELi2ELb0E19rocblas_complex_numIdEPKPKS1_S1_EviT5_lT_liPT6_PT4_,@function
_ZL24rocblas_dot_kernel_magsqIlLb0ELi512ELi2ELb0E19rocblas_complex_numIdEPKPKS1_S1_EviT5_lT_liPT6_PT4_: ; @_ZL24rocblas_dot_kernel_magsqIlLb0ELi512ELi2ELb0E19rocblas_complex_numIdEPKPKS1_S1_EviT5_lT_liPT6_PT4_
; %bb.0:
	s_clause 0x1
	s_load_b32 s10, s[0:1], 0x0
	s_load_b32 s3, s[0:1], 0x40
	v_mov_b32_e32 v1, 0
	v_mov_b32_e32 v2, 0
	v_lshl_or_b32 v5, s14, 9, v0
	s_mov_b32 s8, s15
	s_mov_b32 s9, 0
	s_mov_b32 s2, exec_lo
	v_dual_mov_b32 v4, v2 :: v_dual_mov_b32 v3, v1
	s_waitcnt lgkmcnt(0)
	v_cmpx_gt_i32_e64 s10, v5
	s_cbranch_execz .LBB240_4
; %bb.1:
	s_clause 0x1
	s_load_b64 s[12:13], s[0:1], 0x8
	s_load_b128 s[4:7], s[0:1], 0x10
	s_lshl_b64 s[16:17], s[8:9], 3
	v_ashrrev_i32_e32 v1, 31, v5
	s_waitcnt lgkmcnt(0)
	s_add_u32 s12, s12, s16
	s_addc_u32 s13, s13, s17
	v_mul_lo_u32 v3, v5, s7
	s_load_b64 s[12:13], s[12:13], 0x0
	v_mul_lo_u32 v4, v1, s6
	v_mad_u64_u32 v[1:2], null, v5, s6, 0
	s_lshl_b64 s[4:5], s[4:5], 4
	s_delay_alu instid0(VALU_DEP_1) | instskip(NEXT) | instid1(VALU_DEP_1)
	v_add3_u32 v2, v2, v3, v4
	v_lshlrev_b64 v[1:2], 4, v[1:2]
	s_waitcnt lgkmcnt(0)
	s_add_u32 s4, s12, s4
	s_addc_u32 s5, s13, s5
	s_delay_alu instid0(VALU_DEP_1) | instskip(NEXT) | instid1(VALU_DEP_2)
	v_add_co_u32 v1, vcc_lo, s4, v1
	v_add_co_ci_u32_e32 v2, vcc_lo, s5, v2, vcc_lo
	s_add_i32 s11, s14, s3
	global_load_b128 v[1:4], v[1:2], off
	s_waitcnt vmcnt(0)
	v_mul_f64 v[5:6], v[3:4], v[3:4]
	v_mul_f64 v[3:4], v[1:2], v[3:4]
	s_delay_alu instid0(VALU_DEP_2) | instskip(NEXT) | instid1(VALU_DEP_2)
	v_fma_f64 v[1:2], v[1:2], v[1:2], -v[5:6]
	v_fma_f64 v[3:4], v[3:4], 2.0, 0
	v_lshl_or_b32 v5, s11, 9, v0
	s_delay_alu instid0(VALU_DEP_1)
	v_cmp_gt_i32_e32 vcc_lo, s10, v5
	s_and_saveexec_b32 s10, vcc_lo
	s_cbranch_execz .LBB240_3
; %bb.2:
	v_ashrrev_i32_e32 v8, 31, v5
	v_mul_lo_u32 v9, v5, s7
	v_mad_u64_u32 v[6:7], null, v5, s6, 0
	s_delay_alu instid0(VALU_DEP_3) | instskip(NEXT) | instid1(VALU_DEP_1)
	v_mul_lo_u32 v5, v8, s6
	v_add3_u32 v7, v7, v9, v5
	s_delay_alu instid0(VALU_DEP_1) | instskip(NEXT) | instid1(VALU_DEP_1)
	v_lshlrev_b64 v[5:6], 4, v[6:7]
	v_add_co_u32 v5, vcc_lo, s4, v5
	s_delay_alu instid0(VALU_DEP_2) | instskip(SKIP_4) | instid1(VALU_DEP_2)
	v_add_co_ci_u32_e32 v6, vcc_lo, s5, v6, vcc_lo
	global_load_b128 v[5:8], v[5:6], off
	s_waitcnt vmcnt(0)
	v_mul_f64 v[9:10], v[7:8], v[7:8]
	v_mul_f64 v[7:8], v[5:6], v[7:8]
	v_fma_f64 v[5:6], v[5:6], v[5:6], -v[9:10]
	s_delay_alu instid0(VALU_DEP_2) | instskip(NEXT) | instid1(VALU_DEP_2)
	v_fma_f64 v[3:4], v[7:8], 2.0, v[3:4]
	v_add_f64 v[1:2], v[1:2], v[5:6]
.LBB240_3:
	s_or_b32 exec_lo, exec_lo, s10
.LBB240_4:
	s_delay_alu instid0(SALU_CYCLE_1) | instskip(SKIP_2) | instid1(VALU_DEP_2)
	s_or_b32 exec_lo, exec_lo, s2
	v_and_b32_e32 v14, 31, v0
	v_cmp_gt_u32_e32 vcc_lo, 32, v0
	v_lshlrev_b32_e32 v9, 4, v14
	s_and_saveexec_b32 s2, vcc_lo
	s_cbranch_execz .LBB240_6
; %bb.5:
	v_mov_b32_e32 v5, 0
	s_delay_alu instid0(VALU_DEP_1)
	v_mov_b32_e32 v6, v5
	v_mov_b32_e32 v7, v5
	;; [unrolled: 1-line block ×3, first 2 shown]
	ds_store_b128 v9, v[5:8]
.LBB240_6:
	s_or_b32 exec_lo, exec_lo, s2
	v_mbcnt_lo_u32_b32 v13, -1, 0
	s_mov_b32 s4, exec_lo
	s_waitcnt lgkmcnt(0)
	s_barrier
	buffer_gl0_inv
	v_cmp_gt_u32_e64 s2, 16, v13
	s_delay_alu instid0(VALU_DEP_1) | instskip(SKIP_1) | instid1(VALU_DEP_2)
	v_cndmask_b32_e64 v5, 0, 1, s2
	v_cmp_gt_u32_e64 s2, 24, v13
	v_lshlrev_b32_e32 v5, 4, v5
	s_delay_alu instid0(VALU_DEP_1)
	v_add_lshl_u32 v8, v5, v13, 2
	ds_bpermute_b32 v5, v8, v1
	ds_bpermute_b32 v6, v8, v2
	;; [unrolled: 1-line block ×4, first 2 shown]
	s_waitcnt lgkmcnt(2)
	v_add_f64 v[1:2], v[1:2], v[5:6]
	v_cndmask_b32_e64 v5, 0, 1, s2
	s_waitcnt lgkmcnt(0)
	v_add_f64 v[3:4], v[3:4], v[7:8]
	v_cmp_gt_u32_e64 s2, 28, v13
	s_delay_alu instid0(VALU_DEP_3) | instskip(NEXT) | instid1(VALU_DEP_1)
	v_lshlrev_b32_e32 v5, 3, v5
	v_add_lshl_u32 v10, v5, v13, 2
	ds_bpermute_b32 v5, v10, v1
	ds_bpermute_b32 v6, v10, v2
	ds_bpermute_b32 v7, v10, v3
	ds_bpermute_b32 v8, v10, v4
	s_waitcnt lgkmcnt(2)
	v_add_f64 v[1:2], v[1:2], v[5:6]
	v_cndmask_b32_e64 v5, 0, 1, s2
	s_waitcnt lgkmcnt(0)
	v_add_f64 v[3:4], v[3:4], v[7:8]
	v_cmp_gt_u32_e64 s2, 30, v13
	s_delay_alu instid0(VALU_DEP_3) | instskip(NEXT) | instid1(VALU_DEP_1)
	v_lshlrev_b32_e32 v5, 2, v5
	v_add_lshl_u32 v11, v5, v13, 2
	ds_bpermute_b32 v5, v11, v1
	ds_bpermute_b32 v6, v11, v2
	;; [unrolled: 1-line block ×4, first 2 shown]
	s_waitcnt lgkmcnt(2)
	v_add_f64 v[1:2], v[1:2], v[5:6]
	v_cndmask_b32_e64 v5, 0, 1, s2
	s_waitcnt lgkmcnt(0)
	v_add_f64 v[3:4], v[3:4], v[7:8]
	v_cmp_ne_u32_e64 s2, 31, v13
	s_delay_alu instid0(VALU_DEP_3) | instskip(NEXT) | instid1(VALU_DEP_1)
	v_lshlrev_b32_e32 v5, 1, v5
	v_add_lshl_u32 v12, v5, v13, 2
	ds_bpermute_b32 v5, v12, v1
	ds_bpermute_b32 v6, v12, v2
	;; [unrolled: 1-line block ×4, first 2 shown]
	s_waitcnt lgkmcnt(2)
	v_add_f64 v[1:2], v[1:2], v[5:6]
	s_waitcnt lgkmcnt(0)
	v_add_f64 v[5:6], v[3:4], v[7:8]
	v_add_co_ci_u32_e64 v3, s2, 0, v13, s2
	s_delay_alu instid0(VALU_DEP_1)
	v_lshlrev_b32_e32 v13, 2, v3
	ds_bpermute_b32 v3, v13, v1
	ds_bpermute_b32 v4, v13, v2
	;; [unrolled: 1-line block ×4, first 2 shown]
	v_cmpx_eq_u32_e32 0, v14
	s_cbranch_execz .LBB240_8
; %bb.7:
	s_waitcnt lgkmcnt(0)
	v_add_f64 v[5:6], v[5:6], v[7:8]
	v_add_f64 v[3:4], v[1:2], v[3:4]
	v_lshrrev_b32_e32 v1, 1, v0
	s_delay_alu instid0(VALU_DEP_1)
	v_and_b32_e32 v1, 0xf0, v1
	ds_store_b128 v1, v[3:6]
.LBB240_8:
	s_or_b32 exec_lo, exec_lo, s4
	s_waitcnt lgkmcnt(2)
	v_mov_b32_e32 v3, 0
	v_mov_b32_e32 v4, 0
	s_delay_alu instid0(VALU_DEP_2)
	v_mov_b32_e32 v1, v3
	s_mov_b32 s4, exec_lo
	s_waitcnt lgkmcnt(0)
	s_barrier
	v_mov_b32_e32 v2, v4
	buffer_gl0_inv
	v_cmpx_gt_u32_e32 16, v0
	s_cbranch_execz .LBB240_10
; %bb.9:
	ds_load_b128 v[1:4], v9
.LBB240_10:
	s_or_b32 exec_lo, exec_lo, s4
	s_and_saveexec_b32 s2, vcc_lo
	s_cbranch_execz .LBB240_12
; %bb.11:
	s_waitcnt lgkmcnt(0)
	ds_bpermute_b32 v5, v10, v1
	ds_bpermute_b32 v6, v10, v2
	ds_bpermute_b32 v7, v10, v3
	ds_bpermute_b32 v8, v10, v4
	s_waitcnt lgkmcnt(2)
	v_add_f64 v[1:2], v[1:2], v[5:6]
	s_waitcnt lgkmcnt(0)
	v_add_f64 v[3:4], v[3:4], v[7:8]
	ds_bpermute_b32 v5, v11, v1
	ds_bpermute_b32 v6, v11, v2
	ds_bpermute_b32 v7, v11, v3
	ds_bpermute_b32 v8, v11, v4
	s_waitcnt lgkmcnt(2)
	v_add_f64 v[1:2], v[1:2], v[5:6]
	s_waitcnt lgkmcnt(0)
	v_add_f64 v[3:4], v[3:4], v[7:8]
	;; [unrolled: 8-line block ×4, first 2 shown]
.LBB240_12:
	s_or_b32 exec_lo, exec_lo, s2
	s_delay_alu instid0(SALU_CYCLE_1)
	s_mov_b32 s2, exec_lo
	v_cmpx_eq_u32_e32 0, v0
	s_cbranch_execz .LBB240_18
; %bb.13:
	s_cmp_lg_u32 s3, 1
	s_cbranch_scc0 .LBB240_15
; %bb.14:
	s_load_b64 s[4:5], s[0:1], 0x30
	s_mul_hi_u32 s7, s3, s8
	s_mul_i32 s6, s3, s8
	s_mov_b32 s15, 0
	s_lshl_b64 s[2:3], s[6:7], 4
	s_waitcnt lgkmcnt(0)
	s_add_u32 s4, s4, s2
	s_addc_u32 s5, s5, s3
	s_lshl_b64 s[2:3], s[14:15], 4
	s_delay_alu instid0(SALU_CYCLE_1)
	s_add_u32 s2, s4, s2
	s_addc_u32 s3, s5, s3
	s_cbranch_execz .LBB240_16
	s_branch .LBB240_17
.LBB240_15:
                                        ; implicit-def: $sgpr2_sgpr3
.LBB240_16:
	s_load_b64 s[0:1], s[0:1], 0x38
	s_lshl_b64 s[2:3], s[8:9], 4
	s_waitcnt lgkmcnt(0)
	s_add_u32 s2, s0, s2
	s_addc_u32 s3, s1, s3
.LBB240_17:
	v_mov_b32_e32 v0, 0
	s_waitcnt lgkmcnt(0)
	global_store_b128 v0, v[1:4], s[2:3]
.LBB240_18:
	s_nop 0
	s_sendmsg sendmsg(MSG_DEALLOC_VGPRS)
	s_endpgm
	.section	.rodata,"a",@progbits
	.p2align	6, 0x0
	.amdhsa_kernel _ZL24rocblas_dot_kernel_magsqIlLb0ELi512ELi2ELb0E19rocblas_complex_numIdEPKPKS1_S1_EviT5_lT_liPT6_PT4_
		.amdhsa_group_segment_fixed_size 512
		.amdhsa_private_segment_fixed_size 0
		.amdhsa_kernarg_size 320
		.amdhsa_user_sgpr_count 14
		.amdhsa_user_sgpr_dispatch_ptr 0
		.amdhsa_user_sgpr_queue_ptr 0
		.amdhsa_user_sgpr_kernarg_segment_ptr 1
		.amdhsa_user_sgpr_dispatch_id 0
		.amdhsa_user_sgpr_private_segment_size 0
		.amdhsa_wavefront_size32 1
		.amdhsa_uses_dynamic_stack 0
		.amdhsa_enable_private_segment 0
		.amdhsa_system_sgpr_workgroup_id_x 1
		.amdhsa_system_sgpr_workgroup_id_y 0
		.amdhsa_system_sgpr_workgroup_id_z 1
		.amdhsa_system_sgpr_workgroup_info 0
		.amdhsa_system_vgpr_workitem_id 0
		.amdhsa_next_free_vgpr 15
		.amdhsa_next_free_sgpr 18
		.amdhsa_reserve_vcc 1
		.amdhsa_float_round_mode_32 0
		.amdhsa_float_round_mode_16_64 0
		.amdhsa_float_denorm_mode_32 3
		.amdhsa_float_denorm_mode_16_64 3
		.amdhsa_dx10_clamp 1
		.amdhsa_ieee_mode 1
		.amdhsa_fp16_overflow 0
		.amdhsa_workgroup_processor_mode 1
		.amdhsa_memory_ordered 1
		.amdhsa_forward_progress 0
		.amdhsa_shared_vgpr_count 0
		.amdhsa_exception_fp_ieee_invalid_op 0
		.amdhsa_exception_fp_denorm_src 0
		.amdhsa_exception_fp_ieee_div_zero 0
		.amdhsa_exception_fp_ieee_overflow 0
		.amdhsa_exception_fp_ieee_underflow 0
		.amdhsa_exception_fp_ieee_inexact 0
		.amdhsa_exception_int_div_zero 0
	.end_amdhsa_kernel
	.section	.text._ZL24rocblas_dot_kernel_magsqIlLb0ELi512ELi2ELb0E19rocblas_complex_numIdEPKPKS1_S1_EviT5_lT_liPT6_PT4_,"axG",@progbits,_ZL24rocblas_dot_kernel_magsqIlLb0ELi512ELi2ELb0E19rocblas_complex_numIdEPKPKS1_S1_EviT5_lT_liPT6_PT4_,comdat
.Lfunc_end240:
	.size	_ZL24rocblas_dot_kernel_magsqIlLb0ELi512ELi2ELb0E19rocblas_complex_numIdEPKPKS1_S1_EviT5_lT_liPT6_PT4_, .Lfunc_end240-_ZL24rocblas_dot_kernel_magsqIlLb0ELi512ELi2ELb0E19rocblas_complex_numIdEPKPKS1_S1_EviT5_lT_liPT6_PT4_
                                        ; -- End function
	.section	.AMDGPU.csdata,"",@progbits
; Kernel info:
; codeLenInByte = 1396
; NumSgprs: 20
; NumVgprs: 15
; ScratchSize: 0
; MemoryBound: 0
; FloatMode: 240
; IeeeMode: 1
; LDSByteSize: 512 bytes/workgroup (compile time only)
; SGPRBlocks: 2
; VGPRBlocks: 1
; NumSGPRsForWavesPerEU: 20
; NumVGPRsForWavesPerEU: 15
; Occupancy: 16
; WaveLimiterHint : 1
; COMPUTE_PGM_RSRC2:SCRATCH_EN: 0
; COMPUTE_PGM_RSRC2:USER_SGPR: 14
; COMPUTE_PGM_RSRC2:TRAP_HANDLER: 0
; COMPUTE_PGM_RSRC2:TGID_X_EN: 1
; COMPUTE_PGM_RSRC2:TGID_Y_EN: 0
; COMPUTE_PGM_RSRC2:TGID_Z_EN: 1
; COMPUTE_PGM_RSRC2:TIDIG_COMP_CNT: 0
	.section	.text._ZL28rocblas_dot_batched_4_kernelIiLi32ELi4ELb1E19rocblas_complex_numIfES1_PKPKS1_EviT5_lT_lS6_lS7_liPT4_,"axG",@progbits,_ZL28rocblas_dot_batched_4_kernelIiLi32ELi4ELb1E19rocblas_complex_numIfES1_PKPKS1_EviT5_lT_lS6_lS7_liPT4_,comdat
	.globl	_ZL28rocblas_dot_batched_4_kernelIiLi32ELi4ELb1E19rocblas_complex_numIfES1_PKPKS1_EviT5_lT_lS6_lS7_liPT4_ ; -- Begin function _ZL28rocblas_dot_batched_4_kernelIiLi32ELi4ELb1E19rocblas_complex_numIfES1_PKPKS1_EviT5_lT_lS6_lS7_liPT4_
	.p2align	8
	.type	_ZL28rocblas_dot_batched_4_kernelIiLi32ELi4ELb1E19rocblas_complex_numIfES1_PKPKS1_EviT5_lT_lS6_lS7_liPT4_,@function
_ZL28rocblas_dot_batched_4_kernelIiLi32ELi4ELb1E19rocblas_complex_numIfES1_PKPKS1_EviT5_lT_lS6_lS7_liPT4_: ; @_ZL28rocblas_dot_batched_4_kernelIiLi32ELi4ELb1E19rocblas_complex_numIfES1_PKPKS1_EviT5_lT_lS6_lS7_liPT4_
; %bb.0:
	s_load_b32 s2, s[0:1], 0x48
	v_bfe_u32 v1, v0, 10, 10
	s_delay_alu instid0(VALU_DEP_1) | instskip(SKIP_1) | instid1(VALU_DEP_1)
	v_lshl_add_u32 v1, s15, 2, v1
	s_waitcnt lgkmcnt(0)
	v_cmp_gt_u32_e32 vcc_lo, s2, v1
	s_and_saveexec_b32 s2, vcc_lo
	s_cbranch_execz .LBB241_7
; %bb.1:
	s_clause 0x1
	s_load_b32 s12, s[0:1], 0x0
	s_load_b64 s[2:3], s[0:1], 0x50
	v_dual_mov_b32 v2, 0 :: v_dual_and_b32 v7, 0x3ff, v0
	s_mov_b32 s13, exec_lo
	s_delay_alu instid0(VALU_DEP_1)
	v_lshlrev_b64 v[0:1], 3, v[1:2]
	v_mov_b32_e32 v8, v2
	s_waitcnt lgkmcnt(0)
	v_cmpx_gt_i32_e64 s12, v7
	s_cbranch_execz .LBB241_5
; %bb.2:
	s_clause 0x3
	s_load_b128 s[8:11], s[0:1], 0x28
	s_load_b128 s[4:7], s[0:1], 0x8
	s_load_b32 s14, s[0:1], 0x18
	s_load_b32 s0, s[0:1], 0x38
	v_mov_b32_e32 v9, v7
	s_waitcnt lgkmcnt(0)
	v_add_co_u32 v2, vcc_lo, s8, v0
	v_add_co_ci_u32_e32 v3, vcc_lo, s9, v1, vcc_lo
	v_add_co_u32 v4, vcc_lo, s4, v0
	v_add_co_ci_u32_e32 v5, vcc_lo, s5, v1, vcc_lo
	global_load_b64 v[10:11], v[2:3], off
	global_load_b64 v[3:4], v[4:5], off
	v_mad_i64_i32 v[5:6], null, s0, v7, 0
	v_mad_i64_i32 v[12:13], null, s14, v7, 0
	s_lshl_b64 s[4:5], s[10:11], 3
	s_lshl_b64 s[6:7], s[6:7], 3
	v_mov_b32_e32 v2, 0
	s_ashr_i32 s15, s14, 31
	s_delay_alu instid0(VALU_DEP_3) | instskip(SKIP_1) | instid1(VALU_DEP_3)
	v_lshlrev_b64 v[5:6], 3, v[5:6]
	s_ashr_i32 s1, s0, 31
	v_lshlrev_b64 v[12:13], 3, v[12:13]
	s_delay_alu instid0(VALU_DEP_2) | instskip(NEXT) | instid1(VALU_DEP_3)
	v_add_co_u32 v5, vcc_lo, v5, s4
	v_add_co_ci_u32_e32 v6, vcc_lo, s5, v6, vcc_lo
	s_delay_alu instid0(VALU_DEP_3) | instskip(NEXT) | instid1(VALU_DEP_4)
	v_add_co_u32 v8, vcc_lo, v12, s6
	v_add_co_ci_u32_e32 v12, vcc_lo, s7, v13, vcc_lo
	s_lshl_b64 s[4:5], s[0:1], 8
	s_lshl_b64 s[6:7], s[14:15], 8
	s_mov_b32 s1, 0
	s_waitcnt vmcnt(1)
	v_add_co_u32 v5, vcc_lo, v5, v10
	v_add_co_ci_u32_e32 v6, vcc_lo, v6, v11, vcc_lo
	s_waitcnt vmcnt(0)
	v_add_co_u32 v8, vcc_lo, v8, v3
	v_add_co_ci_u32_e32 v10, vcc_lo, v12, v4, vcc_lo
	v_add_co_u32 v3, vcc_lo, v5, 4
	v_add_co_ci_u32_e32 v4, vcc_lo, 0, v6, vcc_lo
	s_delay_alu instid0(VALU_DEP_4) | instskip(NEXT) | instid1(VALU_DEP_4)
	v_add_co_u32 v5, vcc_lo, v8, 4
	v_add_co_ci_u32_e32 v6, vcc_lo, 0, v10, vcc_lo
	v_mov_b32_e32 v8, 0
	.p2align	6
.LBB241_3:                              ; =>This Inner Loop Header: Depth=1
	global_load_b64 v[10:11], v[5:6], off offset:-4
	global_load_b64 v[12:13], v[3:4], off offset:-4
	v_add_co_u32 v3, vcc_lo, v3, s4
	v_add_co_ci_u32_e32 v4, vcc_lo, s5, v4, vcc_lo
	v_add_co_u32 v5, vcc_lo, v5, s6
	v_add_co_ci_u32_e32 v6, vcc_lo, s7, v6, vcc_lo
	s_waitcnt vmcnt(0)
	v_mul_f32_e32 v14, v11, v13
	s_delay_alu instid0(VALU_DEP_1) | instskip(SKIP_1) | instid1(VALU_DEP_2)
	v_dual_fmac_f32 v14, v10, v12 :: v_dual_add_nc_u32 v9, 32, v9
	v_mul_f32_e32 v11, v11, v12
	v_cmp_le_i32_e64 s0, s12, v9
	s_delay_alu instid0(VALU_DEP_3) | instskip(NEXT) | instid1(VALU_DEP_3)
	v_add_f32_e32 v2, v2, v14
	v_fma_f32 v10, v10, v13, -v11
	s_delay_alu instid0(VALU_DEP_3) | instskip(NEXT) | instid1(VALU_DEP_1)
	s_or_b32 s1, s0, s1
	v_add_f32_e32 v8, v8, v10
	s_and_not1_b32 exec_lo, exec_lo, s1
	s_cbranch_execnz .LBB241_3
; %bb.4:
	s_or_b32 exec_lo, exec_lo, s1
.LBB241_5:
	s_delay_alu instid0(SALU_CYCLE_1)
	s_or_b32 exec_lo, exec_lo, s13
	v_mbcnt_lo_u32_b32 v3, -1, 0
	s_barrier
	buffer_gl0_inv
	v_cmp_gt_u32_e32 vcc_lo, 16, v3
	v_cndmask_b32_e64 v4, 0, 1, vcc_lo
	v_cmp_gt_u32_e32 vcc_lo, 24, v3
	s_delay_alu instid0(VALU_DEP_2) | instskip(SKIP_2) | instid1(VALU_DEP_3)
	v_lshlrev_b32_e32 v4, 4, v4
	v_cndmask_b32_e64 v6, 0, 1, vcc_lo
	v_cmp_gt_u32_e32 vcc_lo, 28, v3
	v_add_lshl_u32 v4, v4, v3, 2
	s_delay_alu instid0(VALU_DEP_3)
	v_lshlrev_b32_e32 v6, 3, v6
	ds_bpermute_b32 v5, v4, v2
	ds_bpermute_b32 v4, v4, v8
	v_add_lshl_u32 v6, v6, v3, 2
	s_waitcnt lgkmcnt(1)
	v_add_f32_e32 v2, v2, v5
	s_waitcnt lgkmcnt(0)
	v_add_f32_e32 v4, v8, v4
	v_cndmask_b32_e64 v8, 0, 1, vcc_lo
	v_cmp_gt_u32_e32 vcc_lo, 30, v3
	ds_bpermute_b32 v5, v6, v2
	ds_bpermute_b32 v6, v6, v4
	v_lshlrev_b32_e32 v8, 2, v8
	s_delay_alu instid0(VALU_DEP_1)
	v_add_lshl_u32 v8, v8, v3, 2
	s_waitcnt lgkmcnt(1)
	v_add_f32_e32 v2, v2, v5
	s_waitcnt lgkmcnt(0)
	v_add_f32_e32 v4, v4, v6
	ds_bpermute_b32 v5, v8, v2
	ds_bpermute_b32 v6, v8, v4
	v_cndmask_b32_e64 v8, 0, 1, vcc_lo
	v_cmp_ne_u32_e32 vcc_lo, 31, v3
	s_delay_alu instid0(VALU_DEP_2) | instskip(NEXT) | instid1(VALU_DEP_1)
	v_lshlrev_b32_e32 v8, 1, v8
	v_add_lshl_u32 v8, v8, v3, 2
	v_add_co_ci_u32_e32 v3, vcc_lo, 0, v3, vcc_lo
	v_cmp_eq_u32_e32 vcc_lo, 0, v7
	s_waitcnt lgkmcnt(1)
	v_add_f32_e32 v2, v2, v5
	s_waitcnt lgkmcnt(0)
	v_add_f32_e32 v4, v4, v6
	ds_bpermute_b32 v5, v8, v2
	ds_bpermute_b32 v6, v8, v4
	v_lshlrev_b32_e32 v8, 2, v3
	s_waitcnt lgkmcnt(0)
	v_dual_add_f32 v2, v2, v5 :: v_dual_add_f32 v3, v4, v6
	ds_bpermute_b32 v4, v8, v2
	ds_bpermute_b32 v5, v8, v3
	s_and_b32 exec_lo, exec_lo, vcc_lo
	s_cbranch_execz .LBB241_7
; %bb.6:
	v_add_co_u32 v0, vcc_lo, s2, v0
	v_add_co_ci_u32_e32 v1, vcc_lo, s3, v1, vcc_lo
	s_waitcnt lgkmcnt(0)
	v_dual_add_f32 v3, v3, v5 :: v_dual_add_f32 v2, v2, v4
	global_store_b64 v[0:1], v[2:3], off
.LBB241_7:
	s_nop 0
	s_sendmsg sendmsg(MSG_DEALLOC_VGPRS)
	s_endpgm
	.section	.rodata,"a",@progbits
	.p2align	6, 0x0
	.amdhsa_kernel _ZL28rocblas_dot_batched_4_kernelIiLi32ELi4ELb1E19rocblas_complex_numIfES1_PKPKS1_EviT5_lT_lS6_lS7_liPT4_
		.amdhsa_group_segment_fixed_size 0
		.amdhsa_private_segment_fixed_size 0
		.amdhsa_kernarg_size 88
		.amdhsa_user_sgpr_count 15
		.amdhsa_user_sgpr_dispatch_ptr 0
		.amdhsa_user_sgpr_queue_ptr 0
		.amdhsa_user_sgpr_kernarg_segment_ptr 1
		.amdhsa_user_sgpr_dispatch_id 0
		.amdhsa_user_sgpr_private_segment_size 0
		.amdhsa_wavefront_size32 1
		.amdhsa_uses_dynamic_stack 0
		.amdhsa_enable_private_segment 0
		.amdhsa_system_sgpr_workgroup_id_x 1
		.amdhsa_system_sgpr_workgroup_id_y 0
		.amdhsa_system_sgpr_workgroup_id_z 0
		.amdhsa_system_sgpr_workgroup_info 0
		.amdhsa_system_vgpr_workitem_id 1
		.amdhsa_next_free_vgpr 15
		.amdhsa_next_free_sgpr 16
		.amdhsa_reserve_vcc 1
		.amdhsa_float_round_mode_32 0
		.amdhsa_float_round_mode_16_64 0
		.amdhsa_float_denorm_mode_32 3
		.amdhsa_float_denorm_mode_16_64 3
		.amdhsa_dx10_clamp 1
		.amdhsa_ieee_mode 1
		.amdhsa_fp16_overflow 0
		.amdhsa_workgroup_processor_mode 1
		.amdhsa_memory_ordered 1
		.amdhsa_forward_progress 0
		.amdhsa_shared_vgpr_count 0
		.amdhsa_exception_fp_ieee_invalid_op 0
		.amdhsa_exception_fp_denorm_src 0
		.amdhsa_exception_fp_ieee_div_zero 0
		.amdhsa_exception_fp_ieee_overflow 0
		.amdhsa_exception_fp_ieee_underflow 0
		.amdhsa_exception_fp_ieee_inexact 0
		.amdhsa_exception_int_div_zero 0
	.end_amdhsa_kernel
	.section	.text._ZL28rocblas_dot_batched_4_kernelIiLi32ELi4ELb1E19rocblas_complex_numIfES1_PKPKS1_EviT5_lT_lS6_lS7_liPT4_,"axG",@progbits,_ZL28rocblas_dot_batched_4_kernelIiLi32ELi4ELb1E19rocblas_complex_numIfES1_PKPKS1_EviT5_lT_lS6_lS7_liPT4_,comdat
.Lfunc_end241:
	.size	_ZL28rocblas_dot_batched_4_kernelIiLi32ELi4ELb1E19rocblas_complex_numIfES1_PKPKS1_EviT5_lT_lS6_lS7_liPT4_, .Lfunc_end241-_ZL28rocblas_dot_batched_4_kernelIiLi32ELi4ELb1E19rocblas_complex_numIfES1_PKPKS1_EviT5_lT_lS6_lS7_liPT4_
                                        ; -- End function
	.section	.AMDGPU.csdata,"",@progbits
; Kernel info:
; codeLenInByte = 820
; NumSgprs: 18
; NumVgprs: 15
; ScratchSize: 0
; MemoryBound: 0
; FloatMode: 240
; IeeeMode: 1
; LDSByteSize: 0 bytes/workgroup (compile time only)
; SGPRBlocks: 2
; VGPRBlocks: 1
; NumSGPRsForWavesPerEU: 18
; NumVGPRsForWavesPerEU: 15
; Occupancy: 16
; WaveLimiterHint : 0
; COMPUTE_PGM_RSRC2:SCRATCH_EN: 0
; COMPUTE_PGM_RSRC2:USER_SGPR: 15
; COMPUTE_PGM_RSRC2:TRAP_HANDLER: 0
; COMPUTE_PGM_RSRC2:TGID_X_EN: 1
; COMPUTE_PGM_RSRC2:TGID_Y_EN: 0
; COMPUTE_PGM_RSRC2:TGID_Z_EN: 0
; COMPUTE_PGM_RSRC2:TIDIG_COMP_CNT: 1
	.section	.text._ZL28rocblas_dot_batched_4_kernelIiLi64ELi4ELb1E19rocblas_complex_numIfES1_PKPKS1_EviT5_lT_lS6_lS7_liPT4_,"axG",@progbits,_ZL28rocblas_dot_batched_4_kernelIiLi64ELi4ELb1E19rocblas_complex_numIfES1_PKPKS1_EviT5_lT_lS6_lS7_liPT4_,comdat
	.globl	_ZL28rocblas_dot_batched_4_kernelIiLi64ELi4ELb1E19rocblas_complex_numIfES1_PKPKS1_EviT5_lT_lS6_lS7_liPT4_ ; -- Begin function _ZL28rocblas_dot_batched_4_kernelIiLi64ELi4ELb1E19rocblas_complex_numIfES1_PKPKS1_EviT5_lT_lS6_lS7_liPT4_
	.p2align	8
	.type	_ZL28rocblas_dot_batched_4_kernelIiLi64ELi4ELb1E19rocblas_complex_numIfES1_PKPKS1_EviT5_lT_lS6_lS7_liPT4_,@function
_ZL28rocblas_dot_batched_4_kernelIiLi64ELi4ELb1E19rocblas_complex_numIfES1_PKPKS1_EviT5_lT_lS6_lS7_liPT4_: ; @_ZL28rocblas_dot_batched_4_kernelIiLi64ELi4ELb1E19rocblas_complex_numIfES1_PKPKS1_EviT5_lT_lS6_lS7_liPT4_
; %bb.0:
	s_load_b32 s2, s[0:1], 0x48
	v_bfe_u32 v1, v0, 10, 10
	s_delay_alu instid0(VALU_DEP_1) | instskip(SKIP_1) | instid1(VALU_DEP_1)
	v_lshl_add_u32 v1, s15, 2, v1
	s_waitcnt lgkmcnt(0)
	v_cmp_gt_u32_e32 vcc_lo, s2, v1
	s_and_saveexec_b32 s2, vcc_lo
	s_cbranch_execz .LBB242_7
; %bb.1:
	s_clause 0x1
	s_load_b32 s12, s[0:1], 0x0
	s_load_b64 s[2:3], s[0:1], 0x50
	v_dual_mov_b32 v2, 0 :: v_dual_and_b32 v7, 0x3ff, v0
	s_mov_b32 s13, exec_lo
	s_delay_alu instid0(VALU_DEP_1)
	v_lshlrev_b64 v[0:1], 3, v[1:2]
	v_mov_b32_e32 v8, v2
	s_waitcnt lgkmcnt(0)
	v_cmpx_gt_i32_e64 s12, v7
	s_cbranch_execz .LBB242_5
; %bb.2:
	s_clause 0x3
	s_load_b128 s[8:11], s[0:1], 0x28
	s_load_b128 s[4:7], s[0:1], 0x8
	s_load_b32 s14, s[0:1], 0x18
	s_load_b32 s0, s[0:1], 0x38
	v_mov_b32_e32 v9, v7
	s_waitcnt lgkmcnt(0)
	v_add_co_u32 v2, vcc_lo, s8, v0
	v_add_co_ci_u32_e32 v3, vcc_lo, s9, v1, vcc_lo
	v_add_co_u32 v4, vcc_lo, s4, v0
	v_add_co_ci_u32_e32 v5, vcc_lo, s5, v1, vcc_lo
	global_load_b64 v[10:11], v[2:3], off
	global_load_b64 v[3:4], v[4:5], off
	v_mad_i64_i32 v[5:6], null, s0, v7, 0
	v_mad_i64_i32 v[12:13], null, s14, v7, 0
	s_lshl_b64 s[4:5], s[10:11], 3
	s_lshl_b64 s[6:7], s[6:7], 3
	v_mov_b32_e32 v2, 0
	s_ashr_i32 s15, s14, 31
	s_delay_alu instid0(VALU_DEP_3) | instskip(SKIP_1) | instid1(VALU_DEP_3)
	v_lshlrev_b64 v[5:6], 3, v[5:6]
	s_ashr_i32 s1, s0, 31
	v_lshlrev_b64 v[12:13], 3, v[12:13]
	s_delay_alu instid0(VALU_DEP_2) | instskip(NEXT) | instid1(VALU_DEP_3)
	v_add_co_u32 v5, vcc_lo, v5, s4
	v_add_co_ci_u32_e32 v6, vcc_lo, s5, v6, vcc_lo
	s_delay_alu instid0(VALU_DEP_3) | instskip(NEXT) | instid1(VALU_DEP_4)
	v_add_co_u32 v8, vcc_lo, v12, s6
	v_add_co_ci_u32_e32 v12, vcc_lo, s7, v13, vcc_lo
	s_lshl_b64 s[4:5], s[0:1], 9
	s_lshl_b64 s[6:7], s[14:15], 9
	s_mov_b32 s1, 0
	s_waitcnt vmcnt(1)
	v_add_co_u32 v5, vcc_lo, v5, v10
	v_add_co_ci_u32_e32 v6, vcc_lo, v6, v11, vcc_lo
	s_waitcnt vmcnt(0)
	v_add_co_u32 v8, vcc_lo, v8, v3
	v_add_co_ci_u32_e32 v10, vcc_lo, v12, v4, vcc_lo
	v_add_co_u32 v3, vcc_lo, v5, 4
	v_add_co_ci_u32_e32 v4, vcc_lo, 0, v6, vcc_lo
	s_delay_alu instid0(VALU_DEP_4) | instskip(NEXT) | instid1(VALU_DEP_4)
	v_add_co_u32 v5, vcc_lo, v8, 4
	v_add_co_ci_u32_e32 v6, vcc_lo, 0, v10, vcc_lo
	v_mov_b32_e32 v8, 0
	.p2align	6
.LBB242_3:                              ; =>This Inner Loop Header: Depth=1
	global_load_b64 v[10:11], v[5:6], off offset:-4
	global_load_b64 v[12:13], v[3:4], off offset:-4
	v_add_co_u32 v3, vcc_lo, v3, s4
	v_add_co_ci_u32_e32 v4, vcc_lo, s5, v4, vcc_lo
	v_add_co_u32 v5, vcc_lo, v5, s6
	v_add_co_ci_u32_e32 v6, vcc_lo, s7, v6, vcc_lo
	s_waitcnt vmcnt(0)
	v_mul_f32_e32 v14, v11, v13
	s_delay_alu instid0(VALU_DEP_1) | instskip(SKIP_1) | instid1(VALU_DEP_2)
	v_dual_fmac_f32 v14, v10, v12 :: v_dual_add_nc_u32 v9, 64, v9
	v_mul_f32_e32 v11, v11, v12
	v_cmp_le_i32_e64 s0, s12, v9
	s_delay_alu instid0(VALU_DEP_3) | instskip(NEXT) | instid1(VALU_DEP_3)
	v_add_f32_e32 v2, v2, v14
	v_fma_f32 v10, v10, v13, -v11
	s_delay_alu instid0(VALU_DEP_3) | instskip(NEXT) | instid1(VALU_DEP_1)
	s_or_b32 s1, s0, s1
	v_add_f32_e32 v8, v8, v10
	s_and_not1_b32 exec_lo, exec_lo, s1
	s_cbranch_execnz .LBB242_3
; %bb.4:
	s_or_b32 exec_lo, exec_lo, s1
.LBB242_5:
	s_delay_alu instid0(SALU_CYCLE_1)
	s_or_b32 exec_lo, exec_lo, s13
	v_mbcnt_lo_u32_b32 v3, -1, 0
	s_barrier
	buffer_gl0_inv
	v_lshlrev_b32_e32 v4, 2, v3
	v_cmp_gt_u32_e32 vcc_lo, 16, v3
	ds_bpermute_b32 v5, v4, v2
	ds_bpermute_b32 v4, v4, v8
	v_cndmask_b32_e64 v6, 0, 1, vcc_lo
	v_cmp_gt_u32_e32 vcc_lo, 24, v3
	s_delay_alu instid0(VALU_DEP_2) | instskip(NEXT) | instid1(VALU_DEP_1)
	v_lshlrev_b32_e32 v6, 4, v6
	v_add_lshl_u32 v6, v6, v3, 2
	s_waitcnt lgkmcnt(1)
	v_add_f32_e32 v2, v2, v5
	s_waitcnt lgkmcnt(0)
	v_add_f32_e32 v4, v8, v4
	v_cndmask_b32_e64 v8, 0, 1, vcc_lo
	v_cmp_gt_u32_e32 vcc_lo, 28, v3
	ds_bpermute_b32 v5, v6, v2
	ds_bpermute_b32 v6, v6, v4
	v_lshlrev_b32_e32 v8, 3, v8
	s_delay_alu instid0(VALU_DEP_1)
	v_add_lshl_u32 v8, v8, v3, 2
	s_waitcnt lgkmcnt(1)
	v_add_f32_e32 v2, v2, v5
	s_waitcnt lgkmcnt(0)
	v_add_f32_e32 v4, v4, v6
	ds_bpermute_b32 v5, v8, v2
	ds_bpermute_b32 v6, v8, v4
	v_cndmask_b32_e64 v8, 0, 1, vcc_lo
	v_cmp_gt_u32_e32 vcc_lo, 30, v3
	s_delay_alu instid0(VALU_DEP_2) | instskip(NEXT) | instid1(VALU_DEP_1)
	v_lshlrev_b32_e32 v8, 2, v8
	v_add_lshl_u32 v8, v8, v3, 2
	s_waitcnt lgkmcnt(1)
	v_add_f32_e32 v2, v2, v5
	s_waitcnt lgkmcnt(0)
	v_add_f32_e32 v4, v4, v6
	ds_bpermute_b32 v5, v8, v2
	ds_bpermute_b32 v6, v8, v4
	v_cndmask_b32_e64 v8, 0, 1, vcc_lo
	v_cmp_ne_u32_e32 vcc_lo, 31, v3
	s_delay_alu instid0(VALU_DEP_2) | instskip(NEXT) | instid1(VALU_DEP_1)
	v_lshlrev_b32_e32 v8, 1, v8
	v_add_lshl_u32 v8, v8, v3, 2
	v_add_co_ci_u32_e32 v3, vcc_lo, 0, v3, vcc_lo
	v_cmp_eq_u32_e32 vcc_lo, 0, v7
	s_waitcnt lgkmcnt(1)
	v_add_f32_e32 v2, v2, v5
	s_waitcnt lgkmcnt(0)
	v_add_f32_e32 v4, v4, v6
	ds_bpermute_b32 v5, v8, v2
	ds_bpermute_b32 v6, v8, v4
	v_lshlrev_b32_e32 v8, 2, v3
	s_waitcnt lgkmcnt(0)
	v_dual_add_f32 v2, v2, v5 :: v_dual_add_f32 v3, v4, v6
	ds_bpermute_b32 v4, v8, v2
	ds_bpermute_b32 v5, v8, v3
	s_and_b32 exec_lo, exec_lo, vcc_lo
	s_cbranch_execz .LBB242_7
; %bb.6:
	v_add_co_u32 v0, vcc_lo, s2, v0
	v_add_co_ci_u32_e32 v1, vcc_lo, s3, v1, vcc_lo
	s_waitcnt lgkmcnt(0)
	v_dual_add_f32 v3, v3, v5 :: v_dual_add_f32 v2, v2, v4
	global_store_b64 v[0:1], v[2:3], off
.LBB242_7:
	s_nop 0
	s_sendmsg sendmsg(MSG_DEALLOC_VGPRS)
	s_endpgm
	.section	.rodata,"a",@progbits
	.p2align	6, 0x0
	.amdhsa_kernel _ZL28rocblas_dot_batched_4_kernelIiLi64ELi4ELb1E19rocblas_complex_numIfES1_PKPKS1_EviT5_lT_lS6_lS7_liPT4_
		.amdhsa_group_segment_fixed_size 0
		.amdhsa_private_segment_fixed_size 0
		.amdhsa_kernarg_size 88
		.amdhsa_user_sgpr_count 15
		.amdhsa_user_sgpr_dispatch_ptr 0
		.amdhsa_user_sgpr_queue_ptr 0
		.amdhsa_user_sgpr_kernarg_segment_ptr 1
		.amdhsa_user_sgpr_dispatch_id 0
		.amdhsa_user_sgpr_private_segment_size 0
		.amdhsa_wavefront_size32 1
		.amdhsa_uses_dynamic_stack 0
		.amdhsa_enable_private_segment 0
		.amdhsa_system_sgpr_workgroup_id_x 1
		.amdhsa_system_sgpr_workgroup_id_y 0
		.amdhsa_system_sgpr_workgroup_id_z 0
		.amdhsa_system_sgpr_workgroup_info 0
		.amdhsa_system_vgpr_workitem_id 1
		.amdhsa_next_free_vgpr 15
		.amdhsa_next_free_sgpr 16
		.amdhsa_reserve_vcc 1
		.amdhsa_float_round_mode_32 0
		.amdhsa_float_round_mode_16_64 0
		.amdhsa_float_denorm_mode_32 3
		.amdhsa_float_denorm_mode_16_64 3
		.amdhsa_dx10_clamp 1
		.amdhsa_ieee_mode 1
		.amdhsa_fp16_overflow 0
		.amdhsa_workgroup_processor_mode 1
		.amdhsa_memory_ordered 1
		.amdhsa_forward_progress 0
		.amdhsa_shared_vgpr_count 0
		.amdhsa_exception_fp_ieee_invalid_op 0
		.amdhsa_exception_fp_denorm_src 0
		.amdhsa_exception_fp_ieee_div_zero 0
		.amdhsa_exception_fp_ieee_overflow 0
		.amdhsa_exception_fp_ieee_underflow 0
		.amdhsa_exception_fp_ieee_inexact 0
		.amdhsa_exception_int_div_zero 0
	.end_amdhsa_kernel
	.section	.text._ZL28rocblas_dot_batched_4_kernelIiLi64ELi4ELb1E19rocblas_complex_numIfES1_PKPKS1_EviT5_lT_lS6_lS7_liPT4_,"axG",@progbits,_ZL28rocblas_dot_batched_4_kernelIiLi64ELi4ELb1E19rocblas_complex_numIfES1_PKPKS1_EviT5_lT_lS6_lS7_liPT4_,comdat
.Lfunc_end242:
	.size	_ZL28rocblas_dot_batched_4_kernelIiLi64ELi4ELb1E19rocblas_complex_numIfES1_PKPKS1_EviT5_lT_lS6_lS7_liPT4_, .Lfunc_end242-_ZL28rocblas_dot_batched_4_kernelIiLi64ELi4ELb1E19rocblas_complex_numIfES1_PKPKS1_EviT5_lT_lS6_lS7_liPT4_
                                        ; -- End function
	.section	.AMDGPU.csdata,"",@progbits
; Kernel info:
; codeLenInByte = 856
; NumSgprs: 18
; NumVgprs: 15
; ScratchSize: 0
; MemoryBound: 0
; FloatMode: 240
; IeeeMode: 1
; LDSByteSize: 0 bytes/workgroup (compile time only)
; SGPRBlocks: 2
; VGPRBlocks: 1
; NumSGPRsForWavesPerEU: 18
; NumVGPRsForWavesPerEU: 15
; Occupancy: 16
; WaveLimiterHint : 0
; COMPUTE_PGM_RSRC2:SCRATCH_EN: 0
; COMPUTE_PGM_RSRC2:USER_SGPR: 15
; COMPUTE_PGM_RSRC2:TRAP_HANDLER: 0
; COMPUTE_PGM_RSRC2:TGID_X_EN: 1
; COMPUTE_PGM_RSRC2:TGID_Y_EN: 0
; COMPUTE_PGM_RSRC2:TGID_Z_EN: 0
; COMPUTE_PGM_RSRC2:TIDIG_COMP_CNT: 1
	.section	.text._ZL26rocblas_dot_kernel_inc1by2ILb1ELi1024ELi32ELb1E19rocblas_complex_numIfEPKPKS1_S1_EviT4_llS6_lliPT5_PT3_,"axG",@progbits,_ZL26rocblas_dot_kernel_inc1by2ILb1ELi1024ELi32ELb1E19rocblas_complex_numIfEPKPKS1_S1_EviT4_llS6_lliPT5_PT3_,comdat
	.globl	_ZL26rocblas_dot_kernel_inc1by2ILb1ELi1024ELi32ELb1E19rocblas_complex_numIfEPKPKS1_S1_EviT4_llS6_lliPT5_PT3_ ; -- Begin function _ZL26rocblas_dot_kernel_inc1by2ILb1ELi1024ELi32ELb1E19rocblas_complex_numIfEPKPKS1_S1_EviT4_llS6_lliPT5_PT3_
	.p2align	8
	.type	_ZL26rocblas_dot_kernel_inc1by2ILb1ELi1024ELi32ELb1E19rocblas_complex_numIfEPKPKS1_S1_EviT4_llS6_lliPT5_PT3_,@function
_ZL26rocblas_dot_kernel_inc1by2ILb1ELi1024ELi32ELb1E19rocblas_complex_numIfEPKPKS1_S1_EviT4_llS6_lliPT5_PT3_: ; @_ZL26rocblas_dot_kernel_inc1by2ILb1ELi1024ELi32ELb1E19rocblas_complex_numIfEPKPKS1_S1_EviT4_llS6_lliPT5_PT3_
; %bb.0:
	s_clause 0x1
	s_load_b32 s6, s[0:1], 0x0
	s_load_b64 s[2:3], s[0:1], 0x48
	v_dual_mov_b32 v5, 0 :: v_dual_mov_b32 v6, 0
	s_mov_b32 s4, s15
	s_mov_b32 s5, 0
	s_mov_b32 s7, exec_lo
	s_waitcnt lgkmcnt(0)
	v_cmpx_gt_i32_e64 s6, v0
	s_cbranch_execz .LBB243_4
; %bb.1:
	s_clause 0x1
	s_load_b128 s[8:11], s[0:1], 0x8
	s_load_b128 s[12:15], s[0:1], 0x20
	s_lshl_b64 s[0:1], s[4:5], 3
	v_dual_mov_b32 v6, 0 :: v_dual_lshlrev_b32 v1, 3, v0
	v_or_b32_e32 v7, 0x400, v0
	v_mov_b32_e32 v5, 0
	s_waitcnt lgkmcnt(0)
	s_add_u32 s8, s8, s0
	s_addc_u32 s9, s9, s1
	s_add_u32 s0, s12, s0
	s_addc_u32 s1, s13, s1
	s_lshl_b64 s[12:13], s[14:15], 3
	s_load_b64 s[0:1], s[0:1], 0x0
	s_load_b64 s[8:9], s[8:9], 0x0
	s_waitcnt lgkmcnt(0)
	s_add_u32 s12, s0, s12
	s_addc_u32 s13, s1, s13
	s_lshl_b64 s[0:1], s[10:11], 3
	s_delay_alu instid0(SALU_CYCLE_1) | instskip(SKIP_2) | instid1(VALU_DEP_1)
	s_add_u32 s0, s8, s0
	s_addc_u32 s1, s9, s1
	v_add_co_u32 v3, s0, s0, v1
	v_add_co_ci_u32_e64 v4, null, s1, 0, s0
	v_add_co_u32 v1, s0, s12, v1
	s_delay_alu instid0(VALU_DEP_3) | instskip(SKIP_1) | instid1(VALU_DEP_4)
	v_add_co_u32 v3, vcc_lo, v3, 4
	v_add_co_ci_u32_e64 v2, null, s13, 0, s0
	v_add_co_ci_u32_e32 v4, vcc_lo, 0, v4, vcc_lo
	s_mov_b32 s1, s5
	s_mov_b32 s8, s5
	s_set_inst_prefetch_distance 0x1
	.p2align	6
.LBB243_2:                              ; =>This Inner Loop Header: Depth=1
	global_load_b64 v[8:9], v[1:2], off
	global_load_b64 v[10:11], v[3:4], off offset:-4
	v_cmp_le_i32_e32 vcc_lo, s6, v7
	v_add_nc_u32_e32 v7, 0x400, v7
	v_add_co_u32 v1, s0, 0x2000, v1
	s_delay_alu instid0(VALU_DEP_1)
	v_add_co_ci_u32_e64 v2, s0, 0, v2, s0
	s_add_i32 s9, s8, 1
	v_add_co_u32 v3, s0, 0x2000, v3
	s_cmp_gt_u32 s8, 30
	v_add_co_ci_u32_e64 v4, s0, 0, v4, s0
	s_cselect_b32 s0, -1, 0
	s_mov_b32 s8, s9
	s_or_b32 s0, s0, vcc_lo
	s_delay_alu instid0(SALU_CYCLE_1) | instskip(NEXT) | instid1(SALU_CYCLE_1)
	s_and_b32 s0, exec_lo, s0
	s_or_b32 s1, s0, s1
	s_waitcnt vmcnt(0)
	v_mul_f32_e32 v12, v11, v9
	v_mul_f32_e32 v11, v11, v8
	s_delay_alu instid0(VALU_DEP_2) | instskip(NEXT) | instid1(VALU_DEP_2)
	v_fmac_f32_e32 v12, v10, v8
	v_fma_f32 v8, v10, v9, -v11
	s_delay_alu instid0(VALU_DEP_2) | instskip(NEXT) | instid1(VALU_DEP_2)
	v_add_f32_e32 v6, v6, v12
	v_add_f32_e32 v5, v5, v8
	s_and_not1_b32 exec_lo, exec_lo, s1
	s_cbranch_execnz .LBB243_2
; %bb.3:
	s_set_inst_prefetch_distance 0x2
	s_or_b32 exec_lo, exec_lo, s1
.LBB243_4:
	s_delay_alu instid0(SALU_CYCLE_1) | instskip(SKIP_2) | instid1(VALU_DEP_2)
	s_or_b32 exec_lo, exec_lo, s7
	v_and_b32_e32 v1, 31, v0
	v_cmp_gt_u32_e32 vcc_lo, 32, v0
	v_lshlrev_b32_e32 v3, 3, v1
	s_and_saveexec_b32 s0, vcc_lo
	s_cbranch_execz .LBB243_6
; %bb.5:
	v_mov_b32_e32 v7, 0
	s_delay_alu instid0(VALU_DEP_1)
	v_mov_b32_e32 v8, v7
	ds_store_b64 v3, v[7:8]
.LBB243_6:
	s_or_b32 exec_lo, exec_lo, s0
	v_mbcnt_lo_u32_b32 v2, -1, 0
	s_mov_b32 s1, exec_lo
	s_waitcnt lgkmcnt(0)
	s_barrier
	buffer_gl0_inv
	v_cmp_gt_u32_e64 s0, 16, v2
	s_delay_alu instid0(VALU_DEP_1) | instskip(SKIP_1) | instid1(VALU_DEP_2)
	v_cndmask_b32_e64 v4, 0, 1, s0
	v_cmp_gt_u32_e64 s0, 24, v2
	v_lshlrev_b32_e32 v4, 4, v4
	s_delay_alu instid0(VALU_DEP_2) | instskip(SKIP_1) | instid1(VALU_DEP_3)
	v_cndmask_b32_e64 v7, 0, 1, s0
	v_cmp_gt_u32_e64 s0, 28, v2
	v_add_lshl_u32 v4, v4, v2, 2
	ds_bpermute_b32 v8, v4, v6
	ds_bpermute_b32 v9, v4, v5
	s_waitcnt lgkmcnt(1)
	v_dual_add_f32 v6, v6, v8 :: v_dual_lshlrev_b32 v7, 3, v7
	s_delay_alu instid0(VALU_DEP_1)
	v_add_lshl_u32 v7, v7, v2, 2
	s_waitcnt lgkmcnt(0)
	v_add_f32_e32 v8, v5, v9
	v_cndmask_b32_e64 v5, 0, 1, s0
	v_cmp_gt_u32_e64 s0, 30, v2
	ds_bpermute_b32 v9, v7, v6
	ds_bpermute_b32 v10, v7, v8
	v_lshlrev_b32_e32 v5, 2, v5
	s_waitcnt lgkmcnt(0)
	v_dual_add_f32 v9, v6, v9 :: v_dual_add_f32 v8, v8, v10
	s_delay_alu instid0(VALU_DEP_2)
	v_add_lshl_u32 v5, v5, v2, 2
	v_cndmask_b32_e64 v6, 0, 1, s0
	v_cmp_ne_u32_e64 s0, 31, v2
	ds_bpermute_b32 v10, v5, v9
	ds_bpermute_b32 v11, v5, v8
	v_lshlrev_b32_e32 v6, 1, v6
	s_delay_alu instid0(VALU_DEP_1) | instskip(SKIP_3) | instid1(VALU_DEP_2)
	v_add_lshl_u32 v6, v6, v2, 2
	v_add_co_ci_u32_e64 v2, s0, 0, v2, s0
	s_waitcnt lgkmcnt(0)
	v_dual_add_f32 v9, v9, v10 :: v_dual_add_f32 v10, v8, v11
	v_lshlrev_b32_e32 v8, 2, v2
	ds_bpermute_b32 v11, v6, v9
	ds_bpermute_b32 v12, v6, v10
	s_waitcnt lgkmcnt(0)
	v_dual_add_f32 v2, v9, v11 :: v_dual_add_f32 v9, v10, v12
	ds_bpermute_b32 v10, v8, v2
	ds_bpermute_b32 v11, v8, v9
	v_cmpx_eq_u32_e32 0, v1
	s_cbranch_execz .LBB243_8
; %bb.7:
	v_lshrrev_b32_e32 v12, 2, v0
	s_waitcnt lgkmcnt(0)
	v_dual_add_f32 v1, v2, v10 :: v_dual_add_f32 v2, v9, v11
	s_delay_alu instid0(VALU_DEP_2)
	v_and_b32_e32 v9, 0xf8, v12
	ds_store_b64 v9, v[1:2]
.LBB243_8:
	s_or_b32 exec_lo, exec_lo, s1
	v_dual_mov_b32 v2, 0 :: v_dual_mov_b32 v1, 0
	s_waitcnt lgkmcnt(0)
	s_barrier
	buffer_gl0_inv
	s_and_saveexec_b32 s0, vcc_lo
	s_cbranch_execz .LBB243_10
; %bb.9:
	ds_load_b64 v[1:2], v3
.LBB243_10:
	s_or_b32 exec_lo, exec_lo, s0
	s_and_saveexec_b32 s0, vcc_lo
	s_cbranch_execz .LBB243_12
; %bb.11:
	s_waitcnt lgkmcnt(0)
	ds_bpermute_b32 v3, v4, v1
	ds_bpermute_b32 v4, v4, v2
	s_waitcnt lgkmcnt(0)
	v_dual_add_f32 v1, v1, v3 :: v_dual_add_f32 v2, v2, v4
	ds_bpermute_b32 v3, v7, v1
	ds_bpermute_b32 v4, v7, v2
	s_waitcnt lgkmcnt(0)
	v_dual_add_f32 v1, v1, v3 :: v_dual_add_f32 v2, v2, v4
	;; [unrolled: 4-line block ×5, first 2 shown]
.LBB243_12:
	s_or_b32 exec_lo, exec_lo, s0
	s_delay_alu instid0(SALU_CYCLE_1)
	s_mov_b32 s0, exec_lo
	v_cmpx_eq_u32_e32 0, v0
	s_cbranch_execz .LBB243_14
; %bb.13:
	s_lshl_b64 s[0:1], s[4:5], 3
	v_mov_b32_e32 v0, 0
	s_add_u32 s0, s2, s0
	s_addc_u32 s1, s3, s1
	s_waitcnt lgkmcnt(0)
	global_store_b64 v0, v[1:2], s[0:1]
.LBB243_14:
	s_nop 0
	s_sendmsg sendmsg(MSG_DEALLOC_VGPRS)
	s_endpgm
	.section	.rodata,"a",@progbits
	.p2align	6, 0x0
	.amdhsa_kernel _ZL26rocblas_dot_kernel_inc1by2ILb1ELi1024ELi32ELb1E19rocblas_complex_numIfEPKPKS1_S1_EviT4_llS6_lliPT5_PT3_
		.amdhsa_group_segment_fixed_size 256
		.amdhsa_private_segment_fixed_size 0
		.amdhsa_kernarg_size 80
		.amdhsa_user_sgpr_count 14
		.amdhsa_user_sgpr_dispatch_ptr 0
		.amdhsa_user_sgpr_queue_ptr 0
		.amdhsa_user_sgpr_kernarg_segment_ptr 1
		.amdhsa_user_sgpr_dispatch_id 0
		.amdhsa_user_sgpr_private_segment_size 0
		.amdhsa_wavefront_size32 1
		.amdhsa_uses_dynamic_stack 0
		.amdhsa_enable_private_segment 0
		.amdhsa_system_sgpr_workgroup_id_x 1
		.amdhsa_system_sgpr_workgroup_id_y 0
		.amdhsa_system_sgpr_workgroup_id_z 1
		.amdhsa_system_sgpr_workgroup_info 0
		.amdhsa_system_vgpr_workitem_id 0
		.amdhsa_next_free_vgpr 13
		.amdhsa_next_free_sgpr 16
		.amdhsa_reserve_vcc 1
		.amdhsa_float_round_mode_32 0
		.amdhsa_float_round_mode_16_64 0
		.amdhsa_float_denorm_mode_32 3
		.amdhsa_float_denorm_mode_16_64 3
		.amdhsa_dx10_clamp 1
		.amdhsa_ieee_mode 1
		.amdhsa_fp16_overflow 0
		.amdhsa_workgroup_processor_mode 1
		.amdhsa_memory_ordered 1
		.amdhsa_forward_progress 0
		.amdhsa_shared_vgpr_count 0
		.amdhsa_exception_fp_ieee_invalid_op 0
		.amdhsa_exception_fp_denorm_src 0
		.amdhsa_exception_fp_ieee_div_zero 0
		.amdhsa_exception_fp_ieee_overflow 0
		.amdhsa_exception_fp_ieee_underflow 0
		.amdhsa_exception_fp_ieee_inexact 0
		.amdhsa_exception_int_div_zero 0
	.end_amdhsa_kernel
	.section	.text._ZL26rocblas_dot_kernel_inc1by2ILb1ELi1024ELi32ELb1E19rocblas_complex_numIfEPKPKS1_S1_EviT4_llS6_lliPT5_PT3_,"axG",@progbits,_ZL26rocblas_dot_kernel_inc1by2ILb1ELi1024ELi32ELb1E19rocblas_complex_numIfEPKPKS1_S1_EviT4_llS6_lliPT5_PT3_,comdat
.Lfunc_end243:
	.size	_ZL26rocblas_dot_kernel_inc1by2ILb1ELi1024ELi32ELb1E19rocblas_complex_numIfEPKPKS1_S1_EviT4_llS6_lliPT5_PT3_, .Lfunc_end243-_ZL26rocblas_dot_kernel_inc1by2ILb1ELi1024ELi32ELb1E19rocblas_complex_numIfEPKPKS1_S1_EviT4_llS6_lliPT5_PT3_
                                        ; -- End function
	.section	.AMDGPU.csdata,"",@progbits
; Kernel info:
; codeLenInByte = 1056
; NumSgprs: 18
; NumVgprs: 13
; ScratchSize: 0
; MemoryBound: 0
; FloatMode: 240
; IeeeMode: 1
; LDSByteSize: 256 bytes/workgroup (compile time only)
; SGPRBlocks: 2
; VGPRBlocks: 1
; NumSGPRsForWavesPerEU: 18
; NumVGPRsForWavesPerEU: 13
; Occupancy: 16
; WaveLimiterHint : 0
; COMPUTE_PGM_RSRC2:SCRATCH_EN: 0
; COMPUTE_PGM_RSRC2:USER_SGPR: 14
; COMPUTE_PGM_RSRC2:TRAP_HANDLER: 0
; COMPUTE_PGM_RSRC2:TGID_X_EN: 1
; COMPUTE_PGM_RSRC2:TGID_Y_EN: 0
; COMPUTE_PGM_RSRC2:TGID_Z_EN: 1
; COMPUTE_PGM_RSRC2:TIDIG_COMP_CNT: 0
	.section	.text._ZL18rocblas_dot_kernelIiLb1ELi1024ELi32ELb1E19rocblas_complex_numIfEPKPKS1_S1_EviT5_lT_lS6_lS7_liPT6_PT4_,"axG",@progbits,_ZL18rocblas_dot_kernelIiLb1ELi1024ELi32ELb1E19rocblas_complex_numIfEPKPKS1_S1_EviT5_lT_lS6_lS7_liPT6_PT4_,comdat
	.globl	_ZL18rocblas_dot_kernelIiLb1ELi1024ELi32ELb1E19rocblas_complex_numIfEPKPKS1_S1_EviT5_lT_lS6_lS7_liPT6_PT4_ ; -- Begin function _ZL18rocblas_dot_kernelIiLb1ELi1024ELi32ELb1E19rocblas_complex_numIfEPKPKS1_S1_EviT5_lT_lS6_lS7_liPT6_PT4_
	.p2align	8
	.type	_ZL18rocblas_dot_kernelIiLb1ELi1024ELi32ELb1E19rocblas_complex_numIfEPKPKS1_S1_EviT5_lT_lS6_lS7_liPT6_PT4_,@function
_ZL18rocblas_dot_kernelIiLb1ELi1024ELi32ELb1E19rocblas_complex_numIfEPKPKS1_S1_EviT5_lT_lS6_lS7_liPT6_PT4_: ; @_ZL18rocblas_dot_kernelIiLb1ELi1024ELi32ELb1E19rocblas_complex_numIfEPKPKS1_S1_EviT5_lT_lS6_lS7_liPT6_PT4_
; %bb.0:
	s_clause 0x1
	s_load_b32 s14, s[0:1], 0x0
	s_load_b64 s[2:3], s[0:1], 0x58
	v_dual_mov_b32 v5, 0 :: v_dual_mov_b32 v6, 0
	s_mov_b32 s12, s15
	s_mov_b32 s13, 0
	s_mov_b32 s15, exec_lo
	s_waitcnt lgkmcnt(0)
	v_cmpx_gt_i32_e64 s14, v0
	s_cbranch_execz .LBB244_4
; %bb.1:
	s_clause 0x4
	s_load_b128 s[8:11], s[0:1], 0x8
	s_load_b128 s[4:7], s[0:1], 0x28
	s_load_b32 s18, s[0:1], 0x18
	s_load_b32 s20, s[0:1], 0x38
	;; [unrolled: 1-line block ×3, first 2 shown]
	s_lshl_b64 s[0:1], s[12:13], 3
	v_mov_b32_e32 v5, 0
	s_waitcnt lgkmcnt(0)
	s_add_u32 s8, s8, s0
	s_addc_u32 s9, s9, s1
	s_add_u32 s0, s4, s0
	s_load_b64 s[8:9], s[8:9], 0x0
	s_addc_u32 s1, s5, s1
	v_mad_i64_i32 v[1:2], null, s18, v0, 0
	s_load_b64 s[16:17], s[0:1], 0x0
	v_mad_i64_i32 v[3:4], null, s20, v0, 0
	s_lshl_b32 s1, s19, 10
	s_lshl_b64 s[4:5], s[10:11], 3
	s_mul_hi_i32 s11, s18, s1
	s_delay_alu instid0(VALU_DEP_2) | instskip(SKIP_2) | instid1(VALU_DEP_3)
	v_lshlrev_b64 v[1:2], 3, v[1:2]
	s_mul_i32 s10, s18, s1
	v_or_b32_e32 v7, s1, v0
	v_lshlrev_b64 v[3:4], 3, v[3:4]
	s_mul_hi_i32 s19, s20, s1
	s_mul_i32 s18, s20, s1
	s_waitcnt lgkmcnt(0)
	s_add_u32 s0, s8, s4
	s_addc_u32 s8, s9, s5
	s_lshl_b64 s[6:7], s[6:7], 3
	s_lshl_b64 s[4:5], s[10:11], 3
	v_add_co_u32 v6, vcc_lo, s0, v1
	s_add_u32 s0, s16, s6
	v_add_co_ci_u32_e32 v8, vcc_lo, s8, v2, vcc_lo
	s_addc_u32 s6, s17, s7
	v_add_co_u32 v1, vcc_lo, s0, v3
	v_add_co_ci_u32_e32 v2, vcc_lo, s6, v4, vcc_lo
	v_add_co_u32 v3, vcc_lo, v6, 4
	v_mov_b32_e32 v6, 0
	v_add_co_ci_u32_e32 v4, vcc_lo, 0, v8, vcc_lo
	s_lshl_b64 s[6:7], s[18:19], 3
	s_mov_b32 s8, s13
	s_mov_b32 s9, s13
	.p2align	6
.LBB244_2:                              ; =>This Inner Loop Header: Depth=1
	global_load_b64 v[8:9], v[1:2], off
	global_load_b64 v[10:11], v[3:4], off offset:-4
	v_cmp_le_i32_e32 vcc_lo, s14, v7
	v_add_nc_u32_e32 v7, s1, v7
	v_add_co_u32 v3, s0, v3, s4
	s_delay_alu instid0(VALU_DEP_1)
	v_add_co_ci_u32_e64 v4, s0, s5, v4, s0
	s_add_i32 s10, s9, 1
	v_add_co_u32 v1, s0, v1, s6
	s_cmp_gt_u32 s9, 30
	v_add_co_ci_u32_e64 v2, s0, s7, v2, s0
	s_cselect_b32 s0, -1, 0
	s_mov_b32 s9, s10
	s_or_b32 s0, s0, vcc_lo
	s_delay_alu instid0(SALU_CYCLE_1) | instskip(NEXT) | instid1(SALU_CYCLE_1)
	s_and_b32 s0, exec_lo, s0
	s_or_b32 s8, s0, s8
	s_waitcnt vmcnt(0)
	v_mul_f32_e32 v12, v11, v9
	v_mul_f32_e32 v11, v11, v8
	s_delay_alu instid0(VALU_DEP_2) | instskip(NEXT) | instid1(VALU_DEP_2)
	v_fmac_f32_e32 v12, v10, v8
	v_fma_f32 v8, v10, v9, -v11
	s_delay_alu instid0(VALU_DEP_2) | instskip(NEXT) | instid1(VALU_DEP_2)
	v_add_f32_e32 v6, v6, v12
	v_add_f32_e32 v5, v5, v8
	s_and_not1_b32 exec_lo, exec_lo, s8
	s_cbranch_execnz .LBB244_2
; %bb.3:
	s_or_b32 exec_lo, exec_lo, s8
.LBB244_4:
	s_delay_alu instid0(SALU_CYCLE_1) | instskip(SKIP_2) | instid1(VALU_DEP_2)
	s_or_b32 exec_lo, exec_lo, s15
	v_and_b32_e32 v1, 31, v0
	v_cmp_gt_u32_e32 vcc_lo, 32, v0
	v_lshlrev_b32_e32 v3, 3, v1
	s_and_saveexec_b32 s0, vcc_lo
	s_cbranch_execz .LBB244_6
; %bb.5:
	v_mov_b32_e32 v7, 0
	s_delay_alu instid0(VALU_DEP_1)
	v_mov_b32_e32 v8, v7
	ds_store_b64 v3, v[7:8]
.LBB244_6:
	s_or_b32 exec_lo, exec_lo, s0
	v_mbcnt_lo_u32_b32 v2, -1, 0
	s_mov_b32 s1, exec_lo
	s_waitcnt lgkmcnt(0)
	s_barrier
	buffer_gl0_inv
	v_cmp_gt_u32_e64 s0, 16, v2
	s_delay_alu instid0(VALU_DEP_1) | instskip(SKIP_1) | instid1(VALU_DEP_2)
	v_cndmask_b32_e64 v4, 0, 1, s0
	v_cmp_gt_u32_e64 s0, 24, v2
	v_lshlrev_b32_e32 v4, 4, v4
	s_delay_alu instid0(VALU_DEP_2) | instskip(SKIP_1) | instid1(VALU_DEP_3)
	v_cndmask_b32_e64 v7, 0, 1, s0
	v_cmp_gt_u32_e64 s0, 28, v2
	v_add_lshl_u32 v4, v4, v2, 2
	ds_bpermute_b32 v8, v4, v6
	ds_bpermute_b32 v9, v4, v5
	s_waitcnt lgkmcnt(1)
	v_dual_add_f32 v6, v6, v8 :: v_dual_lshlrev_b32 v7, 3, v7
	s_delay_alu instid0(VALU_DEP_1)
	v_add_lshl_u32 v7, v7, v2, 2
	s_waitcnt lgkmcnt(0)
	v_add_f32_e32 v8, v5, v9
	v_cndmask_b32_e64 v5, 0, 1, s0
	v_cmp_gt_u32_e64 s0, 30, v2
	ds_bpermute_b32 v9, v7, v6
	ds_bpermute_b32 v10, v7, v8
	v_lshlrev_b32_e32 v5, 2, v5
	s_waitcnt lgkmcnt(0)
	v_dual_add_f32 v9, v6, v9 :: v_dual_add_f32 v8, v8, v10
	s_delay_alu instid0(VALU_DEP_2)
	v_add_lshl_u32 v5, v5, v2, 2
	v_cndmask_b32_e64 v6, 0, 1, s0
	v_cmp_ne_u32_e64 s0, 31, v2
	ds_bpermute_b32 v10, v5, v9
	ds_bpermute_b32 v11, v5, v8
	v_lshlrev_b32_e32 v6, 1, v6
	s_delay_alu instid0(VALU_DEP_1) | instskip(SKIP_3) | instid1(VALU_DEP_2)
	v_add_lshl_u32 v6, v6, v2, 2
	v_add_co_ci_u32_e64 v2, s0, 0, v2, s0
	s_waitcnt lgkmcnt(0)
	v_dual_add_f32 v9, v9, v10 :: v_dual_add_f32 v10, v8, v11
	v_lshlrev_b32_e32 v8, 2, v2
	ds_bpermute_b32 v11, v6, v9
	ds_bpermute_b32 v12, v6, v10
	s_waitcnt lgkmcnt(0)
	v_dual_add_f32 v2, v9, v11 :: v_dual_add_f32 v9, v10, v12
	ds_bpermute_b32 v10, v8, v2
	ds_bpermute_b32 v11, v8, v9
	v_cmpx_eq_u32_e32 0, v1
	s_cbranch_execz .LBB244_8
; %bb.7:
	v_lshrrev_b32_e32 v12, 2, v0
	s_waitcnt lgkmcnt(0)
	v_dual_add_f32 v1, v2, v10 :: v_dual_add_f32 v2, v9, v11
	s_delay_alu instid0(VALU_DEP_2)
	v_and_b32_e32 v9, 0xf8, v12
	ds_store_b64 v9, v[1:2]
.LBB244_8:
	s_or_b32 exec_lo, exec_lo, s1
	v_dual_mov_b32 v2, 0 :: v_dual_mov_b32 v1, 0
	s_waitcnt lgkmcnt(0)
	s_barrier
	buffer_gl0_inv
	s_and_saveexec_b32 s0, vcc_lo
	s_cbranch_execz .LBB244_10
; %bb.9:
	ds_load_b64 v[1:2], v3
.LBB244_10:
	s_or_b32 exec_lo, exec_lo, s0
	s_and_saveexec_b32 s0, vcc_lo
	s_cbranch_execz .LBB244_12
; %bb.11:
	s_waitcnt lgkmcnt(0)
	ds_bpermute_b32 v3, v4, v1
	ds_bpermute_b32 v4, v4, v2
	s_waitcnt lgkmcnt(0)
	v_dual_add_f32 v1, v1, v3 :: v_dual_add_f32 v2, v2, v4
	ds_bpermute_b32 v3, v7, v1
	ds_bpermute_b32 v4, v7, v2
	s_waitcnt lgkmcnt(0)
	v_dual_add_f32 v1, v1, v3 :: v_dual_add_f32 v2, v2, v4
	;; [unrolled: 4-line block ×5, first 2 shown]
.LBB244_12:
	s_or_b32 exec_lo, exec_lo, s0
	s_delay_alu instid0(SALU_CYCLE_1)
	s_mov_b32 s0, exec_lo
	v_cmpx_eq_u32_e32 0, v0
	s_cbranch_execz .LBB244_14
; %bb.13:
	s_lshl_b64 s[0:1], s[12:13], 3
	v_mov_b32_e32 v0, 0
	s_add_u32 s0, s2, s0
	s_addc_u32 s1, s3, s1
	s_waitcnt lgkmcnt(0)
	global_store_b64 v0, v[1:2], s[0:1]
.LBB244_14:
	s_nop 0
	s_sendmsg sendmsg(MSG_DEALLOC_VGPRS)
	s_endpgm
	.section	.rodata,"a",@progbits
	.p2align	6, 0x0
	.amdhsa_kernel _ZL18rocblas_dot_kernelIiLb1ELi1024ELi32ELb1E19rocblas_complex_numIfEPKPKS1_S1_EviT5_lT_lS6_lS7_liPT6_PT4_
		.amdhsa_group_segment_fixed_size 256
		.amdhsa_private_segment_fixed_size 0
		.amdhsa_kernarg_size 352
		.amdhsa_user_sgpr_count 14
		.amdhsa_user_sgpr_dispatch_ptr 0
		.amdhsa_user_sgpr_queue_ptr 0
		.amdhsa_user_sgpr_kernarg_segment_ptr 1
		.amdhsa_user_sgpr_dispatch_id 0
		.amdhsa_user_sgpr_private_segment_size 0
		.amdhsa_wavefront_size32 1
		.amdhsa_uses_dynamic_stack 0
		.amdhsa_enable_private_segment 0
		.amdhsa_system_sgpr_workgroup_id_x 1
		.amdhsa_system_sgpr_workgroup_id_y 0
		.amdhsa_system_sgpr_workgroup_id_z 1
		.amdhsa_system_sgpr_workgroup_info 0
		.amdhsa_system_vgpr_workitem_id 0
		.amdhsa_next_free_vgpr 13
		.amdhsa_next_free_sgpr 21
		.amdhsa_reserve_vcc 1
		.amdhsa_float_round_mode_32 0
		.amdhsa_float_round_mode_16_64 0
		.amdhsa_float_denorm_mode_32 3
		.amdhsa_float_denorm_mode_16_64 3
		.amdhsa_dx10_clamp 1
		.amdhsa_ieee_mode 1
		.amdhsa_fp16_overflow 0
		.amdhsa_workgroup_processor_mode 1
		.amdhsa_memory_ordered 1
		.amdhsa_forward_progress 0
		.amdhsa_shared_vgpr_count 0
		.amdhsa_exception_fp_ieee_invalid_op 0
		.amdhsa_exception_fp_denorm_src 0
		.amdhsa_exception_fp_ieee_div_zero 0
		.amdhsa_exception_fp_ieee_overflow 0
		.amdhsa_exception_fp_ieee_underflow 0
		.amdhsa_exception_fp_ieee_inexact 0
		.amdhsa_exception_int_div_zero 0
	.end_amdhsa_kernel
	.section	.text._ZL18rocblas_dot_kernelIiLb1ELi1024ELi32ELb1E19rocblas_complex_numIfEPKPKS1_S1_EviT5_lT_lS6_lS7_liPT6_PT4_,"axG",@progbits,_ZL18rocblas_dot_kernelIiLb1ELi1024ELi32ELb1E19rocblas_complex_numIfEPKPKS1_S1_EviT5_lT_lS6_lS7_liPT6_PT4_,comdat
.Lfunc_end244:
	.size	_ZL18rocblas_dot_kernelIiLb1ELi1024ELi32ELb1E19rocblas_complex_numIfEPKPKS1_S1_EviT5_lT_lS6_lS7_liPT6_PT4_, .Lfunc_end244-_ZL18rocblas_dot_kernelIiLb1ELi1024ELi32ELb1E19rocblas_complex_numIfEPKPKS1_S1_EviT5_lT_lS6_lS7_liPT6_PT4_
                                        ; -- End function
	.section	.AMDGPU.csdata,"",@progbits
; Kernel info:
; codeLenInByte = 1100
; NumSgprs: 23
; NumVgprs: 13
; ScratchSize: 0
; MemoryBound: 0
; FloatMode: 240
; IeeeMode: 1
; LDSByteSize: 256 bytes/workgroup (compile time only)
; SGPRBlocks: 2
; VGPRBlocks: 1
; NumSGPRsForWavesPerEU: 23
; NumVGPRsForWavesPerEU: 13
; Occupancy: 16
; WaveLimiterHint : 0
; COMPUTE_PGM_RSRC2:SCRATCH_EN: 0
; COMPUTE_PGM_RSRC2:USER_SGPR: 14
; COMPUTE_PGM_RSRC2:TRAP_HANDLER: 0
; COMPUTE_PGM_RSRC2:TGID_X_EN: 1
; COMPUTE_PGM_RSRC2:TGID_Y_EN: 0
; COMPUTE_PGM_RSRC2:TGID_Z_EN: 1
; COMPUTE_PGM_RSRC2:TIDIG_COMP_CNT: 0
	.section	.text._ZL24rocblas_dot_kernel_magsqIiLb1ELi1024ELi32ELb1E19rocblas_complex_numIfEPKPKS1_S1_EviT5_lT_liPT6_PT4_,"axG",@progbits,_ZL24rocblas_dot_kernel_magsqIiLb1ELi1024ELi32ELb1E19rocblas_complex_numIfEPKPKS1_S1_EviT5_lT_liPT6_PT4_,comdat
	.globl	_ZL24rocblas_dot_kernel_magsqIiLb1ELi1024ELi32ELb1E19rocblas_complex_numIfEPKPKS1_S1_EviT5_lT_liPT6_PT4_ ; -- Begin function _ZL24rocblas_dot_kernel_magsqIiLb1ELi1024ELi32ELb1E19rocblas_complex_numIfEPKPKS1_S1_EviT5_lT_liPT6_PT4_
	.p2align	8
	.type	_ZL24rocblas_dot_kernel_magsqIiLb1ELi1024ELi32ELb1E19rocblas_complex_numIfEPKPKS1_S1_EviT5_lT_liPT6_PT4_,@function
_ZL24rocblas_dot_kernel_magsqIiLb1ELi1024ELi32ELb1E19rocblas_complex_numIfEPKPKS1_S1_EviT5_lT_liPT6_PT4_: ; @_ZL24rocblas_dot_kernel_magsqIiLb1ELi1024ELi32ELb1E19rocblas_complex_numIfEPKPKS1_S1_EviT5_lT_liPT6_PT4_
; %bb.0:
	s_clause 0x1
	s_load_b32 s8, s[0:1], 0x0
	s_load_b64 s[2:3], s[0:1], 0x38
	v_dual_mov_b32 v3, 0 :: v_dual_mov_b32 v4, 0
	s_mov_b32 s4, s15
	s_mov_b32 s5, 0
	s_mov_b32 s9, exec_lo
	s_waitcnt lgkmcnt(0)
	v_cmpx_gt_i32_e64 s8, v0
	s_cbranch_execz .LBB245_4
; %bb.1:
	s_clause 0x2
	s_load_b128 s[12:15], s[0:1], 0x8
	s_load_b32 s16, s[0:1], 0x18
	s_load_b32 s10, s[0:1], 0x40
	s_lshl_b64 s[0:1], s[4:5], 3
	v_dual_mov_b32 v3, 0 :: v_dual_mov_b32 v4, 0
	s_waitcnt lgkmcnt(0)
	s_add_u32 s0, s12, s0
	s_addc_u32 s1, s13, s1
	v_mad_i64_i32 v[1:2], null, s16, v0, 0
	s_load_b64 s[6:7], s[0:1], 0x0
	s_lshl_b32 s1, s10, 10
	s_lshl_b64 s[10:11], s[14:15], 3
	v_or_b32_e32 v5, s1, v0
	s_mul_hi_i32 s13, s16, s1
	s_mul_i32 s12, s16, s1
	s_delay_alu instid0(VALU_DEP_2) | instskip(SKIP_3) | instid1(VALU_DEP_1)
	v_lshlrev_b64 v[1:2], 3, v[1:2]
	s_waitcnt lgkmcnt(0)
	s_add_u32 s0, s6, s10
	s_addc_u32 s6, s7, s11
	v_add_co_u32 v1, vcc_lo, s0, v1
	s_delay_alu instid0(VALU_DEP_2)
	v_add_co_ci_u32_e32 v2, vcc_lo, s6, v2, vcc_lo
	s_lshl_b64 s[6:7], s[12:13], 3
	s_mov_b32 s10, s5
	s_mov_b32 s11, s5
	.p2align	6
.LBB245_2:                              ; =>This Inner Loop Header: Depth=1
	global_load_b64 v[6:7], v[1:2], off
	v_cmp_le_i32_e32 vcc_lo, s8, v5
	v_add_nc_u32_e32 v5, s1, v5
	s_add_i32 s12, s11, 1
	v_add_co_u32 v1, s0, v1, s6
	s_cmp_gt_u32 s11, 30
	v_add_co_ci_u32_e64 v2, s0, s7, v2, s0
	s_cselect_b32 s0, -1, 0
	s_mov_b32 s11, s12
	s_or_b32 s0, s0, vcc_lo
	s_delay_alu instid0(SALU_CYCLE_1) | instskip(NEXT) | instid1(SALU_CYCLE_1)
	s_and_b32 s0, exec_lo, s0
	s_or_b32 s10, s0, s10
	s_waitcnt vmcnt(0)
	v_mul_f32_e32 v8, v7, v7
	s_delay_alu instid0(VALU_DEP_1) | instskip(NEXT) | instid1(VALU_DEP_1)
	v_fmac_f32_e32 v8, v6, v6
	v_dual_mul_f32 v9, v6, v7 :: v_dual_add_f32 v4, v4, v8
	s_delay_alu instid0(VALU_DEP_1) | instskip(NEXT) | instid1(VALU_DEP_1)
	v_fma_f32 v6, v6, v7, -v9
	v_add_f32_e32 v3, v3, v6
	s_and_not1_b32 exec_lo, exec_lo, s10
	s_cbranch_execnz .LBB245_2
; %bb.3:
	s_or_b32 exec_lo, exec_lo, s10
.LBB245_4:
	s_delay_alu instid0(SALU_CYCLE_1) | instskip(SKIP_2) | instid1(VALU_DEP_2)
	s_or_b32 exec_lo, exec_lo, s9
	v_and_b32_e32 v1, 31, v0
	v_cmp_gt_u32_e32 vcc_lo, 32, v0
	v_lshlrev_b32_e32 v5, 3, v1
	s_and_saveexec_b32 s0, vcc_lo
	s_cbranch_execz .LBB245_6
; %bb.5:
	v_mov_b32_e32 v6, 0
	s_delay_alu instid0(VALU_DEP_1)
	v_mov_b32_e32 v7, v6
	ds_store_b64 v5, v[6:7]
.LBB245_6:
	s_or_b32 exec_lo, exec_lo, s0
	v_mbcnt_lo_u32_b32 v2, -1, 0
	s_mov_b32 s1, exec_lo
	s_waitcnt lgkmcnt(0)
	s_barrier
	buffer_gl0_inv
	v_cmp_gt_u32_e64 s0, 16, v2
	s_delay_alu instid0(VALU_DEP_1) | instskip(SKIP_1) | instid1(VALU_DEP_2)
	v_cndmask_b32_e64 v6, 0, 1, s0
	v_cmp_gt_u32_e64 s0, 24, v2
	v_lshlrev_b32_e32 v6, 4, v6
	s_delay_alu instid0(VALU_DEP_2) | instskip(SKIP_1) | instid1(VALU_DEP_3)
	v_cndmask_b32_e64 v7, 0, 1, s0
	v_cmp_gt_u32_e64 s0, 28, v2
	v_add_lshl_u32 v6, v6, v2, 2
	ds_bpermute_b32 v8, v6, v4
	ds_bpermute_b32 v9, v6, v3
	s_waitcnt lgkmcnt(1)
	v_dual_add_f32 v4, v4, v8 :: v_dual_lshlrev_b32 v7, 3, v7
	s_delay_alu instid0(VALU_DEP_1)
	v_add_lshl_u32 v7, v7, v2, 2
	s_waitcnt lgkmcnt(0)
	v_add_f32_e32 v8, v3, v9
	v_cndmask_b32_e64 v3, 0, 1, s0
	v_cmp_gt_u32_e64 s0, 30, v2
	ds_bpermute_b32 v9, v7, v4
	v_lshlrev_b32_e32 v3, 2, v3
	ds_bpermute_b32 v10, v7, v8
	v_add_lshl_u32 v3, v3, v2, 2
	s_waitcnt lgkmcnt(1)
	v_add_f32_e32 v9, v4, v9
	v_cndmask_b32_e64 v4, 0, 1, s0
	v_cmp_ne_u32_e64 s0, 31, v2
	s_waitcnt lgkmcnt(0)
	v_add_f32_e32 v8, v8, v10
	ds_bpermute_b32 v10, v3, v9
	v_lshlrev_b32_e32 v4, 1, v4
	ds_bpermute_b32 v11, v3, v8
	s_waitcnt lgkmcnt(1)
	v_add_f32_e32 v9, v9, v10
	v_add_lshl_u32 v4, v4, v2, 2
	v_add_co_ci_u32_e64 v2, s0, 0, v2, s0
	s_waitcnt lgkmcnt(0)
	v_add_f32_e32 v10, v8, v11
	ds_bpermute_b32 v11, v4, v9
	v_lshlrev_b32_e32 v8, 2, v2
	ds_bpermute_b32 v12, v4, v10
	s_waitcnt lgkmcnt(0)
	v_dual_add_f32 v2, v9, v11 :: v_dual_add_f32 v9, v10, v12
	ds_bpermute_b32 v10, v8, v2
	ds_bpermute_b32 v11, v8, v9
	v_cmpx_eq_u32_e32 0, v1
	s_cbranch_execz .LBB245_8
; %bb.7:
	v_lshrrev_b32_e32 v12, 2, v0
	s_waitcnt lgkmcnt(0)
	v_dual_add_f32 v1, v2, v10 :: v_dual_add_f32 v2, v9, v11
	s_delay_alu instid0(VALU_DEP_2)
	v_and_b32_e32 v9, 0xf8, v12
	ds_store_b64 v9, v[1:2]
.LBB245_8:
	s_or_b32 exec_lo, exec_lo, s1
	v_dual_mov_b32 v2, 0 :: v_dual_mov_b32 v1, 0
	s_waitcnt lgkmcnt(0)
	s_barrier
	buffer_gl0_inv
	s_and_saveexec_b32 s0, vcc_lo
	s_cbranch_execz .LBB245_10
; %bb.9:
	ds_load_b64 v[1:2], v5
.LBB245_10:
	s_or_b32 exec_lo, exec_lo, s0
	s_and_saveexec_b32 s0, vcc_lo
	s_cbranch_execz .LBB245_12
; %bb.11:
	s_waitcnt lgkmcnt(0)
	ds_bpermute_b32 v5, v6, v1
	ds_bpermute_b32 v6, v6, v2
	s_waitcnt lgkmcnt(0)
	v_dual_add_f32 v1, v1, v5 :: v_dual_add_f32 v2, v2, v6
	ds_bpermute_b32 v5, v7, v1
	ds_bpermute_b32 v6, v7, v2
	s_waitcnt lgkmcnt(0)
	v_dual_add_f32 v1, v1, v5 :: v_dual_add_f32 v2, v2, v6
	;; [unrolled: 4-line block ×5, first 2 shown]
.LBB245_12:
	s_or_b32 exec_lo, exec_lo, s0
	s_delay_alu instid0(SALU_CYCLE_1)
	s_mov_b32 s0, exec_lo
	v_cmpx_eq_u32_e32 0, v0
	s_cbranch_execz .LBB245_14
; %bb.13:
	s_lshl_b64 s[0:1], s[4:5], 3
	v_mov_b32_e32 v0, 0
	s_add_u32 s0, s2, s0
	s_addc_u32 s1, s3, s1
	s_waitcnt lgkmcnt(0)
	global_store_b64 v0, v[1:2], s[0:1]
.LBB245_14:
	s_nop 0
	s_sendmsg sendmsg(MSG_DEALLOC_VGPRS)
	s_endpgm
	.section	.rodata,"a",@progbits
	.p2align	6, 0x0
	.amdhsa_kernel _ZL24rocblas_dot_kernel_magsqIiLb1ELi1024ELi32ELb1E19rocblas_complex_numIfEPKPKS1_S1_EviT5_lT_liPT6_PT4_
		.amdhsa_group_segment_fixed_size 256
		.amdhsa_private_segment_fixed_size 0
		.amdhsa_kernarg_size 320
		.amdhsa_user_sgpr_count 14
		.amdhsa_user_sgpr_dispatch_ptr 0
		.amdhsa_user_sgpr_queue_ptr 0
		.amdhsa_user_sgpr_kernarg_segment_ptr 1
		.amdhsa_user_sgpr_dispatch_id 0
		.amdhsa_user_sgpr_private_segment_size 0
		.amdhsa_wavefront_size32 1
		.amdhsa_uses_dynamic_stack 0
		.amdhsa_enable_private_segment 0
		.amdhsa_system_sgpr_workgroup_id_x 1
		.amdhsa_system_sgpr_workgroup_id_y 0
		.amdhsa_system_sgpr_workgroup_id_z 1
		.amdhsa_system_sgpr_workgroup_info 0
		.amdhsa_system_vgpr_workitem_id 0
		.amdhsa_next_free_vgpr 13
		.amdhsa_next_free_sgpr 17
		.amdhsa_reserve_vcc 1
		.amdhsa_float_round_mode_32 0
		.amdhsa_float_round_mode_16_64 0
		.amdhsa_float_denorm_mode_32 3
		.amdhsa_float_denorm_mode_16_64 3
		.amdhsa_dx10_clamp 1
		.amdhsa_ieee_mode 1
		.amdhsa_fp16_overflow 0
		.amdhsa_workgroup_processor_mode 1
		.amdhsa_memory_ordered 1
		.amdhsa_forward_progress 0
		.amdhsa_shared_vgpr_count 0
		.amdhsa_exception_fp_ieee_invalid_op 0
		.amdhsa_exception_fp_denorm_src 0
		.amdhsa_exception_fp_ieee_div_zero 0
		.amdhsa_exception_fp_ieee_overflow 0
		.amdhsa_exception_fp_ieee_underflow 0
		.amdhsa_exception_fp_ieee_inexact 0
		.amdhsa_exception_int_div_zero 0
	.end_amdhsa_kernel
	.section	.text._ZL24rocblas_dot_kernel_magsqIiLb1ELi1024ELi32ELb1E19rocblas_complex_numIfEPKPKS1_S1_EviT5_lT_liPT6_PT4_,"axG",@progbits,_ZL24rocblas_dot_kernel_magsqIiLb1ELi1024ELi32ELb1E19rocblas_complex_numIfEPKPKS1_S1_EviT5_lT_liPT6_PT4_,comdat
.Lfunc_end245:
	.size	_ZL24rocblas_dot_kernel_magsqIiLb1ELi1024ELi32ELb1E19rocblas_complex_numIfEPKPKS1_S1_EviT5_lT_liPT6_PT4_, .Lfunc_end245-_ZL24rocblas_dot_kernel_magsqIiLb1ELi1024ELi32ELb1E19rocblas_complex_numIfEPKPKS1_S1_EviT5_lT_liPT6_PT4_
                                        ; -- End function
	.section	.AMDGPU.csdata,"",@progbits
; Kernel info:
; codeLenInByte = 980
; NumSgprs: 19
; NumVgprs: 13
; ScratchSize: 0
; MemoryBound: 0
; FloatMode: 240
; IeeeMode: 1
; LDSByteSize: 256 bytes/workgroup (compile time only)
; SGPRBlocks: 2
; VGPRBlocks: 1
; NumSGPRsForWavesPerEU: 19
; NumVGPRsForWavesPerEU: 13
; Occupancy: 16
; WaveLimiterHint : 0
; COMPUTE_PGM_RSRC2:SCRATCH_EN: 0
; COMPUTE_PGM_RSRC2:USER_SGPR: 14
; COMPUTE_PGM_RSRC2:TRAP_HANDLER: 0
; COMPUTE_PGM_RSRC2:TGID_X_EN: 1
; COMPUTE_PGM_RSRC2:TGID_Y_EN: 0
; COMPUTE_PGM_RSRC2:TGID_Z_EN: 1
; COMPUTE_PGM_RSRC2:TIDIG_COMP_CNT: 0
	.section	.text._ZL23rocblas_dot_kernel_inc1ILb0ELi512ELi2ELb1E19rocblas_complex_numIfEPKPKS1_S1_EviT4_llS6_lliPT5_PT3_,"axG",@progbits,_ZL23rocblas_dot_kernel_inc1ILb0ELi512ELi2ELb1E19rocblas_complex_numIfEPKPKS1_S1_EviT4_llS6_lliPT5_PT3_,comdat
	.globl	_ZL23rocblas_dot_kernel_inc1ILb0ELi512ELi2ELb1E19rocblas_complex_numIfEPKPKS1_S1_EviT4_llS6_lliPT5_PT3_ ; -- Begin function _ZL23rocblas_dot_kernel_inc1ILb0ELi512ELi2ELb1E19rocblas_complex_numIfEPKPKS1_S1_EviT4_llS6_lliPT5_PT3_
	.p2align	8
	.type	_ZL23rocblas_dot_kernel_inc1ILb0ELi512ELi2ELb1E19rocblas_complex_numIfEPKPKS1_S1_EviT4_llS6_lliPT5_PT3_,@function
_ZL23rocblas_dot_kernel_inc1ILb0ELi512ELi2ELb1E19rocblas_complex_numIfEPKPKS1_S1_EviT4_llS6_lliPT5_PT3_: ; @_ZL23rocblas_dot_kernel_inc1ILb0ELi512ELi2ELb1E19rocblas_complex_numIfEPKPKS1_S1_EviT4_llS6_lliPT5_PT3_
; %bb.0:
	s_clause 0x1
	s_load_b32 s6, s[0:1], 0x0
	s_load_b32 s3, s[0:1], 0x50
	v_lshl_or_b32 v1, s14, 9, v0
	v_dual_mov_b32 v5, 0 :: v_dual_mov_b32 v6, 0
	s_mov_b32 s4, s15
	s_mov_b32 s5, 0
	s_mov_b32 s2, exec_lo
	s_waitcnt lgkmcnt(0)
	v_cmpx_gt_i32_e64 s6, v1
	s_cbranch_execz .LBB246_4
; %bb.1:
	s_clause 0x1
	s_load_b128 s[8:11], s[0:1], 0x8
	s_load_b128 s[16:19], s[0:1], 0x20
	s_lshl_b64 s[12:13], s[4:5], 3
	v_ashrrev_i32_e32 v2, 31, v1
	s_delay_alu instid0(VALU_DEP_1)
	v_lshlrev_b64 v[1:2], 3, v[1:2]
	s_waitcnt lgkmcnt(0)
	s_add_u32 s8, s8, s12
	s_addc_u32 s9, s9, s13
	s_lshl_b64 s[10:11], s[10:11], 3
	s_load_b64 s[8:9], s[8:9], 0x0
	s_waitcnt lgkmcnt(0)
	s_add_u32 s7, s8, s10
	s_addc_u32 s8, s9, s11
	s_add_u32 s10, s16, s12
	s_addc_u32 s11, s17, s13
	s_lshl_b64 s[12:13], s[18:19], 3
	s_load_b64 s[10:11], s[10:11], 0x0
	v_add_co_u32 v3, vcc_lo, s7, v1
	v_add_co_ci_u32_e32 v4, vcc_lo, s8, v2, vcc_lo
	s_waitcnt lgkmcnt(0)
	s_add_u32 s9, s10, s12
	s_addc_u32 s10, s11, s13
	v_add_co_u32 v1, vcc_lo, s9, v1
	v_add_co_ci_u32_e32 v2, vcc_lo, s10, v2, vcc_lo
	s_add_i32 s11, s14, s3
	global_load_b64 v[3:4], v[3:4], off
	global_load_b64 v[1:2], v[1:2], off
	s_waitcnt vmcnt(0)
	v_mul_f32_e32 v5, v4, v2
	v_mul_f32_e32 v4, v4, v1
	s_delay_alu instid0(VALU_DEP_1) | instskip(NEXT) | instid1(VALU_DEP_3)
	v_fma_f32 v2, v3, v2, -v4
	v_fmac_f32_e32 v5, v3, v1
	v_lshl_or_b32 v1, s11, 9, v0
	s_delay_alu instid0(VALU_DEP_2) | instskip(NEXT) | instid1(VALU_DEP_2)
	v_dual_add_f32 v6, 0, v2 :: v_dual_add_f32 v5, 0, v5
	v_cmp_gt_i32_e32 vcc_lo, s6, v1
	s_and_saveexec_b32 s6, vcc_lo
	s_cbranch_execz .LBB246_3
; %bb.2:
	v_ashrrev_i32_e32 v2, 31, v1
	s_delay_alu instid0(VALU_DEP_1) | instskip(NEXT) | instid1(VALU_DEP_1)
	v_lshlrev_b64 v[1:2], 3, v[1:2]
	v_add_co_u32 v3, vcc_lo, s7, v1
	s_delay_alu instid0(VALU_DEP_2)
	v_add_co_ci_u32_e32 v4, vcc_lo, s8, v2, vcc_lo
	v_add_co_u32 v1, vcc_lo, s9, v1
	v_add_co_ci_u32_e32 v2, vcc_lo, s10, v2, vcc_lo
	global_load_b64 v[3:4], v[3:4], off
	global_load_b64 v[1:2], v[1:2], off
	s_waitcnt vmcnt(0)
	v_mul_f32_e32 v7, v4, v1
	v_mul_f32_e32 v4, v4, v2
	s_delay_alu instid0(VALU_DEP_2) | instskip(NEXT) | instid1(VALU_DEP_2)
	v_fma_f32 v2, v3, v2, -v7
	v_fmac_f32_e32 v4, v3, v1
	s_delay_alu instid0(VALU_DEP_1)
	v_dual_add_f32 v6, v6, v2 :: v_dual_add_f32 v5, v5, v4
.LBB246_3:
	s_or_b32 exec_lo, exec_lo, s6
.LBB246_4:
	s_delay_alu instid0(SALU_CYCLE_1) | instskip(SKIP_2) | instid1(VALU_DEP_2)
	s_or_b32 exec_lo, exec_lo, s2
	v_and_b32_e32 v1, 31, v0
	v_cmp_gt_u32_e32 vcc_lo, 32, v0
	v_lshlrev_b32_e32 v3, 3, v1
	s_and_saveexec_b32 s2, vcc_lo
	s_cbranch_execz .LBB246_6
; %bb.5:
	v_mov_b32_e32 v7, 0
	s_delay_alu instid0(VALU_DEP_1)
	v_mov_b32_e32 v8, v7
	ds_store_b64 v3, v[7:8]
.LBB246_6:
	s_or_b32 exec_lo, exec_lo, s2
	v_mbcnt_lo_u32_b32 v2, -1, 0
	s_mov_b32 s6, exec_lo
	s_waitcnt lgkmcnt(0)
	s_barrier
	buffer_gl0_inv
	v_cmp_gt_u32_e64 s2, 16, v2
	s_delay_alu instid0(VALU_DEP_1) | instskip(SKIP_1) | instid1(VALU_DEP_2)
	v_cndmask_b32_e64 v4, 0, 1, s2
	v_cmp_gt_u32_e64 s2, 24, v2
	v_lshlrev_b32_e32 v4, 4, v4
	s_delay_alu instid0(VALU_DEP_1) | instskip(SKIP_4) | instid1(VALU_DEP_2)
	v_add_lshl_u32 v4, v4, v2, 2
	ds_bpermute_b32 v7, v4, v5
	ds_bpermute_b32 v8, v4, v6
	v_cndmask_b32_e64 v4, 0, 1, s2
	v_cmp_gt_u32_e64 s2, 28, v2
	v_lshlrev_b32_e32 v4, 3, v4
	s_delay_alu instid0(VALU_DEP_1)
	v_add_lshl_u32 v4, v4, v2, 2
	s_waitcnt lgkmcnt(1)
	v_add_f32_e32 v7, v5, v7
	v_cndmask_b32_e64 v5, 0, 1, s2
	s_waitcnt lgkmcnt(0)
	v_add_f32_e32 v6, v6, v8
	v_cmp_gt_u32_e64 s2, 30, v2
	ds_bpermute_b32 v8, v4, v7
	v_lshlrev_b32_e32 v5, 2, v5
	ds_bpermute_b32 v9, v4, v6
	v_add_lshl_u32 v5, v5, v2, 2
	s_waitcnt lgkmcnt(0)
	v_dual_add_f32 v7, v7, v8 :: v_dual_add_f32 v8, v6, v9
	v_cndmask_b32_e64 v6, 0, 1, s2
	v_cmp_ne_u32_e64 s2, 31, v2
	ds_bpermute_b32 v9, v5, v7
	ds_bpermute_b32 v10, v5, v8
	v_lshlrev_b32_e32 v6, 1, v6
	s_delay_alu instid0(VALU_DEP_1)
	v_add_lshl_u32 v6, v6, v2, 2
	v_add_co_ci_u32_e64 v2, s2, 0, v2, s2
	s_waitcnt lgkmcnt(0)
	v_dual_add_f32 v9, v7, v9 :: v_dual_add_f32 v8, v8, v10
	ds_bpermute_b32 v10, v6, v9
	ds_bpermute_b32 v11, v6, v8
	v_lshlrev_b32_e32 v7, 2, v2
	s_waitcnt lgkmcnt(1)
	v_add_f32_e32 v2, v9, v10
	s_waitcnt lgkmcnt(0)
	v_add_f32_e32 v8, v8, v11
	ds_bpermute_b32 v9, v7, v2
	ds_bpermute_b32 v10, v7, v8
	v_cmpx_eq_u32_e32 0, v1
	s_cbranch_execz .LBB246_8
; %bb.7:
	v_lshrrev_b32_e32 v11, 2, v0
	s_waitcnt lgkmcnt(0)
	v_dual_add_f32 v1, v2, v9 :: v_dual_add_f32 v2, v8, v10
	s_delay_alu instid0(VALU_DEP_2)
	v_and_b32_e32 v8, 0x78, v11
	ds_store_b64 v8, v[1:2]
.LBB246_8:
	s_or_b32 exec_lo, exec_lo, s6
	v_dual_mov_b32 v2, 0 :: v_dual_mov_b32 v1, 0
	s_mov_b32 s6, exec_lo
	s_waitcnt lgkmcnt(0)
	s_barrier
	buffer_gl0_inv
	v_cmpx_gt_u32_e32 16, v0
	s_cbranch_execz .LBB246_10
; %bb.9:
	ds_load_b64 v[1:2], v3
.LBB246_10:
	s_or_b32 exec_lo, exec_lo, s6
	s_and_saveexec_b32 s2, vcc_lo
	s_cbranch_execz .LBB246_12
; %bb.11:
	s_waitcnt lgkmcnt(0)
	ds_bpermute_b32 v3, v4, v1
	ds_bpermute_b32 v4, v4, v2
	s_waitcnt lgkmcnt(0)
	v_dual_add_f32 v1, v1, v3 :: v_dual_add_f32 v2, v2, v4
	ds_bpermute_b32 v3, v5, v1
	ds_bpermute_b32 v4, v5, v2
	s_waitcnt lgkmcnt(0)
	v_dual_add_f32 v1, v1, v3 :: v_dual_add_f32 v2, v2, v4
	ds_bpermute_b32 v3, v6, v1
	ds_bpermute_b32 v4, v6, v2
	s_waitcnt lgkmcnt(0)
	v_dual_add_f32 v1, v1, v3 :: v_dual_add_f32 v2, v2, v4
	ds_bpermute_b32 v3, v7, v1
	ds_bpermute_b32 v4, v7, v2
	s_waitcnt lgkmcnt(0)
	v_dual_add_f32 v1, v1, v3 :: v_dual_add_f32 v2, v2, v4
.LBB246_12:
	s_or_b32 exec_lo, exec_lo, s2
	s_delay_alu instid0(SALU_CYCLE_1)
	s_mov_b32 s2, exec_lo
	v_cmpx_eq_u32_e32 0, v0
	s_cbranch_execz .LBB246_18
; %bb.13:
	s_cmp_lg_u32 s3, 1
	s_cbranch_scc0 .LBB246_15
; %bb.14:
	s_load_b64 s[6:7], s[0:1], 0x40
	s_mul_hi_u32 s9, s3, s4
	s_mul_i32 s8, s3, s4
	s_mov_b32 s15, 0
	s_lshl_b64 s[2:3], s[8:9], 3
	s_waitcnt lgkmcnt(0)
	s_add_u32 s6, s6, s2
	s_addc_u32 s7, s7, s3
	s_lshl_b64 s[2:3], s[14:15], 3
	s_delay_alu instid0(SALU_CYCLE_1)
	s_add_u32 s2, s6, s2
	s_addc_u32 s3, s7, s3
	s_cbranch_execz .LBB246_16
	s_branch .LBB246_17
.LBB246_15:
                                        ; implicit-def: $sgpr2_sgpr3
.LBB246_16:
	s_load_b64 s[0:1], s[0:1], 0x48
	s_lshl_b64 s[2:3], s[4:5], 3
	s_waitcnt lgkmcnt(0)
	s_add_u32 s2, s0, s2
	s_addc_u32 s3, s1, s3
.LBB246_17:
	v_mov_b32_e32 v0, 0
	s_waitcnt lgkmcnt(0)
	global_store_b64 v0, v[1:2], s[2:3]
.LBB246_18:
	s_nop 0
	s_sendmsg sendmsg(MSG_DEALLOC_VGPRS)
	s_endpgm
	.section	.rodata,"a",@progbits
	.p2align	6, 0x0
	.amdhsa_kernel _ZL23rocblas_dot_kernel_inc1ILb0ELi512ELi2ELb1E19rocblas_complex_numIfEPKPKS1_S1_EviT4_llS6_lliPT5_PT3_
		.amdhsa_group_segment_fixed_size 256
		.amdhsa_private_segment_fixed_size 0
		.amdhsa_kernarg_size 336
		.amdhsa_user_sgpr_count 14
		.amdhsa_user_sgpr_dispatch_ptr 0
		.amdhsa_user_sgpr_queue_ptr 0
		.amdhsa_user_sgpr_kernarg_segment_ptr 1
		.amdhsa_user_sgpr_dispatch_id 0
		.amdhsa_user_sgpr_private_segment_size 0
		.amdhsa_wavefront_size32 1
		.amdhsa_uses_dynamic_stack 0
		.amdhsa_enable_private_segment 0
		.amdhsa_system_sgpr_workgroup_id_x 1
		.amdhsa_system_sgpr_workgroup_id_y 0
		.amdhsa_system_sgpr_workgroup_id_z 1
		.amdhsa_system_sgpr_workgroup_info 0
		.amdhsa_system_vgpr_workitem_id 0
		.amdhsa_next_free_vgpr 12
		.amdhsa_next_free_sgpr 20
		.amdhsa_reserve_vcc 1
		.amdhsa_float_round_mode_32 0
		.amdhsa_float_round_mode_16_64 0
		.amdhsa_float_denorm_mode_32 3
		.amdhsa_float_denorm_mode_16_64 3
		.amdhsa_dx10_clamp 1
		.amdhsa_ieee_mode 1
		.amdhsa_fp16_overflow 0
		.amdhsa_workgroup_processor_mode 1
		.amdhsa_memory_ordered 1
		.amdhsa_forward_progress 0
		.amdhsa_shared_vgpr_count 0
		.amdhsa_exception_fp_ieee_invalid_op 0
		.amdhsa_exception_fp_denorm_src 0
		.amdhsa_exception_fp_ieee_div_zero 0
		.amdhsa_exception_fp_ieee_overflow 0
		.amdhsa_exception_fp_ieee_underflow 0
		.amdhsa_exception_fp_ieee_inexact 0
		.amdhsa_exception_int_div_zero 0
	.end_amdhsa_kernel
	.section	.text._ZL23rocblas_dot_kernel_inc1ILb0ELi512ELi2ELb1E19rocblas_complex_numIfEPKPKS1_S1_EviT4_llS6_lliPT5_PT3_,"axG",@progbits,_ZL23rocblas_dot_kernel_inc1ILb0ELi512ELi2ELb1E19rocblas_complex_numIfEPKPKS1_S1_EviT4_llS6_lliPT5_PT3_,comdat
.Lfunc_end246:
	.size	_ZL23rocblas_dot_kernel_inc1ILb0ELi512ELi2ELb1E19rocblas_complex_numIfEPKPKS1_S1_EviT4_llS6_lliPT5_PT3_, .Lfunc_end246-_ZL23rocblas_dot_kernel_inc1ILb0ELi512ELi2ELb1E19rocblas_complex_numIfEPKPKS1_S1_EviT4_llS6_lliPT5_PT3_
                                        ; -- End function
	.section	.AMDGPU.csdata,"",@progbits
; Kernel info:
; codeLenInByte = 1104
; NumSgprs: 22
; NumVgprs: 12
; ScratchSize: 0
; MemoryBound: 0
; FloatMode: 240
; IeeeMode: 1
; LDSByteSize: 256 bytes/workgroup (compile time only)
; SGPRBlocks: 2
; VGPRBlocks: 1
; NumSGPRsForWavesPerEU: 22
; NumVGPRsForWavesPerEU: 12
; Occupancy: 16
; WaveLimiterHint : 1
; COMPUTE_PGM_RSRC2:SCRATCH_EN: 0
; COMPUTE_PGM_RSRC2:USER_SGPR: 14
; COMPUTE_PGM_RSRC2:TRAP_HANDLER: 0
; COMPUTE_PGM_RSRC2:TGID_X_EN: 1
; COMPUTE_PGM_RSRC2:TGID_Y_EN: 0
; COMPUTE_PGM_RSRC2:TGID_Z_EN: 1
; COMPUTE_PGM_RSRC2:TIDIG_COMP_CNT: 0
	.section	.text._ZL18rocblas_dot_kernelIiLb0ELi512ELi2ELb1E19rocblas_complex_numIfEPKPKS1_S1_EviT5_lT_lS6_lS7_liPT6_PT4_,"axG",@progbits,_ZL18rocblas_dot_kernelIiLb0ELi512ELi2ELb1E19rocblas_complex_numIfEPKPKS1_S1_EviT5_lT_lS6_lS7_liPT6_PT4_,comdat
	.globl	_ZL18rocblas_dot_kernelIiLb0ELi512ELi2ELb1E19rocblas_complex_numIfEPKPKS1_S1_EviT5_lT_lS6_lS7_liPT6_PT4_ ; -- Begin function _ZL18rocblas_dot_kernelIiLb0ELi512ELi2ELb1E19rocblas_complex_numIfEPKPKS1_S1_EviT5_lT_lS6_lS7_liPT6_PT4_
	.p2align	8
	.type	_ZL18rocblas_dot_kernelIiLb0ELi512ELi2ELb1E19rocblas_complex_numIfEPKPKS1_S1_EviT5_lT_lS6_lS7_liPT6_PT4_,@function
_ZL18rocblas_dot_kernelIiLb0ELi512ELi2ELb1E19rocblas_complex_numIfEPKPKS1_S1_EviT5_lT_lS6_lS7_liPT6_PT4_: ; @_ZL18rocblas_dot_kernelIiLb0ELi512ELi2ELb1E19rocblas_complex_numIfEPKPKS1_S1_EviT5_lT_lS6_lS7_liPT6_PT4_
; %bb.0:
	s_clause 0x1
	s_load_b32 s6, s[0:1], 0x0
	s_load_b32 s3, s[0:1], 0x60
	v_lshl_or_b32 v3, s14, 9, v0
	v_dual_mov_b32 v1, 0 :: v_dual_mov_b32 v2, 0
	s_mov_b32 s4, s15
	s_mov_b32 s5, 0
	s_mov_b32 s2, exec_lo
	s_waitcnt lgkmcnt(0)
	v_cmpx_gt_i32_e64 s6, v3
	s_cbranch_execz .LBB247_4
; %bb.1:
	s_clause 0x1
	s_load_b128 s[16:19], s[0:1], 0x8
	s_load_b32 s10, s[0:1], 0x18
	s_lshl_b64 s[12:13], s[4:5], 3
	s_waitcnt lgkmcnt(0)
	s_add_u32 s8, s16, s12
	s_addc_u32 s9, s17, s13
	s_lshl_b64 s[18:19], s[18:19], 3
	s_load_b64 s[16:17], s[8:9], 0x0
	s_clause 0x1
	s_load_b128 s[20:23], s[0:1], 0x28
	s_load_b32 s9, s[0:1], 0x38
	v_mad_i64_i32 v[1:2], null, v3, s10, 0
	s_delay_alu instid0(VALU_DEP_1)
	v_lshlrev_b64 v[1:2], 3, v[1:2]
	s_waitcnt lgkmcnt(0)
	s_add_u32 s7, s16, s18
	s_addc_u32 s8, s17, s19
	s_add_u32 s12, s20, s12
	s_addc_u32 s13, s21, s13
	v_mad_i64_i32 v[4:5], null, v3, s9, 0
	s_load_b64 s[12:13], s[12:13], 0x0
	s_lshl_b64 s[16:17], s[22:23], 3
	v_add_co_u32 v1, vcc_lo, s7, v1
	v_add_co_ci_u32_e32 v2, vcc_lo, s8, v2, vcc_lo
	s_delay_alu instid0(VALU_DEP_3) | instskip(SKIP_3) | instid1(VALU_DEP_1)
	v_lshlrev_b64 v[3:4], 3, v[4:5]
	s_waitcnt lgkmcnt(0)
	s_add_u32 s11, s12, s16
	s_addc_u32 s12, s13, s17
	v_add_co_u32 v3, vcc_lo, s11, v3
	s_delay_alu instid0(VALU_DEP_2)
	v_add_co_ci_u32_e32 v4, vcc_lo, s12, v4, vcc_lo
	s_add_i32 s13, s14, s3
	global_load_b64 v[1:2], v[1:2], off
	global_load_b64 v[3:4], v[3:4], off
	s_waitcnt vmcnt(0)
	v_mul_f32_e32 v5, v2, v4
	v_mul_f32_e32 v2, v2, v3
	s_delay_alu instid0(VALU_DEP_1) | instskip(NEXT) | instid1(VALU_DEP_1)
	v_fma_f32 v2, v1, v4, -v2
	v_dual_add_f32 v2, 0, v2 :: v_dual_fmac_f32 v5, v1, v3
	v_lshl_or_b32 v3, s13, 9, v0
	s_delay_alu instid0(VALU_DEP_2) | instskip(NEXT) | instid1(VALU_DEP_2)
	v_add_f32_e32 v1, 0, v5
	v_cmp_gt_i32_e32 vcc_lo, s6, v3
	s_and_saveexec_b32 s6, vcc_lo
	s_cbranch_execz .LBB247_3
; %bb.2:
	v_mad_i64_i32 v[4:5], null, v3, s10, 0
	v_mad_i64_i32 v[6:7], null, v3, s9, 0
	s_delay_alu instid0(VALU_DEP_2) | instskip(NEXT) | instid1(VALU_DEP_2)
	v_lshlrev_b64 v[3:4], 3, v[4:5]
	v_lshlrev_b64 v[5:6], 3, v[6:7]
	s_delay_alu instid0(VALU_DEP_2) | instskip(NEXT) | instid1(VALU_DEP_3)
	v_add_co_u32 v3, vcc_lo, s7, v3
	v_add_co_ci_u32_e32 v4, vcc_lo, s8, v4, vcc_lo
	s_delay_alu instid0(VALU_DEP_3) | instskip(NEXT) | instid1(VALU_DEP_4)
	v_add_co_u32 v5, vcc_lo, s11, v5
	v_add_co_ci_u32_e32 v6, vcc_lo, s12, v6, vcc_lo
	global_load_b64 v[3:4], v[3:4], off
	global_load_b64 v[5:6], v[5:6], off
	s_waitcnt vmcnt(0)
	v_mul_f32_e32 v7, v4, v5
	v_mul_f32_e32 v4, v4, v6
	s_delay_alu instid0(VALU_DEP_2) | instskip(NEXT) | instid1(VALU_DEP_2)
	v_fma_f32 v6, v3, v6, -v7
	v_fmac_f32_e32 v4, v3, v5
	s_delay_alu instid0(VALU_DEP_1)
	v_dual_add_f32 v2, v2, v6 :: v_dual_add_f32 v1, v1, v4
.LBB247_3:
	s_or_b32 exec_lo, exec_lo, s6
.LBB247_4:
	s_delay_alu instid0(SALU_CYCLE_1) | instskip(SKIP_2) | instid1(VALU_DEP_2)
	s_or_b32 exec_lo, exec_lo, s2
	v_and_b32_e32 v8, 31, v0
	v_cmp_gt_u32_e32 vcc_lo, 32, v0
	v_lshlrev_b32_e32 v3, 3, v8
	s_and_saveexec_b32 s2, vcc_lo
	s_cbranch_execz .LBB247_6
; %bb.5:
	v_mov_b32_e32 v4, 0
	s_delay_alu instid0(VALU_DEP_1)
	v_mov_b32_e32 v5, v4
	ds_store_b64 v3, v[4:5]
.LBB247_6:
	s_or_b32 exec_lo, exec_lo, s2
	v_mbcnt_lo_u32_b32 v7, -1, 0
	s_mov_b32 s6, exec_lo
	s_waitcnt lgkmcnt(0)
	s_barrier
	buffer_gl0_inv
	v_cmp_gt_u32_e64 s2, 16, v7
	s_delay_alu instid0(VALU_DEP_1) | instskip(SKIP_1) | instid1(VALU_DEP_2)
	v_cndmask_b32_e64 v4, 0, 1, s2
	v_cmp_gt_u32_e64 s2, 24, v7
	v_lshlrev_b32_e32 v4, 4, v4
	s_delay_alu instid0(VALU_DEP_1)
	v_add_lshl_u32 v4, v4, v7, 2
	ds_bpermute_b32 v5, v4, v1
	ds_bpermute_b32 v6, v4, v2
	v_cndmask_b32_e64 v4, 0, 1, s2
	v_cmp_gt_u32_e64 s2, 28, v7
	s_waitcnt lgkmcnt(1)
	s_delay_alu instid0(VALU_DEP_2) | instskip(NEXT) | instid1(VALU_DEP_2)
	v_dual_add_f32 v1, v1, v5 :: v_dual_lshlrev_b32 v4, 3, v4
	v_cndmask_b32_e64 v5, 0, 1, s2
	s_waitcnt lgkmcnt(0)
	v_add_f32_e32 v2, v2, v6
	v_cmp_gt_u32_e64 s2, 30, v7
	v_add_lshl_u32 v4, v4, v7, 2
	v_lshlrev_b32_e32 v5, 2, v5
	ds_bpermute_b32 v6, v4, v1
	ds_bpermute_b32 v9, v4, v2
	v_add_lshl_u32 v5, v5, v7, 2
	s_waitcnt lgkmcnt(1)
	v_add_f32_e32 v1, v1, v6
	v_cndmask_b32_e64 v6, 0, 1, s2
	v_cmp_ne_u32_e64 s2, 31, v7
	s_delay_alu instid0(VALU_DEP_2) | instskip(NEXT) | instid1(VALU_DEP_1)
	v_lshlrev_b32_e32 v6, 1, v6
	v_add_lshl_u32 v6, v6, v7, 2
	s_delay_alu instid0(VALU_DEP_3)
	v_add_co_ci_u32_e64 v7, s2, 0, v7, s2
	s_waitcnt lgkmcnt(0)
	v_add_f32_e32 v2, v2, v9
	ds_bpermute_b32 v9, v5, v1
	v_lshlrev_b32_e32 v7, 2, v7
	ds_bpermute_b32 v10, v5, v2
	s_waitcnt lgkmcnt(1)
	v_add_f32_e32 v1, v1, v9
	ds_bpermute_b32 v9, v6, v1
	s_waitcnt lgkmcnt(0)
	v_dual_add_f32 v2, v2, v10 :: v_dual_add_f32 v1, v1, v9
	ds_bpermute_b32 v10, v6, v2
	ds_bpermute_b32 v9, v7, v1
	s_waitcnt lgkmcnt(1)
	v_add_f32_e32 v2, v2, v10
	ds_bpermute_b32 v10, v7, v2
	v_cmpx_eq_u32_e32 0, v8
	s_cbranch_execz .LBB247_8
; %bb.7:
	v_lshrrev_b32_e32 v8, 2, v0
	s_waitcnt lgkmcnt(0)
	v_dual_add_f32 v1, v1, v9 :: v_dual_add_f32 v2, v2, v10
	s_delay_alu instid0(VALU_DEP_2)
	v_and_b32_e32 v8, 0x78, v8
	ds_store_b64 v8, v[1:2]
.LBB247_8:
	s_or_b32 exec_lo, exec_lo, s6
	v_dual_mov_b32 v2, 0 :: v_dual_mov_b32 v1, 0
	s_mov_b32 s6, exec_lo
	s_waitcnt lgkmcnt(0)
	s_barrier
	buffer_gl0_inv
	v_cmpx_gt_u32_e32 16, v0
	s_cbranch_execz .LBB247_10
; %bb.9:
	ds_load_b64 v[1:2], v3
.LBB247_10:
	s_or_b32 exec_lo, exec_lo, s6
	s_and_saveexec_b32 s2, vcc_lo
	s_cbranch_execz .LBB247_12
; %bb.11:
	s_waitcnt lgkmcnt(0)
	ds_bpermute_b32 v3, v4, v1
	ds_bpermute_b32 v4, v4, v2
	s_waitcnt lgkmcnt(0)
	v_dual_add_f32 v1, v1, v3 :: v_dual_add_f32 v2, v2, v4
	ds_bpermute_b32 v3, v5, v1
	ds_bpermute_b32 v4, v5, v2
	s_waitcnt lgkmcnt(0)
	v_dual_add_f32 v1, v1, v3 :: v_dual_add_f32 v2, v2, v4
	;; [unrolled: 4-line block ×4, first 2 shown]
.LBB247_12:
	s_or_b32 exec_lo, exec_lo, s2
	s_delay_alu instid0(SALU_CYCLE_1)
	s_mov_b32 s2, exec_lo
	v_cmpx_eq_u32_e32 0, v0
	s_cbranch_execz .LBB247_18
; %bb.13:
	s_cmp_lg_u32 s3, 1
	s_cbranch_scc0 .LBB247_15
; %bb.14:
	s_load_b64 s[6:7], s[0:1], 0x50
	s_mul_hi_u32 s9, s3, s4
	s_mul_i32 s8, s3, s4
	s_mov_b32 s15, 0
	s_lshl_b64 s[2:3], s[8:9], 3
	s_waitcnt lgkmcnt(0)
	s_add_u32 s6, s6, s2
	s_addc_u32 s7, s7, s3
	s_lshl_b64 s[2:3], s[14:15], 3
	s_delay_alu instid0(SALU_CYCLE_1)
	s_add_u32 s2, s6, s2
	s_addc_u32 s3, s7, s3
	s_cbranch_execz .LBB247_16
	s_branch .LBB247_17
.LBB247_15:
                                        ; implicit-def: $sgpr2_sgpr3
.LBB247_16:
	s_load_b64 s[0:1], s[0:1], 0x58
	s_lshl_b64 s[2:3], s[4:5], 3
	s_waitcnt lgkmcnt(0)
	s_add_u32 s2, s0, s2
	s_addc_u32 s3, s1, s3
.LBB247_17:
	v_mov_b32_e32 v0, 0
	s_waitcnt lgkmcnt(0)
	global_store_b64 v0, v[1:2], s[2:3]
.LBB247_18:
	s_nop 0
	s_sendmsg sendmsg(MSG_DEALLOC_VGPRS)
	s_endpgm
	.section	.rodata,"a",@progbits
	.p2align	6, 0x0
	.amdhsa_kernel _ZL18rocblas_dot_kernelIiLb0ELi512ELi2ELb1E19rocblas_complex_numIfEPKPKS1_S1_EviT5_lT_lS6_lS7_liPT6_PT4_
		.amdhsa_group_segment_fixed_size 256
		.amdhsa_private_segment_fixed_size 0
		.amdhsa_kernarg_size 352
		.amdhsa_user_sgpr_count 14
		.amdhsa_user_sgpr_dispatch_ptr 0
		.amdhsa_user_sgpr_queue_ptr 0
		.amdhsa_user_sgpr_kernarg_segment_ptr 1
		.amdhsa_user_sgpr_dispatch_id 0
		.amdhsa_user_sgpr_private_segment_size 0
		.amdhsa_wavefront_size32 1
		.amdhsa_uses_dynamic_stack 0
		.amdhsa_enable_private_segment 0
		.amdhsa_system_sgpr_workgroup_id_x 1
		.amdhsa_system_sgpr_workgroup_id_y 0
		.amdhsa_system_sgpr_workgroup_id_z 1
		.amdhsa_system_sgpr_workgroup_info 0
		.amdhsa_system_vgpr_workitem_id 0
		.amdhsa_next_free_vgpr 11
		.amdhsa_next_free_sgpr 24
		.amdhsa_reserve_vcc 1
		.amdhsa_float_round_mode_32 0
		.amdhsa_float_round_mode_16_64 0
		.amdhsa_float_denorm_mode_32 3
		.amdhsa_float_denorm_mode_16_64 3
		.amdhsa_dx10_clamp 1
		.amdhsa_ieee_mode 1
		.amdhsa_fp16_overflow 0
		.amdhsa_workgroup_processor_mode 1
		.amdhsa_memory_ordered 1
		.amdhsa_forward_progress 0
		.amdhsa_shared_vgpr_count 0
		.amdhsa_exception_fp_ieee_invalid_op 0
		.amdhsa_exception_fp_denorm_src 0
		.amdhsa_exception_fp_ieee_div_zero 0
		.amdhsa_exception_fp_ieee_overflow 0
		.amdhsa_exception_fp_ieee_underflow 0
		.amdhsa_exception_fp_ieee_inexact 0
		.amdhsa_exception_int_div_zero 0
	.end_amdhsa_kernel
	.section	.text._ZL18rocblas_dot_kernelIiLb0ELi512ELi2ELb1E19rocblas_complex_numIfEPKPKS1_S1_EviT5_lT_lS6_lS7_liPT6_PT4_,"axG",@progbits,_ZL18rocblas_dot_kernelIiLb0ELi512ELi2ELb1E19rocblas_complex_numIfEPKPKS1_S1_EviT5_lT_lS6_lS7_liPT6_PT4_,comdat
.Lfunc_end247:
	.size	_ZL18rocblas_dot_kernelIiLb0ELi512ELi2ELb1E19rocblas_complex_numIfEPKPKS1_S1_EviT5_lT_lS6_lS7_liPT6_PT4_, .Lfunc_end247-_ZL18rocblas_dot_kernelIiLb0ELi512ELi2ELb1E19rocblas_complex_numIfEPKPKS1_S1_EviT5_lT_lS6_lS7_liPT6_PT4_
                                        ; -- End function
	.section	.AMDGPU.csdata,"",@progbits
; Kernel info:
; codeLenInByte = 1184
; NumSgprs: 26
; NumVgprs: 11
; ScratchSize: 0
; MemoryBound: 0
; FloatMode: 240
; IeeeMode: 1
; LDSByteSize: 256 bytes/workgroup (compile time only)
; SGPRBlocks: 3
; VGPRBlocks: 1
; NumSGPRsForWavesPerEU: 26
; NumVGPRsForWavesPerEU: 11
; Occupancy: 16
; WaveLimiterHint : 1
; COMPUTE_PGM_RSRC2:SCRATCH_EN: 0
; COMPUTE_PGM_RSRC2:USER_SGPR: 14
; COMPUTE_PGM_RSRC2:TRAP_HANDLER: 0
; COMPUTE_PGM_RSRC2:TGID_X_EN: 1
; COMPUTE_PGM_RSRC2:TGID_Y_EN: 0
; COMPUTE_PGM_RSRC2:TGID_Z_EN: 1
; COMPUTE_PGM_RSRC2:TIDIG_COMP_CNT: 0
	.section	.text._ZL24rocblas_dot_kernel_magsqIiLb0ELi512ELi2ELb1E19rocblas_complex_numIfEPKPKS1_S1_EviT5_lT_liPT6_PT4_,"axG",@progbits,_ZL24rocblas_dot_kernel_magsqIiLb0ELi512ELi2ELb1E19rocblas_complex_numIfEPKPKS1_S1_EviT5_lT_liPT6_PT4_,comdat
	.globl	_ZL24rocblas_dot_kernel_magsqIiLb0ELi512ELi2ELb1E19rocblas_complex_numIfEPKPKS1_S1_EviT5_lT_liPT6_PT4_ ; -- Begin function _ZL24rocblas_dot_kernel_magsqIiLb0ELi512ELi2ELb1E19rocblas_complex_numIfEPKPKS1_S1_EviT5_lT_liPT6_PT4_
	.p2align	8
	.type	_ZL24rocblas_dot_kernel_magsqIiLb0ELi512ELi2ELb1E19rocblas_complex_numIfEPKPKS1_S1_EviT5_lT_liPT6_PT4_,@function
_ZL24rocblas_dot_kernel_magsqIiLb0ELi512ELi2ELb1E19rocblas_complex_numIfEPKPKS1_S1_EviT5_lT_liPT6_PT4_: ; @_ZL24rocblas_dot_kernel_magsqIiLb0ELi512ELi2ELb1E19rocblas_complex_numIfEPKPKS1_S1_EviT5_lT_liPT6_PT4_
; %bb.0:
	s_clause 0x1
	s_load_b32 s6, s[0:1], 0x0
	s_load_b32 s3, s[0:1], 0x40
	v_lshl_or_b32 v3, s14, 9, v0
	v_dual_mov_b32 v1, 0 :: v_dual_mov_b32 v2, 0
	s_mov_b32 s4, s15
	s_mov_b32 s5, 0
	s_mov_b32 s2, exec_lo
	s_waitcnt lgkmcnt(0)
	v_cmpx_gt_i32_e64 s6, v3
	s_cbranch_execz .LBB248_4
; %bb.1:
	s_clause 0x1
	s_load_b128 s[8:11], s[0:1], 0x8
	s_load_b32 s7, s[0:1], 0x18
	s_lshl_b64 s[12:13], s[4:5], 3
	s_waitcnt lgkmcnt(0)
	s_add_u32 s8, s8, s12
	s_addc_u32 s9, s9, s13
	v_mad_i64_i32 v[1:2], null, v3, s7, 0
	s_load_b64 s[8:9], s[8:9], 0x0
	s_lshl_b64 s[10:11], s[10:11], 3
	s_delay_alu instid0(VALU_DEP_1) | instskip(SKIP_3) | instid1(VALU_DEP_1)
	v_lshlrev_b64 v[1:2], 3, v[1:2]
	s_waitcnt lgkmcnt(0)
	s_add_u32 s8, s8, s10
	s_addc_u32 s9, s9, s11
	v_add_co_u32 v1, vcc_lo, s8, v1
	s_delay_alu instid0(VALU_DEP_2) | instskip(SKIP_4) | instid1(VALU_DEP_1)
	v_add_co_ci_u32_e32 v2, vcc_lo, s9, v2, vcc_lo
	s_add_i32 s10, s14, s3
	global_load_b64 v[2:3], v[1:2], off
	s_waitcnt vmcnt(0)
	v_mul_f32_e32 v4, v2, v3
	v_fma_f32 v4, v2, v3, -v4
	v_mul_f32_e32 v1, v3, v3
	v_lshl_or_b32 v3, s10, 9, v0
	s_delay_alu instid0(VALU_DEP_2) | instskip(NEXT) | instid1(VALU_DEP_2)
	v_dual_fmac_f32 v1, v2, v2 :: v_dual_add_f32 v2, 0, v4
	v_cmp_gt_i32_e32 vcc_lo, s6, v3
	s_and_saveexec_b32 s6, vcc_lo
	s_cbranch_execz .LBB248_3
; %bb.2:
	v_mad_i64_i32 v[4:5], null, v3, s7, 0
	s_delay_alu instid0(VALU_DEP_1) | instskip(NEXT) | instid1(VALU_DEP_1)
	v_lshlrev_b64 v[3:4], 3, v[4:5]
	v_add_co_u32 v3, vcc_lo, s8, v3
	s_delay_alu instid0(VALU_DEP_2) | instskip(SKIP_4) | instid1(VALU_DEP_2)
	v_add_co_ci_u32_e32 v4, vcc_lo, s9, v4, vcc_lo
	global_load_b64 v[3:4], v[3:4], off
	s_waitcnt vmcnt(0)
	v_mul_f32_e32 v5, v3, v4
	v_mul_f32_e32 v6, v4, v4
	v_fma_f32 v4, v3, v4, -v5
	s_delay_alu instid0(VALU_DEP_2) | instskip(NEXT) | instid1(VALU_DEP_1)
	v_fmac_f32_e32 v6, v3, v3
	v_dual_add_f32 v2, v2, v4 :: v_dual_add_f32 v1, v1, v6
.LBB248_3:
	s_or_b32 exec_lo, exec_lo, s6
.LBB248_4:
	s_delay_alu instid0(SALU_CYCLE_1) | instskip(SKIP_2) | instid1(VALU_DEP_2)
	s_or_b32 exec_lo, exec_lo, s2
	v_and_b32_e32 v8, 31, v0
	v_cmp_gt_u32_e32 vcc_lo, 32, v0
	v_lshlrev_b32_e32 v3, 3, v8
	s_and_saveexec_b32 s2, vcc_lo
	s_cbranch_execz .LBB248_6
; %bb.5:
	v_mov_b32_e32 v4, 0
	s_delay_alu instid0(VALU_DEP_1)
	v_mov_b32_e32 v5, v4
	ds_store_b64 v3, v[4:5]
.LBB248_6:
	s_or_b32 exec_lo, exec_lo, s2
	v_mbcnt_lo_u32_b32 v7, -1, 0
	s_mov_b32 s6, exec_lo
	s_waitcnt lgkmcnt(0)
	s_barrier
	buffer_gl0_inv
	v_cmp_gt_u32_e64 s2, 16, v7
	s_delay_alu instid0(VALU_DEP_1) | instskip(SKIP_1) | instid1(VALU_DEP_2)
	v_cndmask_b32_e64 v4, 0, 1, s2
	v_cmp_gt_u32_e64 s2, 24, v7
	v_lshlrev_b32_e32 v4, 4, v4
	s_delay_alu instid0(VALU_DEP_1)
	v_add_lshl_u32 v4, v4, v7, 2
	ds_bpermute_b32 v5, v4, v1
	ds_bpermute_b32 v6, v4, v2
	v_cndmask_b32_e64 v4, 0, 1, s2
	v_cmp_gt_u32_e64 s2, 28, v7
	s_waitcnt lgkmcnt(1)
	s_delay_alu instid0(VALU_DEP_2) | instskip(NEXT) | instid1(VALU_DEP_2)
	v_dual_add_f32 v1, v1, v5 :: v_dual_lshlrev_b32 v4, 3, v4
	v_cndmask_b32_e64 v5, 0, 1, s2
	s_waitcnt lgkmcnt(0)
	v_add_f32_e32 v2, v2, v6
	v_cmp_gt_u32_e64 s2, 30, v7
	v_add_lshl_u32 v4, v4, v7, 2
	v_lshlrev_b32_e32 v5, 2, v5
	ds_bpermute_b32 v6, v4, v1
	ds_bpermute_b32 v9, v4, v2
	v_add_lshl_u32 v5, v5, v7, 2
	s_waitcnt lgkmcnt(1)
	v_add_f32_e32 v1, v1, v6
	v_cndmask_b32_e64 v6, 0, 1, s2
	v_cmp_ne_u32_e64 s2, 31, v7
	s_delay_alu instid0(VALU_DEP_2) | instskip(NEXT) | instid1(VALU_DEP_1)
	v_lshlrev_b32_e32 v6, 1, v6
	v_add_lshl_u32 v6, v6, v7, 2
	s_delay_alu instid0(VALU_DEP_3)
	v_add_co_ci_u32_e64 v7, s2, 0, v7, s2
	s_waitcnt lgkmcnt(0)
	v_add_f32_e32 v2, v2, v9
	ds_bpermute_b32 v9, v5, v1
	v_lshlrev_b32_e32 v7, 2, v7
	ds_bpermute_b32 v10, v5, v2
	s_waitcnt lgkmcnt(1)
	v_add_f32_e32 v1, v1, v9
	ds_bpermute_b32 v9, v6, v1
	s_waitcnt lgkmcnt(0)
	v_dual_add_f32 v2, v2, v10 :: v_dual_add_f32 v1, v1, v9
	ds_bpermute_b32 v10, v6, v2
	ds_bpermute_b32 v9, v7, v1
	s_waitcnt lgkmcnt(1)
	v_add_f32_e32 v2, v2, v10
	ds_bpermute_b32 v10, v7, v2
	v_cmpx_eq_u32_e32 0, v8
	s_cbranch_execz .LBB248_8
; %bb.7:
	v_lshrrev_b32_e32 v8, 2, v0
	s_waitcnt lgkmcnt(0)
	v_dual_add_f32 v1, v1, v9 :: v_dual_add_f32 v2, v2, v10
	s_delay_alu instid0(VALU_DEP_2)
	v_and_b32_e32 v8, 0x78, v8
	ds_store_b64 v8, v[1:2]
.LBB248_8:
	s_or_b32 exec_lo, exec_lo, s6
	v_dual_mov_b32 v2, 0 :: v_dual_mov_b32 v1, 0
	s_mov_b32 s6, exec_lo
	s_waitcnt lgkmcnt(0)
	s_barrier
	buffer_gl0_inv
	v_cmpx_gt_u32_e32 16, v0
	s_cbranch_execz .LBB248_10
; %bb.9:
	ds_load_b64 v[1:2], v3
.LBB248_10:
	s_or_b32 exec_lo, exec_lo, s6
	s_and_saveexec_b32 s2, vcc_lo
	s_cbranch_execz .LBB248_12
; %bb.11:
	s_waitcnt lgkmcnt(0)
	ds_bpermute_b32 v3, v4, v1
	ds_bpermute_b32 v4, v4, v2
	s_waitcnt lgkmcnt(0)
	v_dual_add_f32 v1, v1, v3 :: v_dual_add_f32 v2, v2, v4
	ds_bpermute_b32 v3, v5, v1
	ds_bpermute_b32 v4, v5, v2
	s_waitcnt lgkmcnt(0)
	v_dual_add_f32 v1, v1, v3 :: v_dual_add_f32 v2, v2, v4
	;; [unrolled: 4-line block ×4, first 2 shown]
.LBB248_12:
	s_or_b32 exec_lo, exec_lo, s2
	s_delay_alu instid0(SALU_CYCLE_1)
	s_mov_b32 s2, exec_lo
	v_cmpx_eq_u32_e32 0, v0
	s_cbranch_execz .LBB248_18
; %bb.13:
	s_cmp_lg_u32 s3, 1
	s_cbranch_scc0 .LBB248_15
; %bb.14:
	s_load_b64 s[6:7], s[0:1], 0x30
	s_mul_hi_u32 s9, s3, s4
	s_mul_i32 s8, s3, s4
	s_mov_b32 s15, 0
	s_lshl_b64 s[2:3], s[8:9], 3
	s_waitcnt lgkmcnt(0)
	s_add_u32 s6, s6, s2
	s_addc_u32 s7, s7, s3
	s_lshl_b64 s[2:3], s[14:15], 3
	s_delay_alu instid0(SALU_CYCLE_1)
	s_add_u32 s2, s6, s2
	s_addc_u32 s3, s7, s3
	s_cbranch_execz .LBB248_16
	s_branch .LBB248_17
.LBB248_15:
                                        ; implicit-def: $sgpr2_sgpr3
.LBB248_16:
	s_load_b64 s[0:1], s[0:1], 0x38
	s_lshl_b64 s[2:3], s[4:5], 3
	s_waitcnt lgkmcnt(0)
	s_add_u32 s2, s0, s2
	s_addc_u32 s3, s1, s3
.LBB248_17:
	v_mov_b32_e32 v0, 0
	s_waitcnt lgkmcnt(0)
	global_store_b64 v0, v[1:2], s[2:3]
.LBB248_18:
	s_nop 0
	s_sendmsg sendmsg(MSG_DEALLOC_VGPRS)
	s_endpgm
	.section	.rodata,"a",@progbits
	.p2align	6, 0x0
	.amdhsa_kernel _ZL24rocblas_dot_kernel_magsqIiLb0ELi512ELi2ELb1E19rocblas_complex_numIfEPKPKS1_S1_EviT5_lT_liPT6_PT4_
		.amdhsa_group_segment_fixed_size 256
		.amdhsa_private_segment_fixed_size 0
		.amdhsa_kernarg_size 320
		.amdhsa_user_sgpr_count 14
		.amdhsa_user_sgpr_dispatch_ptr 0
		.amdhsa_user_sgpr_queue_ptr 0
		.amdhsa_user_sgpr_kernarg_segment_ptr 1
		.amdhsa_user_sgpr_dispatch_id 0
		.amdhsa_user_sgpr_private_segment_size 0
		.amdhsa_wavefront_size32 1
		.amdhsa_uses_dynamic_stack 0
		.amdhsa_enable_private_segment 0
		.amdhsa_system_sgpr_workgroup_id_x 1
		.amdhsa_system_sgpr_workgroup_id_y 0
		.amdhsa_system_sgpr_workgroup_id_z 1
		.amdhsa_system_sgpr_workgroup_info 0
		.amdhsa_system_vgpr_workitem_id 0
		.amdhsa_next_free_vgpr 11
		.amdhsa_next_free_sgpr 16
		.amdhsa_reserve_vcc 1
		.amdhsa_float_round_mode_32 0
		.amdhsa_float_round_mode_16_64 0
		.amdhsa_float_denorm_mode_32 3
		.amdhsa_float_denorm_mode_16_64 3
		.amdhsa_dx10_clamp 1
		.amdhsa_ieee_mode 1
		.amdhsa_fp16_overflow 0
		.amdhsa_workgroup_processor_mode 1
		.amdhsa_memory_ordered 1
		.amdhsa_forward_progress 0
		.amdhsa_shared_vgpr_count 0
		.amdhsa_exception_fp_ieee_invalid_op 0
		.amdhsa_exception_fp_denorm_src 0
		.amdhsa_exception_fp_ieee_div_zero 0
		.amdhsa_exception_fp_ieee_overflow 0
		.amdhsa_exception_fp_ieee_underflow 0
		.amdhsa_exception_fp_ieee_inexact 0
		.amdhsa_exception_int_div_zero 0
	.end_amdhsa_kernel
	.section	.text._ZL24rocblas_dot_kernel_magsqIiLb0ELi512ELi2ELb1E19rocblas_complex_numIfEPKPKS1_S1_EviT5_lT_liPT6_PT4_,"axG",@progbits,_ZL24rocblas_dot_kernel_magsqIiLb0ELi512ELi2ELb1E19rocblas_complex_numIfEPKPKS1_S1_EviT5_lT_liPT6_PT4_,comdat
.Lfunc_end248:
	.size	_ZL24rocblas_dot_kernel_magsqIiLb0ELi512ELi2ELb1E19rocblas_complex_numIfEPKPKS1_S1_EviT5_lT_liPT6_PT4_, .Lfunc_end248-_ZL24rocblas_dot_kernel_magsqIiLb0ELi512ELi2ELb1E19rocblas_complex_numIfEPKPKS1_S1_EviT5_lT_liPT6_PT4_
                                        ; -- End function
	.section	.AMDGPU.csdata,"",@progbits
; Kernel info:
; codeLenInByte = 1040
; NumSgprs: 18
; NumVgprs: 11
; ScratchSize: 0
; MemoryBound: 0
; FloatMode: 240
; IeeeMode: 1
; LDSByteSize: 256 bytes/workgroup (compile time only)
; SGPRBlocks: 2
; VGPRBlocks: 1
; NumSGPRsForWavesPerEU: 18
; NumVGPRsForWavesPerEU: 11
; Occupancy: 16
; WaveLimiterHint : 1
; COMPUTE_PGM_RSRC2:SCRATCH_EN: 0
; COMPUTE_PGM_RSRC2:USER_SGPR: 14
; COMPUTE_PGM_RSRC2:TRAP_HANDLER: 0
; COMPUTE_PGM_RSRC2:TGID_X_EN: 1
; COMPUTE_PGM_RSRC2:TGID_Y_EN: 0
; COMPUTE_PGM_RSRC2:TGID_Z_EN: 1
; COMPUTE_PGM_RSRC2:TIDIG_COMP_CNT: 0
	.section	.text._ZL28rocblas_dot_batched_4_kernelIlLi32ELi4ELb1E19rocblas_complex_numIfES1_PKPKS1_EviT5_lT_lS6_lS7_liPT4_,"axG",@progbits,_ZL28rocblas_dot_batched_4_kernelIlLi32ELi4ELb1E19rocblas_complex_numIfES1_PKPKS1_EviT5_lT_lS6_lS7_liPT4_,comdat
	.globl	_ZL28rocblas_dot_batched_4_kernelIlLi32ELi4ELb1E19rocblas_complex_numIfES1_PKPKS1_EviT5_lT_lS6_lS7_liPT4_ ; -- Begin function _ZL28rocblas_dot_batched_4_kernelIlLi32ELi4ELb1E19rocblas_complex_numIfES1_PKPKS1_EviT5_lT_lS6_lS7_liPT4_
	.p2align	8
	.type	_ZL28rocblas_dot_batched_4_kernelIlLi32ELi4ELb1E19rocblas_complex_numIfES1_PKPKS1_EviT5_lT_lS6_lS7_liPT4_,@function
_ZL28rocblas_dot_batched_4_kernelIlLi32ELi4ELb1E19rocblas_complex_numIfES1_PKPKS1_EviT5_lT_lS6_lS7_liPT4_: ; @_ZL28rocblas_dot_batched_4_kernelIlLi32ELi4ELb1E19rocblas_complex_numIfES1_PKPKS1_EviT5_lT_lS6_lS7_liPT4_
; %bb.0:
	s_load_b32 s2, s[0:1], 0x48
	v_bfe_u32 v1, v0, 10, 10
	s_delay_alu instid0(VALU_DEP_1) | instskip(SKIP_1) | instid1(VALU_DEP_1)
	v_lshl_add_u32 v1, s15, 2, v1
	s_waitcnt lgkmcnt(0)
	v_cmp_gt_u32_e32 vcc_lo, s2, v1
	s_and_saveexec_b32 s2, vcc_lo
	s_cbranch_execz .LBB249_7
; %bb.1:
	s_clause 0x1
	s_load_b32 s10, s[0:1], 0x0
	s_load_b64 s[8:9], s[0:1], 0x50
	v_dual_mov_b32 v2, 0 :: v_dual_and_b32 v7, 0x3ff, v0
	s_mov_b32 s11, exec_lo
	s_delay_alu instid0(VALU_DEP_1)
	v_lshlrev_b64 v[0:1], 3, v[1:2]
	v_mov_b32_e32 v8, v2
	s_waitcnt lgkmcnt(0)
	v_cmpx_gt_i32_e64 s10, v7
	s_cbranch_execz .LBB249_5
; %bb.2:
	s_clause 0x3
	s_load_b64 s[12:13], s[0:1], 0x28
	s_load_b64 s[14:15], s[0:1], 0x8
	s_load_b128 s[4:7], s[0:1], 0x10
	s_load_b128 s[0:3], s[0:1], 0x30
	s_waitcnt lgkmcnt(0)
	v_add_co_u32 v2, vcc_lo, s12, v0
	v_add_co_ci_u32_e32 v3, vcc_lo, s13, v1, vcc_lo
	v_add_co_u32 v4, vcc_lo, s14, v0
	v_add_co_ci_u32_e32 v5, vcc_lo, s15, v1, vcc_lo
	v_mad_u64_u32 v[12:13], null, s6, v7, 0
	global_load_b64 v[10:11], v[2:3], off
	global_load_b64 v[3:4], v[4:5], off
	v_mad_u64_u32 v[5:6], null, s2, v7, 0
	s_lshl_b64 s[0:1], s[0:1], 3
	s_lshl_b64 s[4:5], s[4:5], 3
	s_delay_alu instid0(VALU_DEP_1) | instskip(SKIP_1) | instid1(VALU_DEP_1)
	v_mov_b32_e32 v2, v6
	v_mov_b32_e32 v6, v13
	v_mad_u64_u32 v[13:14], null, s7, v7, v[6:7]
	s_delay_alu instid0(VALU_DEP_1) | instskip(SKIP_4) | instid1(VALU_DEP_2)
	v_lshlrev_b64 v[12:13], 3, v[12:13]
	s_waitcnt vmcnt(0)
	v_mad_u64_u32 v[8:9], null, s3, v7, v[2:3]
	v_dual_mov_b32 v9, v7 :: v_dual_mov_b32 v2, 0
	s_lshl_b64 s[2:3], s[2:3], 8
	v_mov_b32_e32 v6, v8
	s_delay_alu instid0(VALU_DEP_1) | instskip(NEXT) | instid1(VALU_DEP_1)
	v_lshlrev_b64 v[5:6], 3, v[5:6]
	v_add_co_u32 v5, vcc_lo, v5, s0
	s_delay_alu instid0(VALU_DEP_2) | instskip(SKIP_2) | instid1(VALU_DEP_4)
	v_add_co_ci_u32_e32 v6, vcc_lo, s1, v6, vcc_lo
	v_add_co_u32 v8, vcc_lo, v12, s4
	v_add_co_ci_u32_e32 v12, vcc_lo, s5, v13, vcc_lo
	v_add_co_u32 v5, vcc_lo, v5, v10
	s_delay_alu instid0(VALU_DEP_4) | instskip(NEXT) | instid1(VALU_DEP_4)
	v_add_co_ci_u32_e32 v6, vcc_lo, v6, v11, vcc_lo
	v_add_co_u32 v8, vcc_lo, v8, v3
	s_delay_alu instid0(VALU_DEP_4) | instskip(NEXT) | instid1(VALU_DEP_4)
	;; [unrolled: 3-line block ×3, first 2 shown]
	v_add_co_ci_u32_e32 v4, vcc_lo, 0, v6, vcc_lo
	v_add_co_u32 v5, vcc_lo, v8, 4
	s_delay_alu instid0(VALU_DEP_4)
	v_add_co_ci_u32_e32 v6, vcc_lo, 0, v10, vcc_lo
	v_mov_b32_e32 v8, 0
	s_lshl_b64 s[4:5], s[6:7], 8
	s_mov_b32 s1, 0
	.p2align	6
.LBB249_3:                              ; =>This Inner Loop Header: Depth=1
	global_load_b64 v[10:11], v[5:6], off offset:-4
	global_load_b64 v[12:13], v[3:4], off offset:-4
	v_add_co_u32 v3, vcc_lo, v3, s2
	v_add_co_ci_u32_e32 v4, vcc_lo, s3, v4, vcc_lo
	v_add_co_u32 v5, vcc_lo, v5, s4
	v_add_co_ci_u32_e32 v6, vcc_lo, s5, v6, vcc_lo
	s_waitcnt vmcnt(0)
	v_mul_f32_e32 v14, v11, v13
	s_delay_alu instid0(VALU_DEP_1) | instskip(SKIP_1) | instid1(VALU_DEP_2)
	v_dual_fmac_f32 v14, v10, v12 :: v_dual_add_nc_u32 v9, 32, v9
	v_mul_f32_e32 v11, v11, v12
	v_cmp_le_i32_e64 s0, s10, v9
	s_delay_alu instid0(VALU_DEP_3) | instskip(NEXT) | instid1(VALU_DEP_3)
	v_add_f32_e32 v2, v2, v14
	v_fma_f32 v10, v10, v13, -v11
	s_delay_alu instid0(VALU_DEP_3) | instskip(NEXT) | instid1(VALU_DEP_1)
	s_or_b32 s1, s0, s1
	v_add_f32_e32 v8, v8, v10
	s_and_not1_b32 exec_lo, exec_lo, s1
	s_cbranch_execnz .LBB249_3
; %bb.4:
	s_or_b32 exec_lo, exec_lo, s1
.LBB249_5:
	s_delay_alu instid0(SALU_CYCLE_1)
	s_or_b32 exec_lo, exec_lo, s11
	v_mbcnt_lo_u32_b32 v3, -1, 0
	s_barrier
	buffer_gl0_inv
	v_cmp_gt_u32_e32 vcc_lo, 16, v3
	v_cndmask_b32_e64 v4, 0, 1, vcc_lo
	v_cmp_gt_u32_e32 vcc_lo, 24, v3
	s_delay_alu instid0(VALU_DEP_2) | instskip(SKIP_2) | instid1(VALU_DEP_3)
	v_lshlrev_b32_e32 v4, 4, v4
	v_cndmask_b32_e64 v6, 0, 1, vcc_lo
	v_cmp_gt_u32_e32 vcc_lo, 28, v3
	v_add_lshl_u32 v4, v4, v3, 2
	s_delay_alu instid0(VALU_DEP_3)
	v_lshlrev_b32_e32 v6, 3, v6
	ds_bpermute_b32 v5, v4, v2
	ds_bpermute_b32 v4, v4, v8
	v_add_lshl_u32 v6, v6, v3, 2
	s_waitcnt lgkmcnt(1)
	v_add_f32_e32 v2, v2, v5
	s_waitcnt lgkmcnt(0)
	v_add_f32_e32 v4, v8, v4
	v_cndmask_b32_e64 v8, 0, 1, vcc_lo
	v_cmp_gt_u32_e32 vcc_lo, 30, v3
	ds_bpermute_b32 v5, v6, v2
	ds_bpermute_b32 v6, v6, v4
	v_lshlrev_b32_e32 v8, 2, v8
	s_delay_alu instid0(VALU_DEP_1)
	v_add_lshl_u32 v8, v8, v3, 2
	s_waitcnt lgkmcnt(1)
	v_add_f32_e32 v2, v2, v5
	s_waitcnt lgkmcnt(0)
	v_add_f32_e32 v4, v4, v6
	ds_bpermute_b32 v5, v8, v2
	ds_bpermute_b32 v6, v8, v4
	v_cndmask_b32_e64 v8, 0, 1, vcc_lo
	v_cmp_ne_u32_e32 vcc_lo, 31, v3
	s_delay_alu instid0(VALU_DEP_2) | instskip(NEXT) | instid1(VALU_DEP_1)
	v_lshlrev_b32_e32 v8, 1, v8
	v_add_lshl_u32 v8, v8, v3, 2
	v_add_co_ci_u32_e32 v3, vcc_lo, 0, v3, vcc_lo
	v_cmp_eq_u32_e32 vcc_lo, 0, v7
	s_waitcnt lgkmcnt(1)
	v_add_f32_e32 v2, v2, v5
	s_waitcnt lgkmcnt(0)
	v_add_f32_e32 v4, v4, v6
	ds_bpermute_b32 v5, v8, v2
	ds_bpermute_b32 v6, v8, v4
	v_lshlrev_b32_e32 v8, 2, v3
	s_waitcnt lgkmcnt(0)
	v_dual_add_f32 v2, v2, v5 :: v_dual_add_f32 v3, v4, v6
	ds_bpermute_b32 v4, v8, v2
	ds_bpermute_b32 v5, v8, v3
	s_and_b32 exec_lo, exec_lo, vcc_lo
	s_cbranch_execz .LBB249_7
; %bb.6:
	v_add_co_u32 v0, vcc_lo, s8, v0
	v_add_co_ci_u32_e32 v1, vcc_lo, s9, v1, vcc_lo
	s_waitcnt lgkmcnt(0)
	v_dual_add_f32 v3, v3, v5 :: v_dual_add_f32 v2, v2, v4
	global_store_b64 v[0:1], v[2:3], off
.LBB249_7:
	s_nop 0
	s_sendmsg sendmsg(MSG_DEALLOC_VGPRS)
	s_endpgm
	.section	.rodata,"a",@progbits
	.p2align	6, 0x0
	.amdhsa_kernel _ZL28rocblas_dot_batched_4_kernelIlLi32ELi4ELb1E19rocblas_complex_numIfES1_PKPKS1_EviT5_lT_lS6_lS7_liPT4_
		.amdhsa_group_segment_fixed_size 0
		.amdhsa_private_segment_fixed_size 0
		.amdhsa_kernarg_size 88
		.amdhsa_user_sgpr_count 15
		.amdhsa_user_sgpr_dispatch_ptr 0
		.amdhsa_user_sgpr_queue_ptr 0
		.amdhsa_user_sgpr_kernarg_segment_ptr 1
		.amdhsa_user_sgpr_dispatch_id 0
		.amdhsa_user_sgpr_private_segment_size 0
		.amdhsa_wavefront_size32 1
		.amdhsa_uses_dynamic_stack 0
		.amdhsa_enable_private_segment 0
		.amdhsa_system_sgpr_workgroup_id_x 1
		.amdhsa_system_sgpr_workgroup_id_y 0
		.amdhsa_system_sgpr_workgroup_id_z 0
		.amdhsa_system_sgpr_workgroup_info 0
		.amdhsa_system_vgpr_workitem_id 1
		.amdhsa_next_free_vgpr 15
		.amdhsa_next_free_sgpr 16
		.amdhsa_reserve_vcc 1
		.amdhsa_float_round_mode_32 0
		.amdhsa_float_round_mode_16_64 0
		.amdhsa_float_denorm_mode_32 3
		.amdhsa_float_denorm_mode_16_64 3
		.amdhsa_dx10_clamp 1
		.amdhsa_ieee_mode 1
		.amdhsa_fp16_overflow 0
		.amdhsa_workgroup_processor_mode 1
		.amdhsa_memory_ordered 1
		.amdhsa_forward_progress 0
		.amdhsa_shared_vgpr_count 0
		.amdhsa_exception_fp_ieee_invalid_op 0
		.amdhsa_exception_fp_denorm_src 0
		.amdhsa_exception_fp_ieee_div_zero 0
		.amdhsa_exception_fp_ieee_overflow 0
		.amdhsa_exception_fp_ieee_underflow 0
		.amdhsa_exception_fp_ieee_inexact 0
		.amdhsa_exception_int_div_zero 0
	.end_amdhsa_kernel
	.section	.text._ZL28rocblas_dot_batched_4_kernelIlLi32ELi4ELb1E19rocblas_complex_numIfES1_PKPKS1_EviT5_lT_lS6_lS7_liPT4_,"axG",@progbits,_ZL28rocblas_dot_batched_4_kernelIlLi32ELi4ELb1E19rocblas_complex_numIfES1_PKPKS1_EviT5_lT_lS6_lS7_liPT4_,comdat
.Lfunc_end249:
	.size	_ZL28rocblas_dot_batched_4_kernelIlLi32ELi4ELb1E19rocblas_complex_numIfES1_PKPKS1_EviT5_lT_lS6_lS7_liPT4_, .Lfunc_end249-_ZL28rocblas_dot_batched_4_kernelIlLi32ELi4ELb1E19rocblas_complex_numIfES1_PKPKS1_EviT5_lT_lS6_lS7_liPT4_
                                        ; -- End function
	.section	.AMDGPU.csdata,"",@progbits
; Kernel info:
; codeLenInByte = 852
; NumSgprs: 18
; NumVgprs: 15
; ScratchSize: 0
; MemoryBound: 0
; FloatMode: 240
; IeeeMode: 1
; LDSByteSize: 0 bytes/workgroup (compile time only)
; SGPRBlocks: 2
; VGPRBlocks: 1
; NumSGPRsForWavesPerEU: 18
; NumVGPRsForWavesPerEU: 15
; Occupancy: 16
; WaveLimiterHint : 0
; COMPUTE_PGM_RSRC2:SCRATCH_EN: 0
; COMPUTE_PGM_RSRC2:USER_SGPR: 15
; COMPUTE_PGM_RSRC2:TRAP_HANDLER: 0
; COMPUTE_PGM_RSRC2:TGID_X_EN: 1
; COMPUTE_PGM_RSRC2:TGID_Y_EN: 0
; COMPUTE_PGM_RSRC2:TGID_Z_EN: 0
; COMPUTE_PGM_RSRC2:TIDIG_COMP_CNT: 1
	.section	.text._ZL28rocblas_dot_batched_4_kernelIlLi64ELi4ELb1E19rocblas_complex_numIfES1_PKPKS1_EviT5_lT_lS6_lS7_liPT4_,"axG",@progbits,_ZL28rocblas_dot_batched_4_kernelIlLi64ELi4ELb1E19rocblas_complex_numIfES1_PKPKS1_EviT5_lT_lS6_lS7_liPT4_,comdat
	.globl	_ZL28rocblas_dot_batched_4_kernelIlLi64ELi4ELb1E19rocblas_complex_numIfES1_PKPKS1_EviT5_lT_lS6_lS7_liPT4_ ; -- Begin function _ZL28rocblas_dot_batched_4_kernelIlLi64ELi4ELb1E19rocblas_complex_numIfES1_PKPKS1_EviT5_lT_lS6_lS7_liPT4_
	.p2align	8
	.type	_ZL28rocblas_dot_batched_4_kernelIlLi64ELi4ELb1E19rocblas_complex_numIfES1_PKPKS1_EviT5_lT_lS6_lS7_liPT4_,@function
_ZL28rocblas_dot_batched_4_kernelIlLi64ELi4ELb1E19rocblas_complex_numIfES1_PKPKS1_EviT5_lT_lS6_lS7_liPT4_: ; @_ZL28rocblas_dot_batched_4_kernelIlLi64ELi4ELb1E19rocblas_complex_numIfES1_PKPKS1_EviT5_lT_lS6_lS7_liPT4_
; %bb.0:
	s_load_b32 s2, s[0:1], 0x48
	v_bfe_u32 v1, v0, 10, 10
	s_delay_alu instid0(VALU_DEP_1) | instskip(SKIP_1) | instid1(VALU_DEP_1)
	v_lshl_add_u32 v1, s15, 2, v1
	s_waitcnt lgkmcnt(0)
	v_cmp_gt_u32_e32 vcc_lo, s2, v1
	s_and_saveexec_b32 s2, vcc_lo
	s_cbranch_execz .LBB250_7
; %bb.1:
	s_clause 0x1
	s_load_b32 s10, s[0:1], 0x0
	s_load_b64 s[8:9], s[0:1], 0x50
	v_dual_mov_b32 v2, 0 :: v_dual_and_b32 v7, 0x3ff, v0
	s_mov_b32 s11, exec_lo
	s_delay_alu instid0(VALU_DEP_1)
	v_lshlrev_b64 v[0:1], 3, v[1:2]
	v_mov_b32_e32 v8, v2
	s_waitcnt lgkmcnt(0)
	v_cmpx_gt_i32_e64 s10, v7
	s_cbranch_execz .LBB250_5
; %bb.2:
	s_clause 0x3
	s_load_b64 s[12:13], s[0:1], 0x28
	s_load_b64 s[14:15], s[0:1], 0x8
	s_load_b128 s[4:7], s[0:1], 0x10
	s_load_b128 s[0:3], s[0:1], 0x30
	s_waitcnt lgkmcnt(0)
	v_add_co_u32 v2, vcc_lo, s12, v0
	v_add_co_ci_u32_e32 v3, vcc_lo, s13, v1, vcc_lo
	v_add_co_u32 v4, vcc_lo, s14, v0
	v_add_co_ci_u32_e32 v5, vcc_lo, s15, v1, vcc_lo
	v_mad_u64_u32 v[12:13], null, s6, v7, 0
	global_load_b64 v[10:11], v[2:3], off
	global_load_b64 v[3:4], v[4:5], off
	v_mad_u64_u32 v[5:6], null, s2, v7, 0
	s_lshl_b64 s[0:1], s[0:1], 3
	s_lshl_b64 s[4:5], s[4:5], 3
	s_delay_alu instid0(VALU_DEP_1) | instskip(SKIP_1) | instid1(VALU_DEP_1)
	v_mov_b32_e32 v2, v6
	v_mov_b32_e32 v6, v13
	v_mad_u64_u32 v[13:14], null, s7, v7, v[6:7]
	s_delay_alu instid0(VALU_DEP_1) | instskip(SKIP_4) | instid1(VALU_DEP_2)
	v_lshlrev_b64 v[12:13], 3, v[12:13]
	s_waitcnt vmcnt(0)
	v_mad_u64_u32 v[8:9], null, s3, v7, v[2:3]
	v_dual_mov_b32 v9, v7 :: v_dual_mov_b32 v2, 0
	s_lshl_b64 s[2:3], s[2:3], 9
	v_mov_b32_e32 v6, v8
	s_delay_alu instid0(VALU_DEP_1) | instskip(NEXT) | instid1(VALU_DEP_1)
	v_lshlrev_b64 v[5:6], 3, v[5:6]
	v_add_co_u32 v5, vcc_lo, v5, s0
	s_delay_alu instid0(VALU_DEP_2) | instskip(SKIP_2) | instid1(VALU_DEP_4)
	v_add_co_ci_u32_e32 v6, vcc_lo, s1, v6, vcc_lo
	v_add_co_u32 v8, vcc_lo, v12, s4
	v_add_co_ci_u32_e32 v12, vcc_lo, s5, v13, vcc_lo
	v_add_co_u32 v5, vcc_lo, v5, v10
	s_delay_alu instid0(VALU_DEP_4) | instskip(NEXT) | instid1(VALU_DEP_4)
	v_add_co_ci_u32_e32 v6, vcc_lo, v6, v11, vcc_lo
	v_add_co_u32 v8, vcc_lo, v8, v3
	s_delay_alu instid0(VALU_DEP_4) | instskip(NEXT) | instid1(VALU_DEP_4)
	;; [unrolled: 3-line block ×3, first 2 shown]
	v_add_co_ci_u32_e32 v4, vcc_lo, 0, v6, vcc_lo
	v_add_co_u32 v5, vcc_lo, v8, 4
	s_delay_alu instid0(VALU_DEP_4)
	v_add_co_ci_u32_e32 v6, vcc_lo, 0, v10, vcc_lo
	v_mov_b32_e32 v8, 0
	s_lshl_b64 s[4:5], s[6:7], 9
	s_mov_b32 s1, 0
	.p2align	6
.LBB250_3:                              ; =>This Inner Loop Header: Depth=1
	global_load_b64 v[10:11], v[5:6], off offset:-4
	global_load_b64 v[12:13], v[3:4], off offset:-4
	v_add_co_u32 v3, vcc_lo, v3, s2
	v_add_co_ci_u32_e32 v4, vcc_lo, s3, v4, vcc_lo
	v_add_co_u32 v5, vcc_lo, v5, s4
	v_add_co_ci_u32_e32 v6, vcc_lo, s5, v6, vcc_lo
	s_waitcnt vmcnt(0)
	v_mul_f32_e32 v14, v11, v13
	s_delay_alu instid0(VALU_DEP_1) | instskip(SKIP_1) | instid1(VALU_DEP_2)
	v_dual_fmac_f32 v14, v10, v12 :: v_dual_add_nc_u32 v9, 64, v9
	v_mul_f32_e32 v11, v11, v12
	v_cmp_le_i32_e64 s0, s10, v9
	s_delay_alu instid0(VALU_DEP_3) | instskip(NEXT) | instid1(VALU_DEP_3)
	v_add_f32_e32 v2, v2, v14
	v_fma_f32 v10, v10, v13, -v11
	s_delay_alu instid0(VALU_DEP_3) | instskip(NEXT) | instid1(VALU_DEP_1)
	s_or_b32 s1, s0, s1
	v_add_f32_e32 v8, v8, v10
	s_and_not1_b32 exec_lo, exec_lo, s1
	s_cbranch_execnz .LBB250_3
; %bb.4:
	s_or_b32 exec_lo, exec_lo, s1
.LBB250_5:
	s_delay_alu instid0(SALU_CYCLE_1)
	s_or_b32 exec_lo, exec_lo, s11
	v_mbcnt_lo_u32_b32 v3, -1, 0
	s_barrier
	buffer_gl0_inv
	v_lshlrev_b32_e32 v4, 2, v3
	v_cmp_gt_u32_e32 vcc_lo, 16, v3
	ds_bpermute_b32 v5, v4, v2
	ds_bpermute_b32 v4, v4, v8
	v_cndmask_b32_e64 v6, 0, 1, vcc_lo
	v_cmp_gt_u32_e32 vcc_lo, 24, v3
	s_delay_alu instid0(VALU_DEP_2) | instskip(NEXT) | instid1(VALU_DEP_1)
	v_lshlrev_b32_e32 v6, 4, v6
	v_add_lshl_u32 v6, v6, v3, 2
	s_waitcnt lgkmcnt(1)
	v_add_f32_e32 v2, v2, v5
	s_waitcnt lgkmcnt(0)
	v_add_f32_e32 v4, v8, v4
	v_cndmask_b32_e64 v8, 0, 1, vcc_lo
	v_cmp_gt_u32_e32 vcc_lo, 28, v3
	ds_bpermute_b32 v5, v6, v2
	ds_bpermute_b32 v6, v6, v4
	v_lshlrev_b32_e32 v8, 3, v8
	s_delay_alu instid0(VALU_DEP_1)
	v_add_lshl_u32 v8, v8, v3, 2
	s_waitcnt lgkmcnt(1)
	v_add_f32_e32 v2, v2, v5
	s_waitcnt lgkmcnt(0)
	v_add_f32_e32 v4, v4, v6
	ds_bpermute_b32 v5, v8, v2
	ds_bpermute_b32 v6, v8, v4
	v_cndmask_b32_e64 v8, 0, 1, vcc_lo
	v_cmp_gt_u32_e32 vcc_lo, 30, v3
	s_delay_alu instid0(VALU_DEP_2) | instskip(NEXT) | instid1(VALU_DEP_1)
	v_lshlrev_b32_e32 v8, 2, v8
	v_add_lshl_u32 v8, v8, v3, 2
	s_waitcnt lgkmcnt(1)
	v_add_f32_e32 v2, v2, v5
	s_waitcnt lgkmcnt(0)
	v_add_f32_e32 v4, v4, v6
	ds_bpermute_b32 v5, v8, v2
	ds_bpermute_b32 v6, v8, v4
	v_cndmask_b32_e64 v8, 0, 1, vcc_lo
	v_cmp_ne_u32_e32 vcc_lo, 31, v3
	s_delay_alu instid0(VALU_DEP_2) | instskip(NEXT) | instid1(VALU_DEP_1)
	v_lshlrev_b32_e32 v8, 1, v8
	v_add_lshl_u32 v8, v8, v3, 2
	v_add_co_ci_u32_e32 v3, vcc_lo, 0, v3, vcc_lo
	v_cmp_eq_u32_e32 vcc_lo, 0, v7
	s_waitcnt lgkmcnt(1)
	v_add_f32_e32 v2, v2, v5
	s_waitcnt lgkmcnt(0)
	v_add_f32_e32 v4, v4, v6
	ds_bpermute_b32 v5, v8, v2
	ds_bpermute_b32 v6, v8, v4
	v_lshlrev_b32_e32 v8, 2, v3
	s_waitcnt lgkmcnt(0)
	v_dual_add_f32 v2, v2, v5 :: v_dual_add_f32 v3, v4, v6
	ds_bpermute_b32 v4, v8, v2
	ds_bpermute_b32 v5, v8, v3
	s_and_b32 exec_lo, exec_lo, vcc_lo
	s_cbranch_execz .LBB250_7
; %bb.6:
	v_add_co_u32 v0, vcc_lo, s8, v0
	v_add_co_ci_u32_e32 v1, vcc_lo, s9, v1, vcc_lo
	s_waitcnt lgkmcnt(0)
	v_dual_add_f32 v3, v3, v5 :: v_dual_add_f32 v2, v2, v4
	global_store_b64 v[0:1], v[2:3], off
.LBB250_7:
	s_nop 0
	s_sendmsg sendmsg(MSG_DEALLOC_VGPRS)
	s_endpgm
	.section	.rodata,"a",@progbits
	.p2align	6, 0x0
	.amdhsa_kernel _ZL28rocblas_dot_batched_4_kernelIlLi64ELi4ELb1E19rocblas_complex_numIfES1_PKPKS1_EviT5_lT_lS6_lS7_liPT4_
		.amdhsa_group_segment_fixed_size 0
		.amdhsa_private_segment_fixed_size 0
		.amdhsa_kernarg_size 88
		.amdhsa_user_sgpr_count 15
		.amdhsa_user_sgpr_dispatch_ptr 0
		.amdhsa_user_sgpr_queue_ptr 0
		.amdhsa_user_sgpr_kernarg_segment_ptr 1
		.amdhsa_user_sgpr_dispatch_id 0
		.amdhsa_user_sgpr_private_segment_size 0
		.amdhsa_wavefront_size32 1
		.amdhsa_uses_dynamic_stack 0
		.amdhsa_enable_private_segment 0
		.amdhsa_system_sgpr_workgroup_id_x 1
		.amdhsa_system_sgpr_workgroup_id_y 0
		.amdhsa_system_sgpr_workgroup_id_z 0
		.amdhsa_system_sgpr_workgroup_info 0
		.amdhsa_system_vgpr_workitem_id 1
		.amdhsa_next_free_vgpr 15
		.amdhsa_next_free_sgpr 16
		.amdhsa_reserve_vcc 1
		.amdhsa_float_round_mode_32 0
		.amdhsa_float_round_mode_16_64 0
		.amdhsa_float_denorm_mode_32 3
		.amdhsa_float_denorm_mode_16_64 3
		.amdhsa_dx10_clamp 1
		.amdhsa_ieee_mode 1
		.amdhsa_fp16_overflow 0
		.amdhsa_workgroup_processor_mode 1
		.amdhsa_memory_ordered 1
		.amdhsa_forward_progress 0
		.amdhsa_shared_vgpr_count 0
		.amdhsa_exception_fp_ieee_invalid_op 0
		.amdhsa_exception_fp_denorm_src 0
		.amdhsa_exception_fp_ieee_div_zero 0
		.amdhsa_exception_fp_ieee_overflow 0
		.amdhsa_exception_fp_ieee_underflow 0
		.amdhsa_exception_fp_ieee_inexact 0
		.amdhsa_exception_int_div_zero 0
	.end_amdhsa_kernel
	.section	.text._ZL28rocblas_dot_batched_4_kernelIlLi64ELi4ELb1E19rocblas_complex_numIfES1_PKPKS1_EviT5_lT_lS6_lS7_liPT4_,"axG",@progbits,_ZL28rocblas_dot_batched_4_kernelIlLi64ELi4ELb1E19rocblas_complex_numIfES1_PKPKS1_EviT5_lT_lS6_lS7_liPT4_,comdat
.Lfunc_end250:
	.size	_ZL28rocblas_dot_batched_4_kernelIlLi64ELi4ELb1E19rocblas_complex_numIfES1_PKPKS1_EviT5_lT_lS6_lS7_liPT4_, .Lfunc_end250-_ZL28rocblas_dot_batched_4_kernelIlLi64ELi4ELb1E19rocblas_complex_numIfES1_PKPKS1_EviT5_lT_lS6_lS7_liPT4_
                                        ; -- End function
	.section	.AMDGPU.csdata,"",@progbits
; Kernel info:
; codeLenInByte = 888
; NumSgprs: 18
; NumVgprs: 15
; ScratchSize: 0
; MemoryBound: 0
; FloatMode: 240
; IeeeMode: 1
; LDSByteSize: 0 bytes/workgroup (compile time only)
; SGPRBlocks: 2
; VGPRBlocks: 1
; NumSGPRsForWavesPerEU: 18
; NumVGPRsForWavesPerEU: 15
; Occupancy: 16
; WaveLimiterHint : 0
; COMPUTE_PGM_RSRC2:SCRATCH_EN: 0
; COMPUTE_PGM_RSRC2:USER_SGPR: 15
; COMPUTE_PGM_RSRC2:TRAP_HANDLER: 0
; COMPUTE_PGM_RSRC2:TGID_X_EN: 1
; COMPUTE_PGM_RSRC2:TGID_Y_EN: 0
; COMPUTE_PGM_RSRC2:TGID_Z_EN: 0
; COMPUTE_PGM_RSRC2:TIDIG_COMP_CNT: 1
	.section	.text._ZL18rocblas_dot_kernelIlLb1ELi1024ELi32ELb1E19rocblas_complex_numIfEPKPKS1_S1_EviT5_lT_lS6_lS7_liPT6_PT4_,"axG",@progbits,_ZL18rocblas_dot_kernelIlLb1ELi1024ELi32ELb1E19rocblas_complex_numIfEPKPKS1_S1_EviT5_lT_lS6_lS7_liPT6_PT4_,comdat
	.globl	_ZL18rocblas_dot_kernelIlLb1ELi1024ELi32ELb1E19rocblas_complex_numIfEPKPKS1_S1_EviT5_lT_lS6_lS7_liPT6_PT4_ ; -- Begin function _ZL18rocblas_dot_kernelIlLb1ELi1024ELi32ELb1E19rocblas_complex_numIfEPKPKS1_S1_EviT5_lT_lS6_lS7_liPT6_PT4_
	.p2align	8
	.type	_ZL18rocblas_dot_kernelIlLb1ELi1024ELi32ELb1E19rocblas_complex_numIfEPKPKS1_S1_EviT5_lT_lS6_lS7_liPT6_PT4_,@function
_ZL18rocblas_dot_kernelIlLb1ELi1024ELi32ELb1E19rocblas_complex_numIfEPKPKS1_S1_EviT5_lT_lS6_lS7_liPT6_PT4_: ; @_ZL18rocblas_dot_kernelIlLb1ELi1024ELi32ELb1E19rocblas_complex_numIfEPKPKS1_S1_EviT5_lT_lS6_lS7_liPT6_PT4_
; %bb.0:
	s_clause 0x1
	s_load_b32 s14, s[0:1], 0x0
	s_load_b64 s[2:3], s[0:1], 0x58
	v_dual_mov_b32 v5, 0 :: v_dual_mov_b32 v6, 0
	s_mov_b32 s12, s15
	s_mov_b32 s13, 0
	s_mov_b32 s15, exec_lo
	s_waitcnt lgkmcnt(0)
	v_cmpx_gt_i32_e64 s14, v0
	s_cbranch_execz .LBB251_4
; %bb.1:
	s_clause 0x4
	s_load_b64 s[16:17], s[0:1], 0x8
	s_load_b128 s[8:11], s[0:1], 0x10
	s_load_b128 s[4:7], s[0:1], 0x30
	s_load_b64 s[18:19], s[0:1], 0x28
	s_load_b32 s20, s[0:1], 0x60
	s_lshl_b64 s[0:1], s[12:13], 3
	s_waitcnt lgkmcnt(0)
	s_add_u32 s16, s16, s0
	v_mad_u64_u32 v[1:2], null, s10, v0, 0
	v_mad_u64_u32 v[3:4], null, s6, v0, 0
	s_addc_u32 s17, s17, s1
	s_add_u32 s18, s18, s0
	s_load_b64 s[16:17], s[16:17], 0x0
	s_addc_u32 s19, s19, s1
	s_lshl_b64 s[8:9], s[8:9], 3
	s_load_b64 s[18:19], s[18:19], 0x0
	s_delay_alu instid0(VALU_DEP_1) | instskip(SKIP_1) | instid1(SALU_CYCLE_1)
	v_mad_u64_u32 v[5:6], null, s11, v0, v[2:3]
	s_lshl_b32 s1, s20, 10
	s_mul_hi_u32 s0, s10, s1
	s_mul_i32 s11, s11, s1
	s_mul_i32 s20, s10, s1
	s_mul_hi_u32 s22, s6, s1
	s_delay_alu instid0(VALU_DEP_1) | instskip(SKIP_3) | instid1(VALU_DEP_2)
	v_mad_u64_u32 v[6:7], null, s7, v0, v[4:5]
	v_mov_b32_e32 v2, v5
	s_mul_i32 s7, s7, s1
	v_or_b32_e32 v7, s1, v0
	v_lshlrev_b64 v[1:2], 3, v[1:2]
	s_waitcnt lgkmcnt(0)
	s_add_u32 s16, s16, s8
	s_delay_alu instid0(VALU_DEP_4)
	v_mov_b32_e32 v4, v6
	s_addc_u32 s17, s17, s9
	s_ashr_i32 s21, s1, 31
	s_lshl_b64 s[8:9], s[4:5], 3
	s_mul_i32 s4, s10, s21
	v_lshlrev_b64 v[3:4], 3, v[3:4]
	s_add_i32 s0, s0, s4
	s_mul_i32 s10, s6, s21
	s_add_i32 s21, s0, s11
	v_add_co_u32 v5, vcc_lo, s16, v1
	s_lshl_b64 s[4:5], s[20:21], 3
	s_add_u32 s0, s18, s8
	v_add_co_ci_u32_e32 v6, vcc_lo, s17, v2, vcc_lo
	s_addc_u32 s8, s19, s9
	v_add_co_u32 v1, vcc_lo, s0, v3
	v_add_co_ci_u32_e32 v2, vcc_lo, s8, v4, vcc_lo
	v_add_co_u32 v3, vcc_lo, v5, 4
	v_mov_b32_e32 v5, 0
	s_add_i32 s9, s22, s10
	v_add_co_ci_u32_e32 v4, vcc_lo, 0, v6, vcc_lo
	v_mov_b32_e32 v6, 0
	s_add_i32 s7, s9, s7
	s_mul_i32 s6, s6, s1
	s_mov_b32 s8, s13
	s_lshl_b64 s[6:7], s[6:7], 3
	s_mov_b32 s9, s13
	.p2align	6
.LBB251_2:                              ; =>This Inner Loop Header: Depth=1
	global_load_b64 v[8:9], v[1:2], off
	global_load_b64 v[10:11], v[3:4], off offset:-4
	v_cmp_le_i32_e32 vcc_lo, s14, v7
	v_add_nc_u32_e32 v7, s1, v7
	v_add_co_u32 v3, s0, v3, s4
	s_delay_alu instid0(VALU_DEP_1)
	v_add_co_ci_u32_e64 v4, s0, s5, v4, s0
	s_add_i32 s10, s9, 1
	v_add_co_u32 v1, s0, v1, s6
	s_cmp_gt_u32 s9, 30
	v_add_co_ci_u32_e64 v2, s0, s7, v2, s0
	s_cselect_b32 s0, -1, 0
	s_mov_b32 s9, s10
	s_or_b32 s0, s0, vcc_lo
	s_delay_alu instid0(SALU_CYCLE_1) | instskip(NEXT) | instid1(SALU_CYCLE_1)
	s_and_b32 s0, exec_lo, s0
	s_or_b32 s8, s0, s8
	s_waitcnt vmcnt(0)
	v_mul_f32_e32 v12, v11, v9
	v_mul_f32_e32 v11, v11, v8
	s_delay_alu instid0(VALU_DEP_2) | instskip(NEXT) | instid1(VALU_DEP_2)
	v_fmac_f32_e32 v12, v10, v8
	v_fma_f32 v8, v10, v9, -v11
	s_delay_alu instid0(VALU_DEP_2) | instskip(NEXT) | instid1(VALU_DEP_2)
	v_add_f32_e32 v6, v6, v12
	v_add_f32_e32 v5, v5, v8
	s_and_not1_b32 exec_lo, exec_lo, s8
	s_cbranch_execnz .LBB251_2
; %bb.3:
	s_or_b32 exec_lo, exec_lo, s8
.LBB251_4:
	s_delay_alu instid0(SALU_CYCLE_1) | instskip(SKIP_2) | instid1(VALU_DEP_2)
	s_or_b32 exec_lo, exec_lo, s15
	v_and_b32_e32 v1, 31, v0
	v_cmp_gt_u32_e32 vcc_lo, 32, v0
	v_lshlrev_b32_e32 v3, 3, v1
	s_and_saveexec_b32 s0, vcc_lo
	s_cbranch_execz .LBB251_6
; %bb.5:
	v_mov_b32_e32 v7, 0
	s_delay_alu instid0(VALU_DEP_1)
	v_mov_b32_e32 v8, v7
	ds_store_b64 v3, v[7:8]
.LBB251_6:
	s_or_b32 exec_lo, exec_lo, s0
	v_mbcnt_lo_u32_b32 v2, -1, 0
	s_mov_b32 s1, exec_lo
	s_waitcnt lgkmcnt(0)
	s_barrier
	buffer_gl0_inv
	v_cmp_gt_u32_e64 s0, 16, v2
	s_delay_alu instid0(VALU_DEP_1) | instskip(SKIP_1) | instid1(VALU_DEP_2)
	v_cndmask_b32_e64 v4, 0, 1, s0
	v_cmp_gt_u32_e64 s0, 24, v2
	v_lshlrev_b32_e32 v4, 4, v4
	s_delay_alu instid0(VALU_DEP_2) | instskip(SKIP_1) | instid1(VALU_DEP_3)
	v_cndmask_b32_e64 v7, 0, 1, s0
	v_cmp_gt_u32_e64 s0, 28, v2
	v_add_lshl_u32 v4, v4, v2, 2
	ds_bpermute_b32 v8, v4, v6
	ds_bpermute_b32 v9, v4, v5
	s_waitcnt lgkmcnt(1)
	v_dual_add_f32 v6, v6, v8 :: v_dual_lshlrev_b32 v7, 3, v7
	s_delay_alu instid0(VALU_DEP_1)
	v_add_lshl_u32 v7, v7, v2, 2
	s_waitcnt lgkmcnt(0)
	v_add_f32_e32 v8, v5, v9
	v_cndmask_b32_e64 v5, 0, 1, s0
	v_cmp_gt_u32_e64 s0, 30, v2
	ds_bpermute_b32 v9, v7, v6
	ds_bpermute_b32 v10, v7, v8
	v_lshlrev_b32_e32 v5, 2, v5
	s_waitcnt lgkmcnt(0)
	v_dual_add_f32 v9, v6, v9 :: v_dual_add_f32 v8, v8, v10
	s_delay_alu instid0(VALU_DEP_2)
	v_add_lshl_u32 v5, v5, v2, 2
	v_cndmask_b32_e64 v6, 0, 1, s0
	v_cmp_ne_u32_e64 s0, 31, v2
	ds_bpermute_b32 v10, v5, v9
	ds_bpermute_b32 v11, v5, v8
	v_lshlrev_b32_e32 v6, 1, v6
	s_delay_alu instid0(VALU_DEP_1) | instskip(SKIP_3) | instid1(VALU_DEP_2)
	v_add_lshl_u32 v6, v6, v2, 2
	v_add_co_ci_u32_e64 v2, s0, 0, v2, s0
	s_waitcnt lgkmcnt(0)
	v_dual_add_f32 v9, v9, v10 :: v_dual_add_f32 v10, v8, v11
	v_lshlrev_b32_e32 v8, 2, v2
	ds_bpermute_b32 v11, v6, v9
	ds_bpermute_b32 v12, v6, v10
	s_waitcnt lgkmcnt(0)
	v_dual_add_f32 v2, v9, v11 :: v_dual_add_f32 v9, v10, v12
	ds_bpermute_b32 v10, v8, v2
	ds_bpermute_b32 v11, v8, v9
	v_cmpx_eq_u32_e32 0, v1
	s_cbranch_execz .LBB251_8
; %bb.7:
	v_lshrrev_b32_e32 v12, 2, v0
	s_waitcnt lgkmcnt(0)
	v_dual_add_f32 v1, v2, v10 :: v_dual_add_f32 v2, v9, v11
	s_delay_alu instid0(VALU_DEP_2)
	v_and_b32_e32 v9, 0xf8, v12
	ds_store_b64 v9, v[1:2]
.LBB251_8:
	s_or_b32 exec_lo, exec_lo, s1
	v_dual_mov_b32 v2, 0 :: v_dual_mov_b32 v1, 0
	s_waitcnt lgkmcnt(0)
	s_barrier
	buffer_gl0_inv
	s_and_saveexec_b32 s0, vcc_lo
	s_cbranch_execz .LBB251_10
; %bb.9:
	ds_load_b64 v[1:2], v3
.LBB251_10:
	s_or_b32 exec_lo, exec_lo, s0
	s_and_saveexec_b32 s0, vcc_lo
	s_cbranch_execz .LBB251_12
; %bb.11:
	s_waitcnt lgkmcnt(0)
	ds_bpermute_b32 v3, v4, v1
	ds_bpermute_b32 v4, v4, v2
	s_waitcnt lgkmcnt(0)
	v_dual_add_f32 v1, v1, v3 :: v_dual_add_f32 v2, v2, v4
	ds_bpermute_b32 v3, v7, v1
	ds_bpermute_b32 v4, v7, v2
	s_waitcnt lgkmcnt(0)
	v_dual_add_f32 v1, v1, v3 :: v_dual_add_f32 v2, v2, v4
	;; [unrolled: 4-line block ×5, first 2 shown]
.LBB251_12:
	s_or_b32 exec_lo, exec_lo, s0
	s_delay_alu instid0(SALU_CYCLE_1)
	s_mov_b32 s0, exec_lo
	v_cmpx_eq_u32_e32 0, v0
	s_cbranch_execz .LBB251_14
; %bb.13:
	s_lshl_b64 s[0:1], s[12:13], 3
	v_mov_b32_e32 v0, 0
	s_add_u32 s0, s2, s0
	s_addc_u32 s1, s3, s1
	s_waitcnt lgkmcnt(0)
	global_store_b64 v0, v[1:2], s[0:1]
.LBB251_14:
	s_nop 0
	s_sendmsg sendmsg(MSG_DEALLOC_VGPRS)
	s_endpgm
	.section	.rodata,"a",@progbits
	.p2align	6, 0x0
	.amdhsa_kernel _ZL18rocblas_dot_kernelIlLb1ELi1024ELi32ELb1E19rocblas_complex_numIfEPKPKS1_S1_EviT5_lT_lS6_lS7_liPT6_PT4_
		.amdhsa_group_segment_fixed_size 256
		.amdhsa_private_segment_fixed_size 0
		.amdhsa_kernarg_size 352
		.amdhsa_user_sgpr_count 14
		.amdhsa_user_sgpr_dispatch_ptr 0
		.amdhsa_user_sgpr_queue_ptr 0
		.amdhsa_user_sgpr_kernarg_segment_ptr 1
		.amdhsa_user_sgpr_dispatch_id 0
		.amdhsa_user_sgpr_private_segment_size 0
		.amdhsa_wavefront_size32 1
		.amdhsa_uses_dynamic_stack 0
		.amdhsa_enable_private_segment 0
		.amdhsa_system_sgpr_workgroup_id_x 1
		.amdhsa_system_sgpr_workgroup_id_y 0
		.amdhsa_system_sgpr_workgroup_id_z 1
		.amdhsa_system_sgpr_workgroup_info 0
		.amdhsa_system_vgpr_workitem_id 0
		.amdhsa_next_free_vgpr 13
		.amdhsa_next_free_sgpr 23
		.amdhsa_reserve_vcc 1
		.amdhsa_float_round_mode_32 0
		.amdhsa_float_round_mode_16_64 0
		.amdhsa_float_denorm_mode_32 3
		.amdhsa_float_denorm_mode_16_64 3
		.amdhsa_dx10_clamp 1
		.amdhsa_ieee_mode 1
		.amdhsa_fp16_overflow 0
		.amdhsa_workgroup_processor_mode 1
		.amdhsa_memory_ordered 1
		.amdhsa_forward_progress 0
		.amdhsa_shared_vgpr_count 0
		.amdhsa_exception_fp_ieee_invalid_op 0
		.amdhsa_exception_fp_denorm_src 0
		.amdhsa_exception_fp_ieee_div_zero 0
		.amdhsa_exception_fp_ieee_overflow 0
		.amdhsa_exception_fp_ieee_underflow 0
		.amdhsa_exception_fp_ieee_inexact 0
		.amdhsa_exception_int_div_zero 0
	.end_amdhsa_kernel
	.section	.text._ZL18rocblas_dot_kernelIlLb1ELi1024ELi32ELb1E19rocblas_complex_numIfEPKPKS1_S1_EviT5_lT_lS6_lS7_liPT6_PT4_,"axG",@progbits,_ZL18rocblas_dot_kernelIlLb1ELi1024ELi32ELb1E19rocblas_complex_numIfEPKPKS1_S1_EviT5_lT_lS6_lS7_liPT6_PT4_,comdat
.Lfunc_end251:
	.size	_ZL18rocblas_dot_kernelIlLb1ELi1024ELi32ELb1E19rocblas_complex_numIfEPKPKS1_S1_EviT5_lT_lS6_lS7_liPT6_PT4_, .Lfunc_end251-_ZL18rocblas_dot_kernelIlLb1ELi1024ELi32ELb1E19rocblas_complex_numIfEPKPKS1_S1_EviT5_lT_lS6_lS7_liPT6_PT4_
                                        ; -- End function
	.section	.AMDGPU.csdata,"",@progbits
; Kernel info:
; codeLenInByte = 1168
; NumSgprs: 25
; NumVgprs: 13
; ScratchSize: 0
; MemoryBound: 0
; FloatMode: 240
; IeeeMode: 1
; LDSByteSize: 256 bytes/workgroup (compile time only)
; SGPRBlocks: 3
; VGPRBlocks: 1
; NumSGPRsForWavesPerEU: 25
; NumVGPRsForWavesPerEU: 13
; Occupancy: 16
; WaveLimiterHint : 0
; COMPUTE_PGM_RSRC2:SCRATCH_EN: 0
; COMPUTE_PGM_RSRC2:USER_SGPR: 14
; COMPUTE_PGM_RSRC2:TRAP_HANDLER: 0
; COMPUTE_PGM_RSRC2:TGID_X_EN: 1
; COMPUTE_PGM_RSRC2:TGID_Y_EN: 0
; COMPUTE_PGM_RSRC2:TGID_Z_EN: 1
; COMPUTE_PGM_RSRC2:TIDIG_COMP_CNT: 0
	.section	.text._ZL24rocblas_dot_kernel_magsqIlLb1ELi1024ELi32ELb1E19rocblas_complex_numIfEPKPKS1_S1_EviT5_lT_liPT6_PT4_,"axG",@progbits,_ZL24rocblas_dot_kernel_magsqIlLb1ELi1024ELi32ELb1E19rocblas_complex_numIfEPKPKS1_S1_EviT5_lT_liPT6_PT4_,comdat
	.globl	_ZL24rocblas_dot_kernel_magsqIlLb1ELi1024ELi32ELb1E19rocblas_complex_numIfEPKPKS1_S1_EviT5_lT_liPT6_PT4_ ; -- Begin function _ZL24rocblas_dot_kernel_magsqIlLb1ELi1024ELi32ELb1E19rocblas_complex_numIfEPKPKS1_S1_EviT5_lT_liPT6_PT4_
	.p2align	8
	.type	_ZL24rocblas_dot_kernel_magsqIlLb1ELi1024ELi32ELb1E19rocblas_complex_numIfEPKPKS1_S1_EviT5_lT_liPT6_PT4_,@function
_ZL24rocblas_dot_kernel_magsqIlLb1ELi1024ELi32ELb1E19rocblas_complex_numIfEPKPKS1_S1_EviT5_lT_liPT6_PT4_: ; @_ZL24rocblas_dot_kernel_magsqIlLb1ELi1024ELi32ELb1E19rocblas_complex_numIfEPKPKS1_S1_EviT5_lT_liPT6_PT4_
; %bb.0:
	s_clause 0x1
	s_load_b32 s10, s[0:1], 0x0
	s_load_b64 s[2:3], s[0:1], 0x38
	v_dual_mov_b32 v3, 0 :: v_dual_mov_b32 v4, 0
	s_mov_b32 s8, s15
	s_mov_b32 s9, 0
	s_mov_b32 s11, exec_lo
	s_waitcnt lgkmcnt(0)
	v_cmpx_gt_i32_e64 s10, v0
	s_cbranch_execz .LBB252_4
; %bb.1:
	s_clause 0x1
	s_load_b64 s[12:13], s[0:1], 0x8
	s_load_b128 s[4:7], s[0:1], 0x10
	s_lshl_b64 s[14:15], s[8:9], 3
	s_load_b32 s16, s[0:1], 0x40
	s_waitcnt lgkmcnt(0)
	s_add_u32 s0, s12, s14
	v_mad_u64_u32 v[1:2], null, s6, v0, 0
	s_addc_u32 s1, s13, s15
	s_lshl_b64 s[4:5], s[4:5], 3
	s_load_b64 s[12:13], s[0:1], 0x0
	s_lshl_b32 s1, s16, 10
	s_delay_alu instid0(SALU_CYCLE_1) | instskip(NEXT) | instid1(VALU_DEP_1)
	s_mul_hi_u32 s0, s6, s1
	v_mad_u64_u32 v[4:5], null, s7, v0, v[2:3]
	v_mov_b32_e32 v3, 0
	v_or_b32_e32 v5, s1, v0
	s_delay_alu instid0(VALU_DEP_3) | instskip(SKIP_1) | instid1(VALU_DEP_2)
	v_mov_b32_e32 v2, v4
	v_mov_b32_e32 v4, 0
	v_lshlrev_b64 v[1:2], 3, v[1:2]
	s_waitcnt lgkmcnt(0)
	s_add_u32 s12, s12, s4
	s_addc_u32 s13, s13, s5
	s_ashr_i32 s4, s1, 31
	s_delay_alu instid0(VALU_DEP_1)
	v_add_co_u32 v1, vcc_lo, s12, v1
	s_mul_i32 s4, s6, s4
	s_mul_i32 s5, s7, s1
	s_add_i32 s0, s0, s4
	v_add_co_ci_u32_e32 v2, vcc_lo, s13, v2, vcc_lo
	s_mul_i32 s4, s6, s1
	s_add_i32 s5, s0, s5
	s_mov_b32 s6, s9
	s_lshl_b64 s[4:5], s[4:5], 3
	s_mov_b32 s7, s9
	.p2align	6
.LBB252_2:                              ; =>This Inner Loop Header: Depth=1
	global_load_b64 v[6:7], v[1:2], off
	v_cmp_le_i32_e32 vcc_lo, s10, v5
	v_add_nc_u32_e32 v5, s1, v5
	s_add_i32 s12, s7, 1
	v_add_co_u32 v1, s0, v1, s4
	s_cmp_gt_u32 s7, 30
	v_add_co_ci_u32_e64 v2, s0, s5, v2, s0
	s_cselect_b32 s0, -1, 0
	s_mov_b32 s7, s12
	s_or_b32 s0, s0, vcc_lo
	s_delay_alu instid0(SALU_CYCLE_1) | instskip(NEXT) | instid1(SALU_CYCLE_1)
	s_and_b32 s0, exec_lo, s0
	s_or_b32 s6, s0, s6
	s_waitcnt vmcnt(0)
	v_mul_f32_e32 v8, v7, v7
	s_delay_alu instid0(VALU_DEP_1) | instskip(NEXT) | instid1(VALU_DEP_1)
	v_fmac_f32_e32 v8, v6, v6
	v_dual_mul_f32 v9, v6, v7 :: v_dual_add_f32 v4, v4, v8
	s_delay_alu instid0(VALU_DEP_1) | instskip(NEXT) | instid1(VALU_DEP_1)
	v_fma_f32 v6, v6, v7, -v9
	v_add_f32_e32 v3, v3, v6
	s_and_not1_b32 exec_lo, exec_lo, s6
	s_cbranch_execnz .LBB252_2
; %bb.3:
	s_or_b32 exec_lo, exec_lo, s6
.LBB252_4:
	s_delay_alu instid0(SALU_CYCLE_1) | instskip(SKIP_2) | instid1(VALU_DEP_2)
	s_or_b32 exec_lo, exec_lo, s11
	v_and_b32_e32 v1, 31, v0
	v_cmp_gt_u32_e32 vcc_lo, 32, v0
	v_lshlrev_b32_e32 v5, 3, v1
	s_and_saveexec_b32 s0, vcc_lo
	s_cbranch_execz .LBB252_6
; %bb.5:
	v_mov_b32_e32 v6, 0
	s_delay_alu instid0(VALU_DEP_1)
	v_mov_b32_e32 v7, v6
	ds_store_b64 v5, v[6:7]
.LBB252_6:
	s_or_b32 exec_lo, exec_lo, s0
	v_mbcnt_lo_u32_b32 v2, -1, 0
	s_mov_b32 s1, exec_lo
	s_waitcnt lgkmcnt(0)
	s_barrier
	buffer_gl0_inv
	v_cmp_gt_u32_e64 s0, 16, v2
	s_delay_alu instid0(VALU_DEP_1) | instskip(SKIP_1) | instid1(VALU_DEP_2)
	v_cndmask_b32_e64 v6, 0, 1, s0
	v_cmp_gt_u32_e64 s0, 24, v2
	v_lshlrev_b32_e32 v6, 4, v6
	s_delay_alu instid0(VALU_DEP_2) | instskip(SKIP_1) | instid1(VALU_DEP_3)
	v_cndmask_b32_e64 v7, 0, 1, s0
	v_cmp_gt_u32_e64 s0, 28, v2
	v_add_lshl_u32 v6, v6, v2, 2
	ds_bpermute_b32 v8, v6, v4
	ds_bpermute_b32 v9, v6, v3
	s_waitcnt lgkmcnt(1)
	v_dual_add_f32 v4, v4, v8 :: v_dual_lshlrev_b32 v7, 3, v7
	s_delay_alu instid0(VALU_DEP_1)
	v_add_lshl_u32 v7, v7, v2, 2
	s_waitcnt lgkmcnt(0)
	v_add_f32_e32 v8, v3, v9
	v_cndmask_b32_e64 v3, 0, 1, s0
	v_cmp_gt_u32_e64 s0, 30, v2
	ds_bpermute_b32 v9, v7, v4
	v_lshlrev_b32_e32 v3, 2, v3
	ds_bpermute_b32 v10, v7, v8
	v_add_lshl_u32 v3, v3, v2, 2
	s_waitcnt lgkmcnt(1)
	v_add_f32_e32 v9, v4, v9
	v_cndmask_b32_e64 v4, 0, 1, s0
	v_cmp_ne_u32_e64 s0, 31, v2
	s_waitcnt lgkmcnt(0)
	v_add_f32_e32 v8, v8, v10
	ds_bpermute_b32 v10, v3, v9
	v_lshlrev_b32_e32 v4, 1, v4
	ds_bpermute_b32 v11, v3, v8
	s_waitcnt lgkmcnt(1)
	v_add_f32_e32 v9, v9, v10
	v_add_lshl_u32 v4, v4, v2, 2
	v_add_co_ci_u32_e64 v2, s0, 0, v2, s0
	s_waitcnt lgkmcnt(0)
	v_add_f32_e32 v10, v8, v11
	ds_bpermute_b32 v11, v4, v9
	v_lshlrev_b32_e32 v8, 2, v2
	ds_bpermute_b32 v12, v4, v10
	s_waitcnt lgkmcnt(0)
	v_dual_add_f32 v2, v9, v11 :: v_dual_add_f32 v9, v10, v12
	ds_bpermute_b32 v10, v8, v2
	ds_bpermute_b32 v11, v8, v9
	v_cmpx_eq_u32_e32 0, v1
	s_cbranch_execz .LBB252_8
; %bb.7:
	v_lshrrev_b32_e32 v12, 2, v0
	s_waitcnt lgkmcnt(0)
	v_dual_add_f32 v1, v2, v10 :: v_dual_add_f32 v2, v9, v11
	s_delay_alu instid0(VALU_DEP_2)
	v_and_b32_e32 v9, 0xf8, v12
	ds_store_b64 v9, v[1:2]
.LBB252_8:
	s_or_b32 exec_lo, exec_lo, s1
	v_dual_mov_b32 v2, 0 :: v_dual_mov_b32 v1, 0
	s_waitcnt lgkmcnt(0)
	s_barrier
	buffer_gl0_inv
	s_and_saveexec_b32 s0, vcc_lo
	s_cbranch_execz .LBB252_10
; %bb.9:
	ds_load_b64 v[1:2], v5
.LBB252_10:
	s_or_b32 exec_lo, exec_lo, s0
	s_and_saveexec_b32 s0, vcc_lo
	s_cbranch_execz .LBB252_12
; %bb.11:
	s_waitcnt lgkmcnt(0)
	ds_bpermute_b32 v5, v6, v1
	ds_bpermute_b32 v6, v6, v2
	s_waitcnt lgkmcnt(0)
	v_dual_add_f32 v1, v1, v5 :: v_dual_add_f32 v2, v2, v6
	ds_bpermute_b32 v5, v7, v1
	ds_bpermute_b32 v6, v7, v2
	s_waitcnt lgkmcnt(0)
	v_dual_add_f32 v1, v1, v5 :: v_dual_add_f32 v2, v2, v6
	;; [unrolled: 4-line block ×5, first 2 shown]
.LBB252_12:
	s_or_b32 exec_lo, exec_lo, s0
	s_delay_alu instid0(SALU_CYCLE_1)
	s_mov_b32 s0, exec_lo
	v_cmpx_eq_u32_e32 0, v0
	s_cbranch_execz .LBB252_14
; %bb.13:
	s_lshl_b64 s[0:1], s[8:9], 3
	v_mov_b32_e32 v0, 0
	s_add_u32 s0, s2, s0
	s_addc_u32 s1, s3, s1
	s_waitcnt lgkmcnt(0)
	global_store_b64 v0, v[1:2], s[0:1]
.LBB252_14:
	s_nop 0
	s_sendmsg sendmsg(MSG_DEALLOC_VGPRS)
	s_endpgm
	.section	.rodata,"a",@progbits
	.p2align	6, 0x0
	.amdhsa_kernel _ZL24rocblas_dot_kernel_magsqIlLb1ELi1024ELi32ELb1E19rocblas_complex_numIfEPKPKS1_S1_EviT5_lT_liPT6_PT4_
		.amdhsa_group_segment_fixed_size 256
		.amdhsa_private_segment_fixed_size 0
		.amdhsa_kernarg_size 320
		.amdhsa_user_sgpr_count 14
		.amdhsa_user_sgpr_dispatch_ptr 0
		.amdhsa_user_sgpr_queue_ptr 0
		.amdhsa_user_sgpr_kernarg_segment_ptr 1
		.amdhsa_user_sgpr_dispatch_id 0
		.amdhsa_user_sgpr_private_segment_size 0
		.amdhsa_wavefront_size32 1
		.amdhsa_uses_dynamic_stack 0
		.amdhsa_enable_private_segment 0
		.amdhsa_system_sgpr_workgroup_id_x 1
		.amdhsa_system_sgpr_workgroup_id_y 0
		.amdhsa_system_sgpr_workgroup_id_z 1
		.amdhsa_system_sgpr_workgroup_info 0
		.amdhsa_system_vgpr_workitem_id 0
		.amdhsa_next_free_vgpr 13
		.amdhsa_next_free_sgpr 17
		.amdhsa_reserve_vcc 1
		.amdhsa_float_round_mode_32 0
		.amdhsa_float_round_mode_16_64 0
		.amdhsa_float_denorm_mode_32 3
		.amdhsa_float_denorm_mode_16_64 3
		.amdhsa_dx10_clamp 1
		.amdhsa_ieee_mode 1
		.amdhsa_fp16_overflow 0
		.amdhsa_workgroup_processor_mode 1
		.amdhsa_memory_ordered 1
		.amdhsa_forward_progress 0
		.amdhsa_shared_vgpr_count 0
		.amdhsa_exception_fp_ieee_invalid_op 0
		.amdhsa_exception_fp_denorm_src 0
		.amdhsa_exception_fp_ieee_div_zero 0
		.amdhsa_exception_fp_ieee_overflow 0
		.amdhsa_exception_fp_ieee_underflow 0
		.amdhsa_exception_fp_ieee_inexact 0
		.amdhsa_exception_int_div_zero 0
	.end_amdhsa_kernel
	.section	.text._ZL24rocblas_dot_kernel_magsqIlLb1ELi1024ELi32ELb1E19rocblas_complex_numIfEPKPKS1_S1_EviT5_lT_liPT6_PT4_,"axG",@progbits,_ZL24rocblas_dot_kernel_magsqIlLb1ELi1024ELi32ELb1E19rocblas_complex_numIfEPKPKS1_S1_EviT5_lT_liPT6_PT4_,comdat
.Lfunc_end252:
	.size	_ZL24rocblas_dot_kernel_magsqIlLb1ELi1024ELi32ELb1E19rocblas_complex_numIfEPKPKS1_S1_EviT5_lT_liPT6_PT4_, .Lfunc_end252-_ZL24rocblas_dot_kernel_magsqIlLb1ELi1024ELi32ELb1E19rocblas_complex_numIfEPKPKS1_S1_EviT5_lT_liPT6_PT4_
                                        ; -- End function
	.section	.AMDGPU.csdata,"",@progbits
; Kernel info:
; codeLenInByte = 1016
; NumSgprs: 19
; NumVgprs: 13
; ScratchSize: 0
; MemoryBound: 0
; FloatMode: 240
; IeeeMode: 1
; LDSByteSize: 256 bytes/workgroup (compile time only)
; SGPRBlocks: 2
; VGPRBlocks: 1
; NumSGPRsForWavesPerEU: 19
; NumVGPRsForWavesPerEU: 13
; Occupancy: 16
; WaveLimiterHint : 0
; COMPUTE_PGM_RSRC2:SCRATCH_EN: 0
; COMPUTE_PGM_RSRC2:USER_SGPR: 14
; COMPUTE_PGM_RSRC2:TRAP_HANDLER: 0
; COMPUTE_PGM_RSRC2:TGID_X_EN: 1
; COMPUTE_PGM_RSRC2:TGID_Y_EN: 0
; COMPUTE_PGM_RSRC2:TGID_Z_EN: 1
; COMPUTE_PGM_RSRC2:TIDIG_COMP_CNT: 0
	.section	.text._ZL18rocblas_dot_kernelIlLb0ELi512ELi2ELb1E19rocblas_complex_numIfEPKPKS1_S1_EviT5_lT_lS6_lS7_liPT6_PT4_,"axG",@progbits,_ZL18rocblas_dot_kernelIlLb0ELi512ELi2ELb1E19rocblas_complex_numIfEPKPKS1_S1_EviT5_lT_lS6_lS7_liPT6_PT4_,comdat
	.globl	_ZL18rocblas_dot_kernelIlLb0ELi512ELi2ELb1E19rocblas_complex_numIfEPKPKS1_S1_EviT5_lT_lS6_lS7_liPT6_PT4_ ; -- Begin function _ZL18rocblas_dot_kernelIlLb0ELi512ELi2ELb1E19rocblas_complex_numIfEPKPKS1_S1_EviT5_lT_lS6_lS7_liPT6_PT4_
	.p2align	8
	.type	_ZL18rocblas_dot_kernelIlLb0ELi512ELi2ELb1E19rocblas_complex_numIfEPKPKS1_S1_EviT5_lT_lS6_lS7_liPT6_PT4_,@function
_ZL18rocblas_dot_kernelIlLb0ELi512ELi2ELb1E19rocblas_complex_numIfEPKPKS1_S1_EviT5_lT_lS6_lS7_liPT6_PT4_: ; @_ZL18rocblas_dot_kernelIlLb0ELi512ELi2ELb1E19rocblas_complex_numIfEPKPKS1_S1_EviT5_lT_lS6_lS7_liPT6_PT4_
; %bb.0:
	s_mov_b32 s12, s15
	s_clause 0x1
	s_load_b32 s15, s[0:1], 0x0
	s_load_b32 s3, s[0:1], 0x60
	v_lshl_or_b32 v3, s14, 9, v0
	v_dual_mov_b32 v1, 0 :: v_dual_mov_b32 v2, 0
	s_mov_b32 s13, 0
	s_mov_b32 s2, exec_lo
	s_waitcnt lgkmcnt(0)
	v_cmpx_gt_i32_e64 s15, v3
	s_cbranch_execz .LBB253_4
; %bb.1:
	s_clause 0x1
	s_load_b64 s[16:17], s[0:1], 0x8
	s_load_b128 s[4:7], s[0:1], 0x30
	s_lshl_b64 s[18:19], s[12:13], 3
	s_load_b128 s[8:11], s[0:1], 0x10
	v_ashrrev_i32_e32 v1, 31, v3
	s_waitcnt lgkmcnt(0)
	s_add_u32 s16, s16, s18
	s_addc_u32 s17, s17, s19
	s_delay_alu instid0(VALU_DEP_1)
	v_mul_lo_u32 v7, v1, s6
	s_load_b64 s[16:17], s[16:17], 0x0
	s_load_b64 s[20:21], s[0:1], 0x28
	s_lshl_b64 s[8:9], s[8:9], 3
	v_mul_lo_u32 v8, v3, s11
	v_mul_lo_u32 v9, v1, s10
	v_mad_u64_u32 v[1:2], null, v3, s10, 0
	v_mul_lo_u32 v6, v3, s7
	v_mad_u64_u32 v[4:5], null, v3, s6, 0
	s_delay_alu instid0(VALU_DEP_3) | instskip(NEXT) | instid1(VALU_DEP_2)
	v_add3_u32 v2, v2, v8, v9
	v_add3_u32 v5, v5, v6, v7
	s_delay_alu instid0(VALU_DEP_2)
	v_lshlrev_b64 v[1:2], 3, v[1:2]
	s_waitcnt lgkmcnt(0)
	s_add_u32 s8, s16, s8
	s_addc_u32 s9, s17, s9
	s_add_u32 s16, s20, s18
	s_addc_u32 s17, s21, s19
	v_lshlrev_b64 v[3:4], 3, v[4:5]
	s_load_b64 s[16:17], s[16:17], 0x0
	s_lshl_b64 s[4:5], s[4:5], 3
	v_add_co_u32 v1, vcc_lo, s8, v1
	v_add_co_ci_u32_e32 v2, vcc_lo, s9, v2, vcc_lo
	s_waitcnt lgkmcnt(0)
	s_add_u32 s4, s16, s4
	s_addc_u32 s5, s17, s5
	v_add_co_u32 v3, vcc_lo, s4, v3
	v_add_co_ci_u32_e32 v4, vcc_lo, s5, v4, vcc_lo
	s_add_i32 s16, s14, s3
	global_load_b64 v[1:2], v[1:2], off
	global_load_b64 v[3:4], v[3:4], off
	s_waitcnt vmcnt(0)
	v_mul_f32_e32 v5, v2, v4
	v_mul_f32_e32 v2, v2, v3
	s_delay_alu instid0(VALU_DEP_1) | instskip(NEXT) | instid1(VALU_DEP_1)
	v_fma_f32 v2, v1, v4, -v2
	v_dual_add_f32 v2, 0, v2 :: v_dual_fmac_f32 v5, v1, v3
	v_lshl_or_b32 v3, s16, 9, v0
	s_delay_alu instid0(VALU_DEP_2) | instskip(NEXT) | instid1(VALU_DEP_2)
	v_add_f32_e32 v1, 0, v5
	v_cmp_gt_i32_e32 vcc_lo, s15, v3
	s_and_saveexec_b32 s15, vcc_lo
	s_cbranch_execz .LBB253_3
; %bb.2:
	v_ashrrev_i32_e32 v8, 31, v3
	v_mul_lo_u32 v9, v3, s11
	v_mad_u64_u32 v[4:5], null, v3, s10, 0
	v_mul_lo_u32 v11, v3, s7
	s_delay_alu instid0(VALU_DEP_4) | instskip(SKIP_2) | instid1(VALU_DEP_3)
	v_mul_lo_u32 v10, v8, s10
	v_mad_u64_u32 v[6:7], null, v3, s6, 0
	v_mul_lo_u32 v3, v8, s6
	v_add3_u32 v5, v5, v9, v10
	s_delay_alu instid0(VALU_DEP_2) | instskip(NEXT) | instid1(VALU_DEP_2)
	v_add3_u32 v7, v7, v11, v3
	v_lshlrev_b64 v[3:4], 3, v[4:5]
	s_delay_alu instid0(VALU_DEP_2) | instskip(NEXT) | instid1(VALU_DEP_2)
	v_lshlrev_b64 v[5:6], 3, v[6:7]
	v_add_co_u32 v3, vcc_lo, s8, v3
	s_delay_alu instid0(VALU_DEP_3) | instskip(NEXT) | instid1(VALU_DEP_3)
	v_add_co_ci_u32_e32 v4, vcc_lo, s9, v4, vcc_lo
	v_add_co_u32 v5, vcc_lo, s4, v5
	s_delay_alu instid0(VALU_DEP_4)
	v_add_co_ci_u32_e32 v6, vcc_lo, s5, v6, vcc_lo
	global_load_b64 v[3:4], v[3:4], off
	global_load_b64 v[5:6], v[5:6], off
	s_waitcnt vmcnt(0)
	v_mul_f32_e32 v7, v4, v5
	v_mul_f32_e32 v4, v4, v6
	s_delay_alu instid0(VALU_DEP_2) | instskip(NEXT) | instid1(VALU_DEP_2)
	v_fma_f32 v6, v3, v6, -v7
	v_fmac_f32_e32 v4, v3, v5
	s_delay_alu instid0(VALU_DEP_1)
	v_dual_add_f32 v2, v2, v6 :: v_dual_add_f32 v1, v1, v4
.LBB253_3:
	s_or_b32 exec_lo, exec_lo, s15
.LBB253_4:
	s_delay_alu instid0(SALU_CYCLE_1) | instskip(SKIP_2) | instid1(VALU_DEP_2)
	s_or_b32 exec_lo, exec_lo, s2
	v_and_b32_e32 v8, 31, v0
	v_cmp_gt_u32_e32 vcc_lo, 32, v0
	v_lshlrev_b32_e32 v3, 3, v8
	s_and_saveexec_b32 s2, vcc_lo
	s_cbranch_execz .LBB253_6
; %bb.5:
	v_mov_b32_e32 v4, 0
	s_delay_alu instid0(VALU_DEP_1)
	v_mov_b32_e32 v5, v4
	ds_store_b64 v3, v[4:5]
.LBB253_6:
	s_or_b32 exec_lo, exec_lo, s2
	v_mbcnt_lo_u32_b32 v7, -1, 0
	s_mov_b32 s4, exec_lo
	s_waitcnt lgkmcnt(0)
	s_barrier
	buffer_gl0_inv
	v_cmp_gt_u32_e64 s2, 16, v7
	s_delay_alu instid0(VALU_DEP_1) | instskip(SKIP_1) | instid1(VALU_DEP_2)
	v_cndmask_b32_e64 v4, 0, 1, s2
	v_cmp_gt_u32_e64 s2, 24, v7
	v_lshlrev_b32_e32 v4, 4, v4
	s_delay_alu instid0(VALU_DEP_1)
	v_add_lshl_u32 v4, v4, v7, 2
	ds_bpermute_b32 v5, v4, v1
	ds_bpermute_b32 v6, v4, v2
	v_cndmask_b32_e64 v4, 0, 1, s2
	v_cmp_gt_u32_e64 s2, 28, v7
	s_waitcnt lgkmcnt(1)
	s_delay_alu instid0(VALU_DEP_2) | instskip(NEXT) | instid1(VALU_DEP_2)
	v_dual_add_f32 v1, v1, v5 :: v_dual_lshlrev_b32 v4, 3, v4
	v_cndmask_b32_e64 v5, 0, 1, s2
	s_waitcnt lgkmcnt(0)
	v_add_f32_e32 v2, v2, v6
	v_cmp_gt_u32_e64 s2, 30, v7
	v_add_lshl_u32 v4, v4, v7, 2
	v_lshlrev_b32_e32 v5, 2, v5
	ds_bpermute_b32 v6, v4, v1
	ds_bpermute_b32 v9, v4, v2
	v_add_lshl_u32 v5, v5, v7, 2
	s_waitcnt lgkmcnt(1)
	v_add_f32_e32 v1, v1, v6
	v_cndmask_b32_e64 v6, 0, 1, s2
	v_cmp_ne_u32_e64 s2, 31, v7
	s_delay_alu instid0(VALU_DEP_2) | instskip(NEXT) | instid1(VALU_DEP_1)
	v_lshlrev_b32_e32 v6, 1, v6
	v_add_lshl_u32 v6, v6, v7, 2
	s_delay_alu instid0(VALU_DEP_3)
	v_add_co_ci_u32_e64 v7, s2, 0, v7, s2
	s_waitcnt lgkmcnt(0)
	v_add_f32_e32 v2, v2, v9
	ds_bpermute_b32 v9, v5, v1
	v_lshlrev_b32_e32 v7, 2, v7
	ds_bpermute_b32 v10, v5, v2
	s_waitcnt lgkmcnt(1)
	v_add_f32_e32 v1, v1, v9
	ds_bpermute_b32 v9, v6, v1
	s_waitcnt lgkmcnt(0)
	v_dual_add_f32 v2, v2, v10 :: v_dual_add_f32 v1, v1, v9
	ds_bpermute_b32 v10, v6, v2
	ds_bpermute_b32 v9, v7, v1
	s_waitcnt lgkmcnt(1)
	v_add_f32_e32 v2, v2, v10
	ds_bpermute_b32 v10, v7, v2
	v_cmpx_eq_u32_e32 0, v8
	s_cbranch_execz .LBB253_8
; %bb.7:
	v_lshrrev_b32_e32 v8, 2, v0
	s_waitcnt lgkmcnt(0)
	v_dual_add_f32 v1, v1, v9 :: v_dual_add_f32 v2, v2, v10
	s_delay_alu instid0(VALU_DEP_2)
	v_and_b32_e32 v8, 0x78, v8
	ds_store_b64 v8, v[1:2]
.LBB253_8:
	s_or_b32 exec_lo, exec_lo, s4
	v_dual_mov_b32 v2, 0 :: v_dual_mov_b32 v1, 0
	s_mov_b32 s4, exec_lo
	s_waitcnt lgkmcnt(0)
	s_barrier
	buffer_gl0_inv
	v_cmpx_gt_u32_e32 16, v0
	s_cbranch_execz .LBB253_10
; %bb.9:
	ds_load_b64 v[1:2], v3
.LBB253_10:
	s_or_b32 exec_lo, exec_lo, s4
	s_and_saveexec_b32 s2, vcc_lo
	s_cbranch_execz .LBB253_12
; %bb.11:
	s_waitcnt lgkmcnt(0)
	ds_bpermute_b32 v3, v4, v1
	ds_bpermute_b32 v4, v4, v2
	s_waitcnt lgkmcnt(0)
	v_dual_add_f32 v1, v1, v3 :: v_dual_add_f32 v2, v2, v4
	ds_bpermute_b32 v3, v5, v1
	ds_bpermute_b32 v4, v5, v2
	s_waitcnt lgkmcnt(0)
	v_dual_add_f32 v1, v1, v3 :: v_dual_add_f32 v2, v2, v4
	;; [unrolled: 4-line block ×4, first 2 shown]
.LBB253_12:
	s_or_b32 exec_lo, exec_lo, s2
	s_delay_alu instid0(SALU_CYCLE_1)
	s_mov_b32 s2, exec_lo
	v_cmpx_eq_u32_e32 0, v0
	s_cbranch_execz .LBB253_18
; %bb.13:
	s_cmp_lg_u32 s3, 1
	s_cbranch_scc0 .LBB253_15
; %bb.14:
	s_load_b64 s[4:5], s[0:1], 0x50
	s_mul_hi_u32 s7, s3, s12
	s_mul_i32 s6, s3, s12
	s_mov_b32 s15, 0
	s_lshl_b64 s[2:3], s[6:7], 3
	s_waitcnt lgkmcnt(0)
	s_add_u32 s4, s4, s2
	s_addc_u32 s5, s5, s3
	s_lshl_b64 s[2:3], s[14:15], 3
	s_delay_alu instid0(SALU_CYCLE_1)
	s_add_u32 s2, s4, s2
	s_addc_u32 s3, s5, s3
	s_cbranch_execz .LBB253_16
	s_branch .LBB253_17
.LBB253_15:
                                        ; implicit-def: $sgpr2_sgpr3
.LBB253_16:
	s_load_b64 s[0:1], s[0:1], 0x58
	s_lshl_b64 s[2:3], s[12:13], 3
	s_waitcnt lgkmcnt(0)
	s_add_u32 s2, s0, s2
	s_addc_u32 s3, s1, s3
.LBB253_17:
	v_mov_b32_e32 v0, 0
	s_waitcnt lgkmcnt(0)
	global_store_b64 v0, v[1:2], s[2:3]
.LBB253_18:
	s_nop 0
	s_sendmsg sendmsg(MSG_DEALLOC_VGPRS)
	s_endpgm
	.section	.rodata,"a",@progbits
	.p2align	6, 0x0
	.amdhsa_kernel _ZL18rocblas_dot_kernelIlLb0ELi512ELi2ELb1E19rocblas_complex_numIfEPKPKS1_S1_EviT5_lT_lS6_lS7_liPT6_PT4_
		.amdhsa_group_segment_fixed_size 256
		.amdhsa_private_segment_fixed_size 0
		.amdhsa_kernarg_size 352
		.amdhsa_user_sgpr_count 14
		.amdhsa_user_sgpr_dispatch_ptr 0
		.amdhsa_user_sgpr_queue_ptr 0
		.amdhsa_user_sgpr_kernarg_segment_ptr 1
		.amdhsa_user_sgpr_dispatch_id 0
		.amdhsa_user_sgpr_private_segment_size 0
		.amdhsa_wavefront_size32 1
		.amdhsa_uses_dynamic_stack 0
		.amdhsa_enable_private_segment 0
		.amdhsa_system_sgpr_workgroup_id_x 1
		.amdhsa_system_sgpr_workgroup_id_y 0
		.amdhsa_system_sgpr_workgroup_id_z 1
		.amdhsa_system_sgpr_workgroup_info 0
		.amdhsa_system_vgpr_workitem_id 0
		.amdhsa_next_free_vgpr 12
		.amdhsa_next_free_sgpr 22
		.amdhsa_reserve_vcc 1
		.amdhsa_float_round_mode_32 0
		.amdhsa_float_round_mode_16_64 0
		.amdhsa_float_denorm_mode_32 3
		.amdhsa_float_denorm_mode_16_64 3
		.amdhsa_dx10_clamp 1
		.amdhsa_ieee_mode 1
		.amdhsa_fp16_overflow 0
		.amdhsa_workgroup_processor_mode 1
		.amdhsa_memory_ordered 1
		.amdhsa_forward_progress 0
		.amdhsa_shared_vgpr_count 0
		.amdhsa_exception_fp_ieee_invalid_op 0
		.amdhsa_exception_fp_denorm_src 0
		.amdhsa_exception_fp_ieee_div_zero 0
		.amdhsa_exception_fp_ieee_overflow 0
		.amdhsa_exception_fp_ieee_underflow 0
		.amdhsa_exception_fp_ieee_inexact 0
		.amdhsa_exception_int_div_zero 0
	.end_amdhsa_kernel
	.section	.text._ZL18rocblas_dot_kernelIlLb0ELi512ELi2ELb1E19rocblas_complex_numIfEPKPKS1_S1_EviT5_lT_lS6_lS7_liPT6_PT4_,"axG",@progbits,_ZL18rocblas_dot_kernelIlLb0ELi512ELi2ELb1E19rocblas_complex_numIfEPKPKS1_S1_EviT5_lT_lS6_lS7_liPT6_PT4_,comdat
.Lfunc_end253:
	.size	_ZL18rocblas_dot_kernelIlLb0ELi512ELi2ELb1E19rocblas_complex_numIfEPKPKS1_S1_EviT5_lT_lS6_lS7_liPT6_PT4_, .Lfunc_end253-_ZL18rocblas_dot_kernelIlLb0ELi512ELi2ELb1E19rocblas_complex_numIfEPKPKS1_S1_EviT5_lT_lS6_lS7_liPT6_PT4_
                                        ; -- End function
	.section	.AMDGPU.csdata,"",@progbits
; Kernel info:
; codeLenInByte = 1292
; NumSgprs: 24
; NumVgprs: 12
; ScratchSize: 0
; MemoryBound: 0
; FloatMode: 240
; IeeeMode: 1
; LDSByteSize: 256 bytes/workgroup (compile time only)
; SGPRBlocks: 2
; VGPRBlocks: 1
; NumSGPRsForWavesPerEU: 24
; NumVGPRsForWavesPerEU: 12
; Occupancy: 16
; WaveLimiterHint : 1
; COMPUTE_PGM_RSRC2:SCRATCH_EN: 0
; COMPUTE_PGM_RSRC2:USER_SGPR: 14
; COMPUTE_PGM_RSRC2:TRAP_HANDLER: 0
; COMPUTE_PGM_RSRC2:TGID_X_EN: 1
; COMPUTE_PGM_RSRC2:TGID_Y_EN: 0
; COMPUTE_PGM_RSRC2:TGID_Z_EN: 1
; COMPUTE_PGM_RSRC2:TIDIG_COMP_CNT: 0
	.section	.text._ZL24rocblas_dot_kernel_magsqIlLb0ELi512ELi2ELb1E19rocblas_complex_numIfEPKPKS1_S1_EviT5_lT_liPT6_PT4_,"axG",@progbits,_ZL24rocblas_dot_kernel_magsqIlLb0ELi512ELi2ELb1E19rocblas_complex_numIfEPKPKS1_S1_EviT5_lT_liPT6_PT4_,comdat
	.globl	_ZL24rocblas_dot_kernel_magsqIlLb0ELi512ELi2ELb1E19rocblas_complex_numIfEPKPKS1_S1_EviT5_lT_liPT6_PT4_ ; -- Begin function _ZL24rocblas_dot_kernel_magsqIlLb0ELi512ELi2ELb1E19rocblas_complex_numIfEPKPKS1_S1_EviT5_lT_liPT6_PT4_
	.p2align	8
	.type	_ZL24rocblas_dot_kernel_magsqIlLb0ELi512ELi2ELb1E19rocblas_complex_numIfEPKPKS1_S1_EviT5_lT_liPT6_PT4_,@function
_ZL24rocblas_dot_kernel_magsqIlLb0ELi512ELi2ELb1E19rocblas_complex_numIfEPKPKS1_S1_EviT5_lT_liPT6_PT4_: ; @_ZL24rocblas_dot_kernel_magsqIlLb0ELi512ELi2ELb1E19rocblas_complex_numIfEPKPKS1_S1_EviT5_lT_liPT6_PT4_
; %bb.0:
	s_clause 0x1
	s_load_b32 s10, s[0:1], 0x0
	s_load_b32 s3, s[0:1], 0x40
	v_lshl_or_b32 v3, s14, 9, v0
	v_dual_mov_b32 v1, 0 :: v_dual_mov_b32 v2, 0
	s_mov_b32 s8, s15
	s_mov_b32 s9, 0
	s_mov_b32 s2, exec_lo
	s_waitcnt lgkmcnt(0)
	v_cmpx_gt_i32_e64 s10, v3
	s_cbranch_execz .LBB254_4
; %bb.1:
	s_clause 0x1
	s_load_b64 s[12:13], s[0:1], 0x8
	s_load_b128 s[4:7], s[0:1], 0x10
	s_lshl_b64 s[16:17], s[8:9], 3
	v_ashrrev_i32_e32 v1, 31, v3
	s_waitcnt lgkmcnt(0)
	s_add_u32 s12, s12, s16
	s_addc_u32 s13, s13, s17
	v_mul_lo_u32 v4, v3, s7
	s_load_b64 s[12:13], s[12:13], 0x0
	v_mul_lo_u32 v5, v1, s6
	v_mad_u64_u32 v[1:2], null, v3, s6, 0
	s_lshl_b64 s[4:5], s[4:5], 3
	s_delay_alu instid0(VALU_DEP_1) | instskip(NEXT) | instid1(VALU_DEP_1)
	v_add3_u32 v2, v2, v4, v5
	v_lshlrev_b64 v[1:2], 3, v[1:2]
	s_waitcnt lgkmcnt(0)
	s_add_u32 s4, s12, s4
	s_addc_u32 s5, s13, s5
	s_delay_alu instid0(VALU_DEP_1) | instskip(NEXT) | instid1(VALU_DEP_2)
	v_add_co_u32 v1, vcc_lo, s4, v1
	v_add_co_ci_u32_e32 v2, vcc_lo, s5, v2, vcc_lo
	s_add_i32 s11, s14, s3
	global_load_b64 v[2:3], v[1:2], off
	s_waitcnt vmcnt(0)
	v_mul_f32_e32 v4, v2, v3
	s_delay_alu instid0(VALU_DEP_1) | instskip(SKIP_2) | instid1(VALU_DEP_2)
	v_fma_f32 v4, v2, v3, -v4
	v_mul_f32_e32 v1, v3, v3
	v_lshl_or_b32 v3, s11, 9, v0
	v_dual_fmac_f32 v1, v2, v2 :: v_dual_add_f32 v2, 0, v4
	s_delay_alu instid0(VALU_DEP_2)
	v_cmp_gt_i32_e32 vcc_lo, s10, v3
	s_and_saveexec_b32 s10, vcc_lo
	s_cbranch_execz .LBB254_3
; %bb.2:
	v_ashrrev_i32_e32 v6, 31, v3
	v_mul_lo_u32 v7, v3, s7
	v_mad_u64_u32 v[4:5], null, v3, s6, 0
	s_delay_alu instid0(VALU_DEP_3) | instskip(NEXT) | instid1(VALU_DEP_1)
	v_mul_lo_u32 v3, v6, s6
	v_add3_u32 v5, v5, v7, v3
	s_delay_alu instid0(VALU_DEP_1) | instskip(NEXT) | instid1(VALU_DEP_1)
	v_lshlrev_b64 v[3:4], 3, v[4:5]
	v_add_co_u32 v3, vcc_lo, s4, v3
	s_delay_alu instid0(VALU_DEP_2) | instskip(SKIP_4) | instid1(VALU_DEP_2)
	v_add_co_ci_u32_e32 v4, vcc_lo, s5, v4, vcc_lo
	global_load_b64 v[3:4], v[3:4], off
	s_waitcnt vmcnt(0)
	v_mul_f32_e32 v5, v3, v4
	v_mul_f32_e32 v6, v4, v4
	v_fma_f32 v4, v3, v4, -v5
	s_delay_alu instid0(VALU_DEP_2) | instskip(NEXT) | instid1(VALU_DEP_1)
	v_fmac_f32_e32 v6, v3, v3
	v_dual_add_f32 v2, v2, v4 :: v_dual_add_f32 v1, v1, v6
.LBB254_3:
	s_or_b32 exec_lo, exec_lo, s10
.LBB254_4:
	s_delay_alu instid0(SALU_CYCLE_1) | instskip(SKIP_2) | instid1(VALU_DEP_2)
	s_or_b32 exec_lo, exec_lo, s2
	v_and_b32_e32 v8, 31, v0
	v_cmp_gt_u32_e32 vcc_lo, 32, v0
	v_lshlrev_b32_e32 v3, 3, v8
	s_and_saveexec_b32 s2, vcc_lo
	s_cbranch_execz .LBB254_6
; %bb.5:
	v_mov_b32_e32 v4, 0
	s_delay_alu instid0(VALU_DEP_1)
	v_mov_b32_e32 v5, v4
	ds_store_b64 v3, v[4:5]
.LBB254_6:
	s_or_b32 exec_lo, exec_lo, s2
	v_mbcnt_lo_u32_b32 v7, -1, 0
	s_mov_b32 s4, exec_lo
	s_waitcnt lgkmcnt(0)
	s_barrier
	buffer_gl0_inv
	v_cmp_gt_u32_e64 s2, 16, v7
	s_delay_alu instid0(VALU_DEP_1) | instskip(SKIP_1) | instid1(VALU_DEP_2)
	v_cndmask_b32_e64 v4, 0, 1, s2
	v_cmp_gt_u32_e64 s2, 24, v7
	v_lshlrev_b32_e32 v4, 4, v4
	s_delay_alu instid0(VALU_DEP_1)
	v_add_lshl_u32 v4, v4, v7, 2
	ds_bpermute_b32 v5, v4, v1
	ds_bpermute_b32 v6, v4, v2
	v_cndmask_b32_e64 v4, 0, 1, s2
	v_cmp_gt_u32_e64 s2, 28, v7
	s_waitcnt lgkmcnt(1)
	s_delay_alu instid0(VALU_DEP_2) | instskip(NEXT) | instid1(VALU_DEP_2)
	v_dual_add_f32 v1, v1, v5 :: v_dual_lshlrev_b32 v4, 3, v4
	v_cndmask_b32_e64 v5, 0, 1, s2
	s_waitcnt lgkmcnt(0)
	v_add_f32_e32 v2, v2, v6
	v_cmp_gt_u32_e64 s2, 30, v7
	v_add_lshl_u32 v4, v4, v7, 2
	v_lshlrev_b32_e32 v5, 2, v5
	ds_bpermute_b32 v6, v4, v1
	ds_bpermute_b32 v9, v4, v2
	v_add_lshl_u32 v5, v5, v7, 2
	s_waitcnt lgkmcnt(1)
	v_add_f32_e32 v1, v1, v6
	v_cndmask_b32_e64 v6, 0, 1, s2
	v_cmp_ne_u32_e64 s2, 31, v7
	s_delay_alu instid0(VALU_DEP_2) | instskip(NEXT) | instid1(VALU_DEP_1)
	v_lshlrev_b32_e32 v6, 1, v6
	v_add_lshl_u32 v6, v6, v7, 2
	s_delay_alu instid0(VALU_DEP_3)
	v_add_co_ci_u32_e64 v7, s2, 0, v7, s2
	s_waitcnt lgkmcnt(0)
	v_add_f32_e32 v2, v2, v9
	ds_bpermute_b32 v9, v5, v1
	v_lshlrev_b32_e32 v7, 2, v7
	ds_bpermute_b32 v10, v5, v2
	s_waitcnt lgkmcnt(1)
	v_add_f32_e32 v1, v1, v9
	ds_bpermute_b32 v9, v6, v1
	s_waitcnt lgkmcnt(0)
	v_dual_add_f32 v2, v2, v10 :: v_dual_add_f32 v1, v1, v9
	ds_bpermute_b32 v10, v6, v2
	ds_bpermute_b32 v9, v7, v1
	s_waitcnt lgkmcnt(1)
	v_add_f32_e32 v2, v2, v10
	ds_bpermute_b32 v10, v7, v2
	v_cmpx_eq_u32_e32 0, v8
	s_cbranch_execz .LBB254_8
; %bb.7:
	v_lshrrev_b32_e32 v8, 2, v0
	s_waitcnt lgkmcnt(0)
	v_dual_add_f32 v1, v1, v9 :: v_dual_add_f32 v2, v2, v10
	s_delay_alu instid0(VALU_DEP_2)
	v_and_b32_e32 v8, 0x78, v8
	ds_store_b64 v8, v[1:2]
.LBB254_8:
	s_or_b32 exec_lo, exec_lo, s4
	v_dual_mov_b32 v2, 0 :: v_dual_mov_b32 v1, 0
	s_mov_b32 s4, exec_lo
	s_waitcnt lgkmcnt(0)
	s_barrier
	buffer_gl0_inv
	v_cmpx_gt_u32_e32 16, v0
	s_cbranch_execz .LBB254_10
; %bb.9:
	ds_load_b64 v[1:2], v3
.LBB254_10:
	s_or_b32 exec_lo, exec_lo, s4
	s_and_saveexec_b32 s2, vcc_lo
	s_cbranch_execz .LBB254_12
; %bb.11:
	s_waitcnt lgkmcnt(0)
	ds_bpermute_b32 v3, v4, v1
	ds_bpermute_b32 v4, v4, v2
	s_waitcnt lgkmcnt(0)
	v_dual_add_f32 v1, v1, v3 :: v_dual_add_f32 v2, v2, v4
	ds_bpermute_b32 v3, v5, v1
	ds_bpermute_b32 v4, v5, v2
	s_waitcnt lgkmcnt(0)
	v_dual_add_f32 v1, v1, v3 :: v_dual_add_f32 v2, v2, v4
	ds_bpermute_b32 v3, v6, v1
	ds_bpermute_b32 v4, v6, v2
	s_waitcnt lgkmcnt(0)
	v_dual_add_f32 v1, v1, v3 :: v_dual_add_f32 v2, v2, v4
	ds_bpermute_b32 v3, v7, v1
	ds_bpermute_b32 v4, v7, v2
	s_waitcnt lgkmcnt(0)
	v_dual_add_f32 v1, v1, v3 :: v_dual_add_f32 v2, v2, v4
.LBB254_12:
	s_or_b32 exec_lo, exec_lo, s2
	s_delay_alu instid0(SALU_CYCLE_1)
	s_mov_b32 s2, exec_lo
	v_cmpx_eq_u32_e32 0, v0
	s_cbranch_execz .LBB254_18
; %bb.13:
	s_cmp_lg_u32 s3, 1
	s_cbranch_scc0 .LBB254_15
; %bb.14:
	s_load_b64 s[4:5], s[0:1], 0x30
	s_mul_hi_u32 s7, s3, s8
	s_mul_i32 s6, s3, s8
	s_mov_b32 s15, 0
	s_lshl_b64 s[2:3], s[6:7], 3
	s_waitcnt lgkmcnt(0)
	s_add_u32 s4, s4, s2
	s_addc_u32 s5, s5, s3
	s_lshl_b64 s[2:3], s[14:15], 3
	s_delay_alu instid0(SALU_CYCLE_1)
	s_add_u32 s2, s4, s2
	s_addc_u32 s3, s5, s3
	s_cbranch_execz .LBB254_16
	s_branch .LBB254_17
.LBB254_15:
                                        ; implicit-def: $sgpr2_sgpr3
.LBB254_16:
	s_load_b64 s[0:1], s[0:1], 0x38
	s_lshl_b64 s[2:3], s[8:9], 3
	s_waitcnt lgkmcnt(0)
	s_add_u32 s2, s0, s2
	s_addc_u32 s3, s1, s3
.LBB254_17:
	v_mov_b32_e32 v0, 0
	s_waitcnt lgkmcnt(0)
	global_store_b64 v0, v[1:2], s[2:3]
.LBB254_18:
	s_nop 0
	s_sendmsg sendmsg(MSG_DEALLOC_VGPRS)
	s_endpgm
	.section	.rodata,"a",@progbits
	.p2align	6, 0x0
	.amdhsa_kernel _ZL24rocblas_dot_kernel_magsqIlLb0ELi512ELi2ELb1E19rocblas_complex_numIfEPKPKS1_S1_EviT5_lT_liPT6_PT4_
		.amdhsa_group_segment_fixed_size 256
		.amdhsa_private_segment_fixed_size 0
		.amdhsa_kernarg_size 320
		.amdhsa_user_sgpr_count 14
		.amdhsa_user_sgpr_dispatch_ptr 0
		.amdhsa_user_sgpr_queue_ptr 0
		.amdhsa_user_sgpr_kernarg_segment_ptr 1
		.amdhsa_user_sgpr_dispatch_id 0
		.amdhsa_user_sgpr_private_segment_size 0
		.amdhsa_wavefront_size32 1
		.amdhsa_uses_dynamic_stack 0
		.amdhsa_enable_private_segment 0
		.amdhsa_system_sgpr_workgroup_id_x 1
		.amdhsa_system_sgpr_workgroup_id_y 0
		.amdhsa_system_sgpr_workgroup_id_z 1
		.amdhsa_system_sgpr_workgroup_info 0
		.amdhsa_system_vgpr_workitem_id 0
		.amdhsa_next_free_vgpr 11
		.amdhsa_next_free_sgpr 18
		.amdhsa_reserve_vcc 1
		.amdhsa_float_round_mode_32 0
		.amdhsa_float_round_mode_16_64 0
		.amdhsa_float_denorm_mode_32 3
		.amdhsa_float_denorm_mode_16_64 3
		.amdhsa_dx10_clamp 1
		.amdhsa_ieee_mode 1
		.amdhsa_fp16_overflow 0
		.amdhsa_workgroup_processor_mode 1
		.amdhsa_memory_ordered 1
		.amdhsa_forward_progress 0
		.amdhsa_shared_vgpr_count 0
		.amdhsa_exception_fp_ieee_invalid_op 0
		.amdhsa_exception_fp_denorm_src 0
		.amdhsa_exception_fp_ieee_div_zero 0
		.amdhsa_exception_fp_ieee_overflow 0
		.amdhsa_exception_fp_ieee_underflow 0
		.amdhsa_exception_fp_ieee_inexact 0
		.amdhsa_exception_int_div_zero 0
	.end_amdhsa_kernel
	.section	.text._ZL24rocblas_dot_kernel_magsqIlLb0ELi512ELi2ELb1E19rocblas_complex_numIfEPKPKS1_S1_EviT5_lT_liPT6_PT4_,"axG",@progbits,_ZL24rocblas_dot_kernel_magsqIlLb0ELi512ELi2ELb1E19rocblas_complex_numIfEPKPKS1_S1_EviT5_lT_liPT6_PT4_,comdat
.Lfunc_end254:
	.size	_ZL24rocblas_dot_kernel_magsqIlLb0ELi512ELi2ELb1E19rocblas_complex_numIfEPKPKS1_S1_EviT5_lT_liPT6_PT4_, .Lfunc_end254-_ZL24rocblas_dot_kernel_magsqIlLb0ELi512ELi2ELb1E19rocblas_complex_numIfEPKPKS1_S1_EviT5_lT_liPT6_PT4_
                                        ; -- End function
	.section	.AMDGPU.csdata,"",@progbits
; Kernel info:
; codeLenInByte = 1104
; NumSgprs: 20
; NumVgprs: 11
; ScratchSize: 0
; MemoryBound: 0
; FloatMode: 240
; IeeeMode: 1
; LDSByteSize: 256 bytes/workgroup (compile time only)
; SGPRBlocks: 2
; VGPRBlocks: 1
; NumSGPRsForWavesPerEU: 20
; NumVGPRsForWavesPerEU: 11
; Occupancy: 16
; WaveLimiterHint : 1
; COMPUTE_PGM_RSRC2:SCRATCH_EN: 0
; COMPUTE_PGM_RSRC2:USER_SGPR: 14
; COMPUTE_PGM_RSRC2:TRAP_HANDLER: 0
; COMPUTE_PGM_RSRC2:TGID_X_EN: 1
; COMPUTE_PGM_RSRC2:TGID_Y_EN: 0
; COMPUTE_PGM_RSRC2:TGID_Z_EN: 1
; COMPUTE_PGM_RSRC2:TIDIG_COMP_CNT: 0
	.section	.text._ZL28rocblas_dot_batched_4_kernelIiLi32ELi4ELb1E19rocblas_complex_numIdES1_PKPKS1_EviT5_lT_lS6_lS7_liPT4_,"axG",@progbits,_ZL28rocblas_dot_batched_4_kernelIiLi32ELi4ELb1E19rocblas_complex_numIdES1_PKPKS1_EviT5_lT_lS6_lS7_liPT4_,comdat
	.globl	_ZL28rocblas_dot_batched_4_kernelIiLi32ELi4ELb1E19rocblas_complex_numIdES1_PKPKS1_EviT5_lT_lS6_lS7_liPT4_ ; -- Begin function _ZL28rocblas_dot_batched_4_kernelIiLi32ELi4ELb1E19rocblas_complex_numIdES1_PKPKS1_EviT5_lT_lS6_lS7_liPT4_
	.p2align	8
	.type	_ZL28rocblas_dot_batched_4_kernelIiLi32ELi4ELb1E19rocblas_complex_numIdES1_PKPKS1_EviT5_lT_lS6_lS7_liPT4_,@function
_ZL28rocblas_dot_batched_4_kernelIiLi32ELi4ELb1E19rocblas_complex_numIdES1_PKPKS1_EviT5_lT_lS6_lS7_liPT4_: ; @_ZL28rocblas_dot_batched_4_kernelIiLi32ELi4ELb1E19rocblas_complex_numIdES1_PKPKS1_EviT5_lT_lS6_lS7_liPT4_
; %bb.0:
	s_load_b32 s2, s[0:1], 0x48
	v_bfe_u32 v1, v0, 10, 10
	s_delay_alu instid0(VALU_DEP_1) | instskip(SKIP_1) | instid1(VALU_DEP_1)
	v_lshl_add_u32 v1, s15, 2, v1
	s_waitcnt lgkmcnt(0)
	v_cmp_gt_u32_e32 vcc_lo, s2, v1
	s_and_saveexec_b32 s2, vcc_lo
	s_cbranch_execz .LBB255_7
; %bb.1:
	s_clause 0x1
	s_load_b32 s12, s[0:1], 0x0
	s_load_b64 s[2:3], s[0:1], 0x50
	v_dual_mov_b32 v3, 0 :: v_dual_and_b32 v0, 0x3ff, v0
	v_mov_b32_e32 v4, 0
	v_mov_b32_e32 v2, 0
	s_mov_b32 s13, exec_lo
	s_delay_alu instid0(VALU_DEP_2)
	v_dual_mov_b32 v6, v4 :: v_dual_mov_b32 v5, v3
	s_waitcnt lgkmcnt(0)
	v_cmpx_gt_i32_e64 s12, v0
	s_cbranch_execz .LBB255_5
; %bb.2:
	s_clause 0x1
	s_load_b128 s[8:11], s[0:1], 0x28
	s_load_b128 s[4:7], s[0:1], 0x8
	v_lshlrev_b64 v[3:4], 3, v[1:2]
	s_clause 0x1
	s_load_b32 s14, s[0:1], 0x18
	s_load_b32 s0, s[0:1], 0x38
	v_mov_b32_e32 v11, v0
	s_waitcnt lgkmcnt(0)
	v_add_co_u32 v5, vcc_lo, s8, v3
	v_add_co_ci_u32_e32 v6, vcc_lo, s9, v4, vcc_lo
	v_add_co_u32 v3, vcc_lo, s4, v3
	v_add_co_ci_u32_e32 v4, vcc_lo, s5, v4, vcc_lo
	global_load_b64 v[5:6], v[5:6], off
	global_load_b64 v[7:8], v[3:4], off
	v_mad_i64_i32 v[9:10], null, s0, v0, 0
	v_mad_i64_i32 v[12:13], null, s14, v0, 0
	s_lshl_b64 s[4:5], s[10:11], 4
	s_lshl_b64 s[6:7], s[6:7], 4
	v_mov_b32_e32 v3, 0
	v_mov_b32_e32 v4, 0
	s_delay_alu instid0(VALU_DEP_4) | instskip(SKIP_1) | instid1(VALU_DEP_4)
	v_lshlrev_b64 v[9:10], 4, v[9:10]
	s_ashr_i32 s15, s14, 31
	v_lshlrev_b64 v[12:13], 4, v[12:13]
	s_ashr_i32 s1, s0, 31
	s_delay_alu instid0(VALU_DEP_2) | instskip(NEXT) | instid1(VALU_DEP_3)
	v_add_co_u32 v9, vcc_lo, v9, s4
	v_add_co_ci_u32_e32 v10, vcc_lo, s5, v10, vcc_lo
	s_delay_alu instid0(VALU_DEP_3) | instskip(NEXT) | instid1(VALU_DEP_4)
	v_add_co_u32 v12, vcc_lo, v12, s6
	v_add_co_ci_u32_e32 v13, vcc_lo, s7, v13, vcc_lo
	s_lshl_b64 s[4:5], s[0:1], 9
	s_lshl_b64 s[6:7], s[14:15], 9
	s_mov_b32 s1, 0
	s_waitcnt vmcnt(1)
	v_add_co_u32 v5, vcc_lo, v9, v5
	v_add_co_ci_u32_e32 v6, vcc_lo, v10, v6, vcc_lo
	s_waitcnt vmcnt(0)
	v_add_co_u32 v9, vcc_lo, v12, v7
	v_add_co_ci_u32_e32 v10, vcc_lo, v13, v8, vcc_lo
	v_add_co_u32 v7, vcc_lo, v5, 8
	v_add_co_ci_u32_e32 v8, vcc_lo, 0, v6, vcc_lo
	s_delay_alu instid0(VALU_DEP_4) | instskip(NEXT) | instid1(VALU_DEP_4)
	v_add_co_u32 v9, vcc_lo, v9, 8
	v_add_co_ci_u32_e32 v10, vcc_lo, 0, v10, vcc_lo
	v_dual_mov_b32 v6, v4 :: v_dual_mov_b32 v5, v3
	.p2align	6
.LBB255_3:                              ; =>This Inner Loop Header: Depth=1
	global_load_b128 v[12:15], v[9:10], off offset:-8
	global_load_b128 v[16:19], v[7:8], off offset:-8
	v_add_nc_u32_e32 v11, 32, v11
	v_add_co_u32 v7, vcc_lo, v7, s4
	v_add_co_ci_u32_e32 v8, vcc_lo, s5, v8, vcc_lo
	s_delay_alu instid0(VALU_DEP_3) | instskip(SKIP_1) | instid1(VALU_DEP_1)
	v_cmp_le_i32_e32 vcc_lo, s12, v11
	v_add_co_u32 v9, s0, v9, s6
	v_add_co_ci_u32_e64 v10, s0, s7, v10, s0
	s_or_b32 s1, vcc_lo, s1
	s_waitcnt vmcnt(0)
	v_mul_f64 v[20:21], v[14:15], v[18:19]
	v_mul_f64 v[14:15], v[14:15], v[16:17]
	s_delay_alu instid0(VALU_DEP_2) | instskip(NEXT) | instid1(VALU_DEP_2)
	v_fma_f64 v[16:17], v[12:13], v[16:17], v[20:21]
	v_fma_f64 v[12:13], v[12:13], v[18:19], -v[14:15]
	s_delay_alu instid0(VALU_DEP_2) | instskip(NEXT) | instid1(VALU_DEP_2)
	v_add_f64 v[3:4], v[3:4], v[16:17]
	v_add_f64 v[5:6], v[5:6], v[12:13]
	s_and_not1_b32 exec_lo, exec_lo, s1
	s_cbranch_execnz .LBB255_3
; %bb.4:
	s_or_b32 exec_lo, exec_lo, s1
.LBB255_5:
	s_delay_alu instid0(SALU_CYCLE_1)
	s_or_b32 exec_lo, exec_lo, s13
	v_mbcnt_lo_u32_b32 v11, -1, 0
	s_barrier
	buffer_gl0_inv
	v_cmp_gt_u32_e32 vcc_lo, 16, v11
	v_cndmask_b32_e64 v7, 0, 1, vcc_lo
	v_cmp_gt_u32_e32 vcc_lo, 24, v11
	s_delay_alu instid0(VALU_DEP_2) | instskip(NEXT) | instid1(VALU_DEP_1)
	v_lshlrev_b32_e32 v7, 4, v7
	v_add_lshl_u32 v10, v7, v11, 2
	ds_bpermute_b32 v7, v10, v3
	ds_bpermute_b32 v8, v10, v4
	;; [unrolled: 1-line block ×4, first 2 shown]
	s_waitcnt lgkmcnt(2)
	v_add_f64 v[3:4], v[3:4], v[7:8]
	v_cndmask_b32_e64 v7, 0, 1, vcc_lo
	s_waitcnt lgkmcnt(0)
	v_add_f64 v[5:6], v[5:6], v[9:10]
	v_cmp_gt_u32_e32 vcc_lo, 28, v11
	s_delay_alu instid0(VALU_DEP_3) | instskip(NEXT) | instid1(VALU_DEP_1)
	v_lshlrev_b32_e32 v7, 3, v7
	v_add_lshl_u32 v10, v7, v11, 2
	ds_bpermute_b32 v7, v10, v3
	ds_bpermute_b32 v8, v10, v4
	;; [unrolled: 1-line block ×4, first 2 shown]
	s_waitcnt lgkmcnt(2)
	v_add_f64 v[3:4], v[3:4], v[7:8]
	v_cndmask_b32_e64 v7, 0, 1, vcc_lo
	s_waitcnt lgkmcnt(0)
	v_add_f64 v[5:6], v[5:6], v[9:10]
	v_cmp_gt_u32_e32 vcc_lo, 30, v11
	s_delay_alu instid0(VALU_DEP_3) | instskip(NEXT) | instid1(VALU_DEP_1)
	v_lshlrev_b32_e32 v7, 2, v7
	v_add_lshl_u32 v10, v7, v11, 2
	ds_bpermute_b32 v7, v10, v3
	ds_bpermute_b32 v8, v10, v4
	;; [unrolled: 1-line block ×4, first 2 shown]
	s_waitcnt lgkmcnt(2)
	v_add_f64 v[3:4], v[3:4], v[7:8]
	v_cndmask_b32_e64 v7, 0, 1, vcc_lo
	s_waitcnt lgkmcnt(0)
	v_add_f64 v[5:6], v[5:6], v[9:10]
	v_cmp_ne_u32_e32 vcc_lo, 31, v11
	s_delay_alu instid0(VALU_DEP_3) | instskip(NEXT) | instid1(VALU_DEP_1)
	v_lshlrev_b32_e32 v7, 1, v7
	v_add_lshl_u32 v10, v7, v11, 2
	ds_bpermute_b32 v7, v10, v3
	ds_bpermute_b32 v8, v10, v4
	;; [unrolled: 1-line block ×4, first 2 shown]
	s_waitcnt lgkmcnt(2)
	v_add_f64 v[3:4], v[3:4], v[7:8]
	s_waitcnt lgkmcnt(0)
	v_add_f64 v[7:8], v[5:6], v[9:10]
	v_add_co_ci_u32_e32 v5, vcc_lo, 0, v11, vcc_lo
	v_cmp_eq_u32_e32 vcc_lo, 0, v0
	s_delay_alu instid0(VALU_DEP_2)
	v_lshlrev_b32_e32 v10, 2, v5
	ds_bpermute_b32 v5, v10, v3
	ds_bpermute_b32 v6, v10, v4
	ds_bpermute_b32 v9, v10, v7
	ds_bpermute_b32 v10, v10, v8
	s_and_b32 exec_lo, exec_lo, vcc_lo
	s_cbranch_execz .LBB255_7
; %bb.6:
	s_waitcnt lgkmcnt(0)
	v_add_f64 v[7:8], v[7:8], v[9:10]
	v_add_f64 v[5:6], v[3:4], v[5:6]
	v_lshlrev_b64 v[0:1], 4, v[1:2]
	s_delay_alu instid0(VALU_DEP_1) | instskip(NEXT) | instid1(VALU_DEP_2)
	v_add_co_u32 v0, vcc_lo, s2, v0
	v_add_co_ci_u32_e32 v1, vcc_lo, s3, v1, vcc_lo
	global_store_b128 v[0:1], v[5:8], off
.LBB255_7:
	s_nop 0
	s_sendmsg sendmsg(MSG_DEALLOC_VGPRS)
	s_endpgm
	.section	.rodata,"a",@progbits
	.p2align	6, 0x0
	.amdhsa_kernel _ZL28rocblas_dot_batched_4_kernelIiLi32ELi4ELb1E19rocblas_complex_numIdES1_PKPKS1_EviT5_lT_lS6_lS7_liPT4_
		.amdhsa_group_segment_fixed_size 0
		.amdhsa_private_segment_fixed_size 0
		.amdhsa_kernarg_size 88
		.amdhsa_user_sgpr_count 15
		.amdhsa_user_sgpr_dispatch_ptr 0
		.amdhsa_user_sgpr_queue_ptr 0
		.amdhsa_user_sgpr_kernarg_segment_ptr 1
		.amdhsa_user_sgpr_dispatch_id 0
		.amdhsa_user_sgpr_private_segment_size 0
		.amdhsa_wavefront_size32 1
		.amdhsa_uses_dynamic_stack 0
		.amdhsa_enable_private_segment 0
		.amdhsa_system_sgpr_workgroup_id_x 1
		.amdhsa_system_sgpr_workgroup_id_y 0
		.amdhsa_system_sgpr_workgroup_id_z 0
		.amdhsa_system_sgpr_workgroup_info 0
		.amdhsa_system_vgpr_workitem_id 1
		.amdhsa_next_free_vgpr 22
		.amdhsa_next_free_sgpr 16
		.amdhsa_reserve_vcc 1
		.amdhsa_float_round_mode_32 0
		.amdhsa_float_round_mode_16_64 0
		.amdhsa_float_denorm_mode_32 3
		.amdhsa_float_denorm_mode_16_64 3
		.amdhsa_dx10_clamp 1
		.amdhsa_ieee_mode 1
		.amdhsa_fp16_overflow 0
		.amdhsa_workgroup_processor_mode 1
		.amdhsa_memory_ordered 1
		.amdhsa_forward_progress 0
		.amdhsa_shared_vgpr_count 0
		.amdhsa_exception_fp_ieee_invalid_op 0
		.amdhsa_exception_fp_denorm_src 0
		.amdhsa_exception_fp_ieee_div_zero 0
		.amdhsa_exception_fp_ieee_overflow 0
		.amdhsa_exception_fp_ieee_underflow 0
		.amdhsa_exception_fp_ieee_inexact 0
		.amdhsa_exception_int_div_zero 0
	.end_amdhsa_kernel
	.section	.text._ZL28rocblas_dot_batched_4_kernelIiLi32ELi4ELb1E19rocblas_complex_numIdES1_PKPKS1_EviT5_lT_lS6_lS7_liPT4_,"axG",@progbits,_ZL28rocblas_dot_batched_4_kernelIiLi32ELi4ELb1E19rocblas_complex_numIdES1_PKPKS1_EviT5_lT_lS6_lS7_liPT4_,comdat
.Lfunc_end255:
	.size	_ZL28rocblas_dot_batched_4_kernelIiLi32ELi4ELb1E19rocblas_complex_numIdES1_PKPKS1_EviT5_lT_lS6_lS7_liPT4_, .Lfunc_end255-_ZL28rocblas_dot_batched_4_kernelIiLi32ELi4ELb1E19rocblas_complex_numIdES1_PKPKS1_EviT5_lT_lS6_lS7_liPT4_
                                        ; -- End function
	.section	.AMDGPU.csdata,"",@progbits
; Kernel info:
; codeLenInByte = 1004
; NumSgprs: 18
; NumVgprs: 22
; ScratchSize: 0
; MemoryBound: 0
; FloatMode: 240
; IeeeMode: 1
; LDSByteSize: 0 bytes/workgroup (compile time only)
; SGPRBlocks: 2
; VGPRBlocks: 2
; NumSGPRsForWavesPerEU: 18
; NumVGPRsForWavesPerEU: 22
; Occupancy: 16
; WaveLimiterHint : 0
; COMPUTE_PGM_RSRC2:SCRATCH_EN: 0
; COMPUTE_PGM_RSRC2:USER_SGPR: 15
; COMPUTE_PGM_RSRC2:TRAP_HANDLER: 0
; COMPUTE_PGM_RSRC2:TGID_X_EN: 1
; COMPUTE_PGM_RSRC2:TGID_Y_EN: 0
; COMPUTE_PGM_RSRC2:TGID_Z_EN: 0
; COMPUTE_PGM_RSRC2:TIDIG_COMP_CNT: 1
	.section	.text._ZL28rocblas_dot_batched_4_kernelIiLi64ELi4ELb1E19rocblas_complex_numIdES1_PKPKS1_EviT5_lT_lS6_lS7_liPT4_,"axG",@progbits,_ZL28rocblas_dot_batched_4_kernelIiLi64ELi4ELb1E19rocblas_complex_numIdES1_PKPKS1_EviT5_lT_lS6_lS7_liPT4_,comdat
	.globl	_ZL28rocblas_dot_batched_4_kernelIiLi64ELi4ELb1E19rocblas_complex_numIdES1_PKPKS1_EviT5_lT_lS6_lS7_liPT4_ ; -- Begin function _ZL28rocblas_dot_batched_4_kernelIiLi64ELi4ELb1E19rocblas_complex_numIdES1_PKPKS1_EviT5_lT_lS6_lS7_liPT4_
	.p2align	8
	.type	_ZL28rocblas_dot_batched_4_kernelIiLi64ELi4ELb1E19rocblas_complex_numIdES1_PKPKS1_EviT5_lT_lS6_lS7_liPT4_,@function
_ZL28rocblas_dot_batched_4_kernelIiLi64ELi4ELb1E19rocblas_complex_numIdES1_PKPKS1_EviT5_lT_lS6_lS7_liPT4_: ; @_ZL28rocblas_dot_batched_4_kernelIiLi64ELi4ELb1E19rocblas_complex_numIdES1_PKPKS1_EviT5_lT_lS6_lS7_liPT4_
; %bb.0:
	s_load_b32 s2, s[0:1], 0x48
	v_bfe_u32 v1, v0, 10, 10
	s_delay_alu instid0(VALU_DEP_1) | instskip(SKIP_1) | instid1(VALU_DEP_1)
	v_lshl_add_u32 v1, s15, 2, v1
	s_waitcnt lgkmcnt(0)
	v_cmp_gt_u32_e32 vcc_lo, s2, v1
	s_and_saveexec_b32 s2, vcc_lo
	s_cbranch_execz .LBB256_7
; %bb.1:
	s_clause 0x1
	s_load_b32 s12, s[0:1], 0x0
	s_load_b64 s[2:3], s[0:1], 0x50
	v_dual_mov_b32 v3, 0 :: v_dual_and_b32 v0, 0x3ff, v0
	v_mov_b32_e32 v4, 0
	v_mov_b32_e32 v2, 0
	s_mov_b32 s13, exec_lo
	s_delay_alu instid0(VALU_DEP_2)
	v_dual_mov_b32 v6, v4 :: v_dual_mov_b32 v5, v3
	s_waitcnt lgkmcnt(0)
	v_cmpx_gt_i32_e64 s12, v0
	s_cbranch_execz .LBB256_5
; %bb.2:
	s_clause 0x1
	s_load_b128 s[8:11], s[0:1], 0x28
	s_load_b128 s[4:7], s[0:1], 0x8
	v_lshlrev_b64 v[3:4], 3, v[1:2]
	s_clause 0x1
	s_load_b32 s14, s[0:1], 0x18
	s_load_b32 s0, s[0:1], 0x38
	v_mov_b32_e32 v11, v0
	s_waitcnt lgkmcnt(0)
	v_add_co_u32 v5, vcc_lo, s8, v3
	v_add_co_ci_u32_e32 v6, vcc_lo, s9, v4, vcc_lo
	v_add_co_u32 v3, vcc_lo, s4, v3
	v_add_co_ci_u32_e32 v4, vcc_lo, s5, v4, vcc_lo
	global_load_b64 v[5:6], v[5:6], off
	global_load_b64 v[7:8], v[3:4], off
	v_mad_i64_i32 v[9:10], null, s0, v0, 0
	v_mad_i64_i32 v[12:13], null, s14, v0, 0
	s_lshl_b64 s[4:5], s[10:11], 4
	s_lshl_b64 s[6:7], s[6:7], 4
	v_mov_b32_e32 v3, 0
	v_mov_b32_e32 v4, 0
	s_delay_alu instid0(VALU_DEP_4) | instskip(SKIP_1) | instid1(VALU_DEP_4)
	v_lshlrev_b64 v[9:10], 4, v[9:10]
	s_ashr_i32 s15, s14, 31
	v_lshlrev_b64 v[12:13], 4, v[12:13]
	s_ashr_i32 s1, s0, 31
	s_delay_alu instid0(VALU_DEP_2) | instskip(NEXT) | instid1(VALU_DEP_3)
	v_add_co_u32 v9, vcc_lo, v9, s4
	v_add_co_ci_u32_e32 v10, vcc_lo, s5, v10, vcc_lo
	s_delay_alu instid0(VALU_DEP_3) | instskip(NEXT) | instid1(VALU_DEP_4)
	v_add_co_u32 v12, vcc_lo, v12, s6
	v_add_co_ci_u32_e32 v13, vcc_lo, s7, v13, vcc_lo
	s_lshl_b64 s[4:5], s[0:1], 10
	s_lshl_b64 s[6:7], s[14:15], 10
	s_mov_b32 s1, 0
	s_waitcnt vmcnt(1)
	v_add_co_u32 v5, vcc_lo, v9, v5
	v_add_co_ci_u32_e32 v6, vcc_lo, v10, v6, vcc_lo
	s_waitcnt vmcnt(0)
	v_add_co_u32 v9, vcc_lo, v12, v7
	v_add_co_ci_u32_e32 v10, vcc_lo, v13, v8, vcc_lo
	v_add_co_u32 v7, vcc_lo, v5, 8
	v_add_co_ci_u32_e32 v8, vcc_lo, 0, v6, vcc_lo
	s_delay_alu instid0(VALU_DEP_4) | instskip(NEXT) | instid1(VALU_DEP_4)
	v_add_co_u32 v9, vcc_lo, v9, 8
	v_add_co_ci_u32_e32 v10, vcc_lo, 0, v10, vcc_lo
	v_dual_mov_b32 v6, v4 :: v_dual_mov_b32 v5, v3
	.p2align	6
.LBB256_3:                              ; =>This Inner Loop Header: Depth=1
	global_load_b128 v[12:15], v[9:10], off offset:-8
	global_load_b128 v[16:19], v[7:8], off offset:-8
	v_add_nc_u32_e32 v11, 64, v11
	v_add_co_u32 v7, vcc_lo, v7, s4
	v_add_co_ci_u32_e32 v8, vcc_lo, s5, v8, vcc_lo
	s_delay_alu instid0(VALU_DEP_3) | instskip(SKIP_1) | instid1(VALU_DEP_1)
	v_cmp_le_i32_e32 vcc_lo, s12, v11
	v_add_co_u32 v9, s0, v9, s6
	v_add_co_ci_u32_e64 v10, s0, s7, v10, s0
	s_or_b32 s1, vcc_lo, s1
	s_waitcnt vmcnt(0)
	v_mul_f64 v[20:21], v[14:15], v[18:19]
	v_mul_f64 v[14:15], v[14:15], v[16:17]
	s_delay_alu instid0(VALU_DEP_2) | instskip(NEXT) | instid1(VALU_DEP_2)
	v_fma_f64 v[16:17], v[12:13], v[16:17], v[20:21]
	v_fma_f64 v[12:13], v[12:13], v[18:19], -v[14:15]
	s_delay_alu instid0(VALU_DEP_2) | instskip(NEXT) | instid1(VALU_DEP_2)
	v_add_f64 v[3:4], v[3:4], v[16:17]
	v_add_f64 v[5:6], v[5:6], v[12:13]
	s_and_not1_b32 exec_lo, exec_lo, s1
	s_cbranch_execnz .LBB256_3
; %bb.4:
	s_or_b32 exec_lo, exec_lo, s1
.LBB256_5:
	s_delay_alu instid0(SALU_CYCLE_1)
	s_or_b32 exec_lo, exec_lo, s13
	v_mbcnt_lo_u32_b32 v11, -1, 0
	s_barrier
	buffer_gl0_inv
	v_lshlrev_b32_e32 v10, 2, v11
	v_cmp_gt_u32_e32 vcc_lo, 16, v11
	ds_bpermute_b32 v7, v10, v3
	ds_bpermute_b32 v8, v10, v4
	ds_bpermute_b32 v9, v10, v5
	ds_bpermute_b32 v10, v10, v6
	s_waitcnt lgkmcnt(2)
	v_add_f64 v[3:4], v[3:4], v[7:8]
	v_cndmask_b32_e64 v7, 0, 1, vcc_lo
	s_waitcnt lgkmcnt(0)
	v_add_f64 v[5:6], v[5:6], v[9:10]
	v_cmp_gt_u32_e32 vcc_lo, 24, v11
	s_delay_alu instid0(VALU_DEP_3) | instskip(NEXT) | instid1(VALU_DEP_1)
	v_lshlrev_b32_e32 v7, 4, v7
	v_add_lshl_u32 v10, v7, v11, 2
	ds_bpermute_b32 v7, v10, v3
	ds_bpermute_b32 v8, v10, v4
	ds_bpermute_b32 v9, v10, v5
	ds_bpermute_b32 v10, v10, v6
	s_waitcnt lgkmcnt(2)
	v_add_f64 v[3:4], v[3:4], v[7:8]
	v_cndmask_b32_e64 v7, 0, 1, vcc_lo
	s_waitcnt lgkmcnt(0)
	v_add_f64 v[5:6], v[5:6], v[9:10]
	v_cmp_gt_u32_e32 vcc_lo, 28, v11
	s_delay_alu instid0(VALU_DEP_3) | instskip(NEXT) | instid1(VALU_DEP_1)
	v_lshlrev_b32_e32 v7, 3, v7
	v_add_lshl_u32 v10, v7, v11, 2
	;; [unrolled: 13-line block ×3, first 2 shown]
	ds_bpermute_b32 v7, v10, v3
	ds_bpermute_b32 v8, v10, v4
	;; [unrolled: 1-line block ×4, first 2 shown]
	s_waitcnt lgkmcnt(2)
	v_add_f64 v[3:4], v[3:4], v[7:8]
	v_cndmask_b32_e64 v7, 0, 1, vcc_lo
	s_waitcnt lgkmcnt(0)
	v_add_f64 v[5:6], v[5:6], v[9:10]
	v_cmp_ne_u32_e32 vcc_lo, 31, v11
	s_delay_alu instid0(VALU_DEP_3) | instskip(NEXT) | instid1(VALU_DEP_1)
	v_lshlrev_b32_e32 v7, 1, v7
	v_add_lshl_u32 v10, v7, v11, 2
	ds_bpermute_b32 v7, v10, v3
	ds_bpermute_b32 v8, v10, v4
	;; [unrolled: 1-line block ×4, first 2 shown]
	s_waitcnt lgkmcnt(2)
	v_add_f64 v[3:4], v[3:4], v[7:8]
	s_waitcnt lgkmcnt(0)
	v_add_f64 v[7:8], v[5:6], v[9:10]
	v_add_co_ci_u32_e32 v5, vcc_lo, 0, v11, vcc_lo
	v_cmp_eq_u32_e32 vcc_lo, 0, v0
	s_delay_alu instid0(VALU_DEP_2)
	v_lshlrev_b32_e32 v10, 2, v5
	ds_bpermute_b32 v5, v10, v3
	ds_bpermute_b32 v6, v10, v4
	;; [unrolled: 1-line block ×4, first 2 shown]
	s_and_b32 exec_lo, exec_lo, vcc_lo
	s_cbranch_execz .LBB256_7
; %bb.6:
	s_waitcnt lgkmcnt(0)
	v_add_f64 v[7:8], v[7:8], v[9:10]
	v_add_f64 v[5:6], v[3:4], v[5:6]
	v_lshlrev_b64 v[0:1], 4, v[1:2]
	s_delay_alu instid0(VALU_DEP_1) | instskip(NEXT) | instid1(VALU_DEP_2)
	v_add_co_u32 v0, vcc_lo, s2, v0
	v_add_co_ci_u32_e32 v1, vcc_lo, s3, v1, vcc_lo
	global_store_b128 v[0:1], v[5:8], off
.LBB256_7:
	s_nop 0
	s_sendmsg sendmsg(MSG_DEALLOC_VGPRS)
	s_endpgm
	.section	.rodata,"a",@progbits
	.p2align	6, 0x0
	.amdhsa_kernel _ZL28rocblas_dot_batched_4_kernelIiLi64ELi4ELb1E19rocblas_complex_numIdES1_PKPKS1_EviT5_lT_lS6_lS7_liPT4_
		.amdhsa_group_segment_fixed_size 0
		.amdhsa_private_segment_fixed_size 0
		.amdhsa_kernarg_size 88
		.amdhsa_user_sgpr_count 15
		.amdhsa_user_sgpr_dispatch_ptr 0
		.amdhsa_user_sgpr_queue_ptr 0
		.amdhsa_user_sgpr_kernarg_segment_ptr 1
		.amdhsa_user_sgpr_dispatch_id 0
		.amdhsa_user_sgpr_private_segment_size 0
		.amdhsa_wavefront_size32 1
		.amdhsa_uses_dynamic_stack 0
		.amdhsa_enable_private_segment 0
		.amdhsa_system_sgpr_workgroup_id_x 1
		.amdhsa_system_sgpr_workgroup_id_y 0
		.amdhsa_system_sgpr_workgroup_id_z 0
		.amdhsa_system_sgpr_workgroup_info 0
		.amdhsa_system_vgpr_workitem_id 1
		.amdhsa_next_free_vgpr 22
		.amdhsa_next_free_sgpr 16
		.amdhsa_reserve_vcc 1
		.amdhsa_float_round_mode_32 0
		.amdhsa_float_round_mode_16_64 0
		.amdhsa_float_denorm_mode_32 3
		.amdhsa_float_denorm_mode_16_64 3
		.amdhsa_dx10_clamp 1
		.amdhsa_ieee_mode 1
		.amdhsa_fp16_overflow 0
		.amdhsa_workgroup_processor_mode 1
		.amdhsa_memory_ordered 1
		.amdhsa_forward_progress 0
		.amdhsa_shared_vgpr_count 0
		.amdhsa_exception_fp_ieee_invalid_op 0
		.amdhsa_exception_fp_denorm_src 0
		.amdhsa_exception_fp_ieee_div_zero 0
		.amdhsa_exception_fp_ieee_overflow 0
		.amdhsa_exception_fp_ieee_underflow 0
		.amdhsa_exception_fp_ieee_inexact 0
		.amdhsa_exception_int_div_zero 0
	.end_amdhsa_kernel
	.section	.text._ZL28rocblas_dot_batched_4_kernelIiLi64ELi4ELb1E19rocblas_complex_numIdES1_PKPKS1_EviT5_lT_lS6_lS7_liPT4_,"axG",@progbits,_ZL28rocblas_dot_batched_4_kernelIiLi64ELi4ELb1E19rocblas_complex_numIdES1_PKPKS1_EviT5_lT_lS6_lS7_liPT4_,comdat
.Lfunc_end256:
	.size	_ZL28rocblas_dot_batched_4_kernelIiLi64ELi4ELb1E19rocblas_complex_numIdES1_PKPKS1_EviT5_lT_lS6_lS7_liPT4_, .Lfunc_end256-_ZL28rocblas_dot_batched_4_kernelIiLi64ELi4ELb1E19rocblas_complex_numIdES1_PKPKS1_EviT5_lT_lS6_lS7_liPT4_
                                        ; -- End function
	.section	.AMDGPU.csdata,"",@progbits
; Kernel info:
; codeLenInByte = 1064
; NumSgprs: 18
; NumVgprs: 22
; ScratchSize: 0
; MemoryBound: 0
; FloatMode: 240
; IeeeMode: 1
; LDSByteSize: 0 bytes/workgroup (compile time only)
; SGPRBlocks: 2
; VGPRBlocks: 2
; NumSGPRsForWavesPerEU: 18
; NumVGPRsForWavesPerEU: 22
; Occupancy: 16
; WaveLimiterHint : 0
; COMPUTE_PGM_RSRC2:SCRATCH_EN: 0
; COMPUTE_PGM_RSRC2:USER_SGPR: 15
; COMPUTE_PGM_RSRC2:TRAP_HANDLER: 0
; COMPUTE_PGM_RSRC2:TGID_X_EN: 1
; COMPUTE_PGM_RSRC2:TGID_Y_EN: 0
; COMPUTE_PGM_RSRC2:TGID_Z_EN: 0
; COMPUTE_PGM_RSRC2:TIDIG_COMP_CNT: 1
	.section	.text._ZL26rocblas_dot_kernel_inc1by2ILb1ELi1024ELi32ELb1E19rocblas_complex_numIdEPKPKS1_S1_EviT4_llS6_lliPT5_PT3_,"axG",@progbits,_ZL26rocblas_dot_kernel_inc1by2ILb1ELi1024ELi32ELb1E19rocblas_complex_numIdEPKPKS1_S1_EviT4_llS6_lliPT5_PT3_,comdat
	.globl	_ZL26rocblas_dot_kernel_inc1by2ILb1ELi1024ELi32ELb1E19rocblas_complex_numIdEPKPKS1_S1_EviT4_llS6_lliPT5_PT3_ ; -- Begin function _ZL26rocblas_dot_kernel_inc1by2ILb1ELi1024ELi32ELb1E19rocblas_complex_numIdEPKPKS1_S1_EviT4_llS6_lliPT5_PT3_
	.p2align	8
	.type	_ZL26rocblas_dot_kernel_inc1by2ILb1ELi1024ELi32ELb1E19rocblas_complex_numIdEPKPKS1_S1_EviT4_llS6_lliPT5_PT3_,@function
_ZL26rocblas_dot_kernel_inc1by2ILb1ELi1024ELi32ELb1E19rocblas_complex_numIdEPKPKS1_S1_EviT4_llS6_lliPT5_PT3_: ; @_ZL26rocblas_dot_kernel_inc1by2ILb1ELi1024ELi32ELb1E19rocblas_complex_numIdEPKPKS1_S1_EviT4_llS6_lliPT5_PT3_
; %bb.0:
	s_clause 0x1
	s_load_b32 s6, s[0:1], 0x0
	s_load_b64 s[2:3], s[0:1], 0x48
	v_mov_b32_e32 v1, 0
	v_mov_b32_e32 v2, 0
	s_mov_b32 s4, s15
	s_mov_b32 s5, 0
	s_mov_b32 s7, exec_lo
	s_delay_alu instid0(VALU_DEP_1)
	v_dual_mov_b32 v4, v2 :: v_dual_mov_b32 v3, v1
	s_waitcnt lgkmcnt(0)
	v_cmpx_gt_i32_e64 s6, v0
	s_cbranch_execz .LBB257_4
; %bb.1:
	s_clause 0x1
	s_load_b128 s[8:11], s[0:1], 0x8
	s_load_b128 s[12:15], s[0:1], 0x20
	s_lshl_b64 s[0:1], s[4:5], 3
	v_lshlrev_b32_e32 v3, 4, v0
	v_mov_b32_e32 v1, 0
	v_mov_b32_e32 v2, 0
	v_or_b32_e32 v9, 0x400, v0
	s_waitcnt lgkmcnt(0)
	s_add_u32 s8, s8, s0
	s_addc_u32 s9, s9, s1
	s_add_u32 s0, s12, s0
	s_addc_u32 s1, s13, s1
	s_lshl_b64 s[12:13], s[14:15], 4
	s_load_b64 s[0:1], s[0:1], 0x0
	s_load_b64 s[8:9], s[8:9], 0x0
	s_waitcnt lgkmcnt(0)
	s_add_u32 s12, s0, s12
	s_addc_u32 s13, s1, s13
	s_lshl_b64 s[0:1], s[10:11], 4
	v_add_co_u32 v4, s10, s12, v3
	s_add_u32 s0, s8, s0
	v_add_co_ci_u32_e64 v6, null, s13, 0, s10
	s_addc_u32 s1, s9, s1
	v_add_co_u32 v3, s0, s0, v3
	s_delay_alu instid0(VALU_DEP_1) | instskip(SKIP_2) | instid1(VALU_DEP_4)
	v_add_co_ci_u32_e64 v8, null, s1, 0, s0
	v_add_co_u32 v5, vcc_lo, v4, 8
	v_add_co_ci_u32_e32 v6, vcc_lo, 0, v6, vcc_lo
	v_add_co_u32 v7, vcc_lo, v3, 8
	s_delay_alu instid0(VALU_DEP_4)
	v_add_co_ci_u32_e32 v8, vcc_lo, 0, v8, vcc_lo
	v_dual_mov_b32 v4, v2 :: v_dual_mov_b32 v3, v1
	s_mov_b32 s1, s5
	s_mov_b32 s8, s5
	s_set_inst_prefetch_distance 0x1
	.p2align	6
.LBB257_2:                              ; =>This Inner Loop Header: Depth=1
	global_load_b128 v[10:13], v[5:6], off offset:-8
	global_load_b128 v[14:17], v[7:8], off offset:-8
	s_add_i32 s9, s8, 1
	v_cmp_le_i32_e32 vcc_lo, s6, v9
	v_add_co_u32 v5, s0, 0x4000, v5
	s_cmp_gt_u32 s8, 30
	v_add_co_ci_u32_e64 v6, s0, 0, v6, s0
	s_cselect_b32 s8, -1, 0
	v_add_co_u32 v7, s0, 0x4000, v7
	s_or_b32 s8, s8, vcc_lo
	v_add_nc_u32_e32 v9, 0x400, v9
	v_add_co_ci_u32_e64 v8, vcc_lo, 0, v8, s0
	s_and_b32 s0, exec_lo, s8
	s_mov_b32 s8, s9
	s_or_b32 s1, s0, s1
	s_waitcnt vmcnt(0)
	v_mul_f64 v[18:19], v[12:13], v[16:17]
	v_mul_f64 v[16:17], v[10:11], v[16:17]
	s_delay_alu instid0(VALU_DEP_2) | instskip(NEXT) | instid1(VALU_DEP_2)
	v_fma_f64 v[10:11], v[10:11], v[14:15], v[18:19]
	v_fma_f64 v[12:13], v[12:13], v[14:15], -v[16:17]
	s_delay_alu instid0(VALU_DEP_2) | instskip(NEXT) | instid1(VALU_DEP_2)
	v_add_f64 v[3:4], v[3:4], v[10:11]
	v_add_f64 v[1:2], v[1:2], v[12:13]
	s_and_not1_b32 exec_lo, exec_lo, s1
	s_cbranch_execnz .LBB257_2
; %bb.3:
	s_set_inst_prefetch_distance 0x2
	s_or_b32 exec_lo, exec_lo, s1
.LBB257_4:
	s_delay_alu instid0(SALU_CYCLE_1) | instskip(SKIP_2) | instid1(VALU_DEP_2)
	s_or_b32 exec_lo, exec_lo, s7
	v_and_b32_e32 v15, 31, v0
	v_cmp_gt_u32_e32 vcc_lo, 32, v0
	v_lshlrev_b32_e32 v11, 4, v15
	s_and_saveexec_b32 s0, vcc_lo
	s_cbranch_execz .LBB257_6
; %bb.5:
	v_mov_b32_e32 v5, 0
	s_delay_alu instid0(VALU_DEP_1)
	v_mov_b32_e32 v6, v5
	v_mov_b32_e32 v7, v5
	;; [unrolled: 1-line block ×3, first 2 shown]
	ds_store_b128 v11, v[5:8]
.LBB257_6:
	s_or_b32 exec_lo, exec_lo, s0
	v_mbcnt_lo_u32_b32 v14, -1, 0
	s_mov_b32 s1, exec_lo
	s_waitcnt lgkmcnt(0)
	s_barrier
	buffer_gl0_inv
	v_cmp_gt_u32_e64 s0, 16, v14
	s_delay_alu instid0(VALU_DEP_1) | instskip(SKIP_1) | instid1(VALU_DEP_2)
	v_cndmask_b32_e64 v5, 0, 1, s0
	v_cmp_gt_u32_e64 s0, 24, v14
	v_lshlrev_b32_e32 v5, 4, v5
	s_delay_alu instid0(VALU_DEP_1)
	v_add_lshl_u32 v9, v5, v14, 2
	ds_bpermute_b32 v5, v9, v3
	ds_bpermute_b32 v6, v9, v4
	;; [unrolled: 1-line block ×4, first 2 shown]
	s_waitcnt lgkmcnt(2)
	v_add_f64 v[3:4], v[3:4], v[5:6]
	v_cndmask_b32_e64 v5, 0, 1, s0
	s_waitcnt lgkmcnt(0)
	v_add_f64 v[1:2], v[1:2], v[7:8]
	v_cmp_gt_u32_e64 s0, 28, v14
	s_delay_alu instid0(VALU_DEP_3) | instskip(NEXT) | instid1(VALU_DEP_1)
	v_lshlrev_b32_e32 v5, 3, v5
	v_add_lshl_u32 v10, v5, v14, 2
	ds_bpermute_b32 v5, v10, v3
	ds_bpermute_b32 v6, v10, v4
	;; [unrolled: 1-line block ×4, first 2 shown]
	s_waitcnt lgkmcnt(2)
	v_add_f64 v[3:4], v[3:4], v[5:6]
	v_cndmask_b32_e64 v5, 0, 1, s0
	s_waitcnt lgkmcnt(0)
	v_add_f64 v[1:2], v[1:2], v[7:8]
	v_cmp_gt_u32_e64 s0, 30, v14
	s_delay_alu instid0(VALU_DEP_3) | instskip(NEXT) | instid1(VALU_DEP_1)
	v_lshlrev_b32_e32 v5, 2, v5
	v_add_lshl_u32 v12, v5, v14, 2
	ds_bpermute_b32 v5, v12, v3
	ds_bpermute_b32 v6, v12, v4
	;; [unrolled: 1-line block ×4, first 2 shown]
	s_waitcnt lgkmcnt(2)
	v_add_f64 v[3:4], v[3:4], v[5:6]
	s_waitcnt lgkmcnt(0)
	v_add_f64 v[5:6], v[1:2], v[7:8]
	v_cndmask_b32_e64 v1, 0, 1, s0
	v_cmp_ne_u32_e64 s0, 31, v14
	s_delay_alu instid0(VALU_DEP_2) | instskip(NEXT) | instid1(VALU_DEP_1)
	v_lshlrev_b32_e32 v1, 1, v1
	v_add_lshl_u32 v13, v1, v14, 2
	ds_bpermute_b32 v1, v13, v3
	ds_bpermute_b32 v2, v13, v4
	;; [unrolled: 1-line block ×4, first 2 shown]
	s_waitcnt lgkmcnt(2)
	v_add_f64 v[1:2], v[3:4], v[1:2]
	v_add_co_ci_u32_e64 v3, s0, 0, v14, s0
	s_waitcnt lgkmcnt(0)
	v_add_f64 v[5:6], v[5:6], v[7:8]
	s_delay_alu instid0(VALU_DEP_2)
	v_lshlrev_b32_e32 v14, 2, v3
	ds_bpermute_b32 v3, v14, v1
	ds_bpermute_b32 v4, v14, v2
	ds_bpermute_b32 v7, v14, v5
	ds_bpermute_b32 v8, v14, v6
	v_cmpx_eq_u32_e32 0, v15
	s_cbranch_execz .LBB257_8
; %bb.7:
	s_waitcnt lgkmcnt(0)
	v_add_f64 v[5:6], v[5:6], v[7:8]
	v_add_f64 v[3:4], v[1:2], v[3:4]
	v_lshrrev_b32_e32 v1, 1, v0
	s_delay_alu instid0(VALU_DEP_1)
	v_and_b32_e32 v1, 0x1f0, v1
	ds_store_b128 v1, v[3:6]
.LBB257_8:
	s_or_b32 exec_lo, exec_lo, s1
	s_waitcnt lgkmcnt(2)
	v_mov_b32_e32 v3, 0
	v_mov_b32_e32 v4, 0
	s_delay_alu instid0(VALU_DEP_2)
	v_mov_b32_e32 v1, v3
	s_waitcnt lgkmcnt(0)
	s_barrier
	buffer_gl0_inv
	v_mov_b32_e32 v2, v4
	s_and_saveexec_b32 s0, vcc_lo
	s_cbranch_execz .LBB257_10
; %bb.9:
	ds_load_b128 v[1:4], v11
.LBB257_10:
	s_or_b32 exec_lo, exec_lo, s0
	s_and_saveexec_b32 s0, vcc_lo
	s_cbranch_execz .LBB257_12
; %bb.11:
	s_waitcnt lgkmcnt(0)
	ds_bpermute_b32 v5, v9, v1
	ds_bpermute_b32 v6, v9, v2
	ds_bpermute_b32 v7, v9, v3
	ds_bpermute_b32 v8, v9, v4
	s_waitcnt lgkmcnt(2)
	v_add_f64 v[1:2], v[1:2], v[5:6]
	s_waitcnt lgkmcnt(0)
	v_add_f64 v[3:4], v[3:4], v[7:8]
	ds_bpermute_b32 v5, v10, v1
	ds_bpermute_b32 v6, v10, v2
	ds_bpermute_b32 v7, v10, v3
	ds_bpermute_b32 v8, v10, v4
	s_waitcnt lgkmcnt(2)
	v_add_f64 v[1:2], v[1:2], v[5:6]
	s_waitcnt lgkmcnt(0)
	v_add_f64 v[3:4], v[3:4], v[7:8]
	;; [unrolled: 8-line block ×5, first 2 shown]
.LBB257_12:
	s_or_b32 exec_lo, exec_lo, s0
	s_delay_alu instid0(SALU_CYCLE_1)
	s_mov_b32 s0, exec_lo
	v_cmpx_eq_u32_e32 0, v0
	s_cbranch_execz .LBB257_14
; %bb.13:
	s_lshl_b64 s[0:1], s[4:5], 4
	v_mov_b32_e32 v0, 0
	s_add_u32 s0, s2, s0
	s_addc_u32 s1, s3, s1
	s_waitcnt lgkmcnt(0)
	global_store_b128 v0, v[1:4], s[0:1]
.LBB257_14:
	s_nop 0
	s_sendmsg sendmsg(MSG_DEALLOC_VGPRS)
	s_endpgm
	.section	.rodata,"a",@progbits
	.p2align	6, 0x0
	.amdhsa_kernel _ZL26rocblas_dot_kernel_inc1by2ILb1ELi1024ELi32ELb1E19rocblas_complex_numIdEPKPKS1_S1_EviT4_llS6_lliPT5_PT3_
		.amdhsa_group_segment_fixed_size 512
		.amdhsa_private_segment_fixed_size 0
		.amdhsa_kernarg_size 80
		.amdhsa_user_sgpr_count 14
		.amdhsa_user_sgpr_dispatch_ptr 0
		.amdhsa_user_sgpr_queue_ptr 0
		.amdhsa_user_sgpr_kernarg_segment_ptr 1
		.amdhsa_user_sgpr_dispatch_id 0
		.amdhsa_user_sgpr_private_segment_size 0
		.amdhsa_wavefront_size32 1
		.amdhsa_uses_dynamic_stack 0
		.amdhsa_enable_private_segment 0
		.amdhsa_system_sgpr_workgroup_id_x 1
		.amdhsa_system_sgpr_workgroup_id_y 0
		.amdhsa_system_sgpr_workgroup_id_z 1
		.amdhsa_system_sgpr_workgroup_info 0
		.amdhsa_system_vgpr_workitem_id 0
		.amdhsa_next_free_vgpr 20
		.amdhsa_next_free_sgpr 16
		.amdhsa_reserve_vcc 1
		.amdhsa_float_round_mode_32 0
		.amdhsa_float_round_mode_16_64 0
		.amdhsa_float_denorm_mode_32 3
		.amdhsa_float_denorm_mode_16_64 3
		.amdhsa_dx10_clamp 1
		.amdhsa_ieee_mode 1
		.amdhsa_fp16_overflow 0
		.amdhsa_workgroup_processor_mode 1
		.amdhsa_memory_ordered 1
		.amdhsa_forward_progress 0
		.amdhsa_shared_vgpr_count 0
		.amdhsa_exception_fp_ieee_invalid_op 0
		.amdhsa_exception_fp_denorm_src 0
		.amdhsa_exception_fp_ieee_div_zero 0
		.amdhsa_exception_fp_ieee_overflow 0
		.amdhsa_exception_fp_ieee_underflow 0
		.amdhsa_exception_fp_ieee_inexact 0
		.amdhsa_exception_int_div_zero 0
	.end_amdhsa_kernel
	.section	.text._ZL26rocblas_dot_kernel_inc1by2ILb1ELi1024ELi32ELb1E19rocblas_complex_numIdEPKPKS1_S1_EviT4_llS6_lliPT5_PT3_,"axG",@progbits,_ZL26rocblas_dot_kernel_inc1by2ILb1ELi1024ELi32ELb1E19rocblas_complex_numIdEPKPKS1_S1_EviT4_llS6_lliPT5_PT3_,comdat
.Lfunc_end257:
	.size	_ZL26rocblas_dot_kernel_inc1by2ILb1ELi1024ELi32ELb1E19rocblas_complex_numIdEPKPKS1_S1_EviT4_llS6_lliPT5_PT3_, .Lfunc_end257-_ZL26rocblas_dot_kernel_inc1by2ILb1ELi1024ELi32ELb1E19rocblas_complex_numIdEPKPKS1_S1_EviT4_llS6_lliPT5_PT3_
                                        ; -- End function
	.section	.AMDGPU.csdata,"",@progbits
; Kernel info:
; codeLenInByte = 1400
; NumSgprs: 18
; NumVgprs: 20
; ScratchSize: 0
; MemoryBound: 0
; FloatMode: 240
; IeeeMode: 1
; LDSByteSize: 512 bytes/workgroup (compile time only)
; SGPRBlocks: 2
; VGPRBlocks: 2
; NumSGPRsForWavesPerEU: 18
; NumVGPRsForWavesPerEU: 20
; Occupancy: 16
; WaveLimiterHint : 0
; COMPUTE_PGM_RSRC2:SCRATCH_EN: 0
; COMPUTE_PGM_RSRC2:USER_SGPR: 14
; COMPUTE_PGM_RSRC2:TRAP_HANDLER: 0
; COMPUTE_PGM_RSRC2:TGID_X_EN: 1
; COMPUTE_PGM_RSRC2:TGID_Y_EN: 0
; COMPUTE_PGM_RSRC2:TGID_Z_EN: 1
; COMPUTE_PGM_RSRC2:TIDIG_COMP_CNT: 0
	.section	.text._ZL18rocblas_dot_kernelIiLb1ELi1024ELi32ELb1E19rocblas_complex_numIdEPKPKS1_S1_EviT5_lT_lS6_lS7_liPT6_PT4_,"axG",@progbits,_ZL18rocblas_dot_kernelIiLb1ELi1024ELi32ELb1E19rocblas_complex_numIdEPKPKS1_S1_EviT5_lT_lS6_lS7_liPT6_PT4_,comdat
	.globl	_ZL18rocblas_dot_kernelIiLb1ELi1024ELi32ELb1E19rocblas_complex_numIdEPKPKS1_S1_EviT5_lT_lS6_lS7_liPT6_PT4_ ; -- Begin function _ZL18rocblas_dot_kernelIiLb1ELi1024ELi32ELb1E19rocblas_complex_numIdEPKPKS1_S1_EviT5_lT_lS6_lS7_liPT6_PT4_
	.p2align	8
	.type	_ZL18rocblas_dot_kernelIiLb1ELi1024ELi32ELb1E19rocblas_complex_numIdEPKPKS1_S1_EviT5_lT_lS6_lS7_liPT6_PT4_,@function
_ZL18rocblas_dot_kernelIiLb1ELi1024ELi32ELb1E19rocblas_complex_numIdEPKPKS1_S1_EviT5_lT_lS6_lS7_liPT6_PT4_: ; @_ZL18rocblas_dot_kernelIiLb1ELi1024ELi32ELb1E19rocblas_complex_numIdEPKPKS1_S1_EviT5_lT_lS6_lS7_liPT6_PT4_
; %bb.0:
	s_clause 0x1
	s_load_b32 s14, s[0:1], 0x0
	s_load_b64 s[2:3], s[0:1], 0x58
	v_mov_b32_e32 v1, 0
	v_mov_b32_e32 v2, 0
	s_mov_b32 s12, s15
	s_mov_b32 s13, 0
	s_mov_b32 s15, exec_lo
	s_delay_alu instid0(VALU_DEP_1)
	v_dual_mov_b32 v4, v2 :: v_dual_mov_b32 v3, v1
	s_waitcnt lgkmcnt(0)
	v_cmpx_gt_i32_e64 s14, v0
	s_cbranch_execz .LBB258_4
; %bb.1:
	s_clause 0x4
	s_load_b128 s[8:11], s[0:1], 0x8
	s_load_b128 s[4:7], s[0:1], 0x28
	s_load_b32 s18, s[0:1], 0x18
	s_load_b32 s20, s[0:1], 0x38
	;; [unrolled: 1-line block ×3, first 2 shown]
	s_lshl_b64 s[0:1], s[12:13], 3
	v_mov_b32_e32 v1, 0
	v_mov_b32_e32 v2, 0
	s_waitcnt lgkmcnt(0)
	s_add_u32 s8, s8, s0
	s_addc_u32 s9, s9, s1
	s_add_u32 s0, s4, s0
	s_load_b64 s[8:9], s[8:9], 0x0
	s_addc_u32 s1, s5, s1
	v_mad_i64_i32 v[3:4], null, s18, v0, 0
	s_load_b64 s[16:17], s[0:1], 0x0
	v_mad_i64_i32 v[5:6], null, s20, v0, 0
	s_lshl_b32 s1, s19, 10
	s_lshl_b64 s[4:5], s[10:11], 4
	s_mul_hi_i32 s11, s18, s1
	s_delay_alu instid0(VALU_DEP_2) | instskip(SKIP_2) | instid1(VALU_DEP_3)
	v_lshlrev_b64 v[3:4], 4, v[3:4]
	s_mul_i32 s10, s18, s1
	v_or_b32_e32 v9, s1, v0
	v_lshlrev_b64 v[5:6], 4, v[5:6]
	s_mul_hi_i32 s19, s20, s1
	s_mul_i32 s18, s20, s1
	s_waitcnt lgkmcnt(0)
	s_add_u32 s0, s8, s4
	s_addc_u32 s8, s9, s5
	s_lshl_b64 s[6:7], s[6:7], 4
	s_lshl_b64 s[4:5], s[10:11], 4
	v_add_co_u32 v3, vcc_lo, s0, v3
	s_add_u32 s0, s16, s6
	v_add_co_ci_u32_e32 v4, vcc_lo, s8, v4, vcc_lo
	s_addc_u32 s6, s17, s7
	v_add_co_u32 v7, vcc_lo, s0, v5
	v_add_co_ci_u32_e32 v8, vcc_lo, s6, v6, vcc_lo
	v_add_co_u32 v5, vcc_lo, v3, 8
	v_add_co_ci_u32_e32 v6, vcc_lo, 0, v4, vcc_lo
	s_delay_alu instid0(VALU_DEP_4) | instskip(NEXT) | instid1(VALU_DEP_4)
	v_add_co_u32 v7, vcc_lo, v7, 8
	v_add_co_ci_u32_e32 v8, vcc_lo, 0, v8, vcc_lo
	v_dual_mov_b32 v4, v2 :: v_dual_mov_b32 v3, v1
	s_lshl_b64 s[6:7], s[18:19], 4
	s_mov_b32 s8, s13
	s_mov_b32 s9, s13
	s_set_inst_prefetch_distance 0x1
	.p2align	6
.LBB258_2:                              ; =>This Inner Loop Header: Depth=1
	global_load_b128 v[10:13], v[7:8], off offset:-8
	global_load_b128 v[14:17], v[5:6], off offset:-8
	s_add_i32 s10, s9, 1
	v_cmp_le_i32_e32 vcc_lo, s14, v9
	v_add_co_u32 v5, s0, v5, s4
	s_cmp_gt_u32 s9, 30
	v_add_co_ci_u32_e64 v6, s0, s5, v6, s0
	s_cselect_b32 s9, -1, 0
	v_add_co_u32 v7, s0, v7, s6
	s_or_b32 s9, s9, vcc_lo
	v_add_nc_u32_e32 v9, s1, v9
	v_add_co_ci_u32_e64 v8, vcc_lo, s7, v8, s0
	s_and_b32 s0, exec_lo, s9
	s_mov_b32 s9, s10
	s_or_b32 s8, s0, s8
	s_waitcnt vmcnt(0)
	v_mul_f64 v[18:19], v[12:13], v[16:17]
	v_mul_f64 v[16:17], v[10:11], v[16:17]
	s_delay_alu instid0(VALU_DEP_2) | instskip(NEXT) | instid1(VALU_DEP_2)
	v_fma_f64 v[10:11], v[10:11], v[14:15], v[18:19]
	v_fma_f64 v[12:13], v[12:13], v[14:15], -v[16:17]
	s_delay_alu instid0(VALU_DEP_2) | instskip(NEXT) | instid1(VALU_DEP_2)
	v_add_f64 v[3:4], v[3:4], v[10:11]
	v_add_f64 v[1:2], v[1:2], v[12:13]
	s_and_not1_b32 exec_lo, exec_lo, s8
	s_cbranch_execnz .LBB258_2
; %bb.3:
	s_set_inst_prefetch_distance 0x2
	s_or_b32 exec_lo, exec_lo, s8
.LBB258_4:
	s_delay_alu instid0(SALU_CYCLE_1) | instskip(SKIP_2) | instid1(VALU_DEP_2)
	s_or_b32 exec_lo, exec_lo, s15
	v_and_b32_e32 v15, 31, v0
	v_cmp_gt_u32_e32 vcc_lo, 32, v0
	v_lshlrev_b32_e32 v11, 4, v15
	s_and_saveexec_b32 s0, vcc_lo
	s_cbranch_execz .LBB258_6
; %bb.5:
	v_mov_b32_e32 v5, 0
	s_delay_alu instid0(VALU_DEP_1)
	v_mov_b32_e32 v6, v5
	v_mov_b32_e32 v7, v5
	;; [unrolled: 1-line block ×3, first 2 shown]
	ds_store_b128 v11, v[5:8]
.LBB258_6:
	s_or_b32 exec_lo, exec_lo, s0
	v_mbcnt_lo_u32_b32 v14, -1, 0
	s_mov_b32 s1, exec_lo
	s_waitcnt lgkmcnt(0)
	s_barrier
	buffer_gl0_inv
	v_cmp_gt_u32_e64 s0, 16, v14
	s_delay_alu instid0(VALU_DEP_1) | instskip(SKIP_1) | instid1(VALU_DEP_2)
	v_cndmask_b32_e64 v5, 0, 1, s0
	v_cmp_gt_u32_e64 s0, 24, v14
	v_lshlrev_b32_e32 v5, 4, v5
	s_delay_alu instid0(VALU_DEP_1)
	v_add_lshl_u32 v9, v5, v14, 2
	ds_bpermute_b32 v5, v9, v3
	ds_bpermute_b32 v6, v9, v4
	;; [unrolled: 1-line block ×4, first 2 shown]
	s_waitcnt lgkmcnt(2)
	v_add_f64 v[3:4], v[3:4], v[5:6]
	v_cndmask_b32_e64 v5, 0, 1, s0
	s_waitcnt lgkmcnt(0)
	v_add_f64 v[1:2], v[1:2], v[7:8]
	v_cmp_gt_u32_e64 s0, 28, v14
	s_delay_alu instid0(VALU_DEP_3) | instskip(NEXT) | instid1(VALU_DEP_1)
	v_lshlrev_b32_e32 v5, 3, v5
	v_add_lshl_u32 v10, v5, v14, 2
	ds_bpermute_b32 v5, v10, v3
	ds_bpermute_b32 v6, v10, v4
	;; [unrolled: 1-line block ×4, first 2 shown]
	s_waitcnt lgkmcnt(2)
	v_add_f64 v[3:4], v[3:4], v[5:6]
	v_cndmask_b32_e64 v5, 0, 1, s0
	s_waitcnt lgkmcnt(0)
	v_add_f64 v[1:2], v[1:2], v[7:8]
	v_cmp_gt_u32_e64 s0, 30, v14
	s_delay_alu instid0(VALU_DEP_3) | instskip(NEXT) | instid1(VALU_DEP_1)
	v_lshlrev_b32_e32 v5, 2, v5
	v_add_lshl_u32 v12, v5, v14, 2
	ds_bpermute_b32 v5, v12, v3
	ds_bpermute_b32 v6, v12, v4
	;; [unrolled: 1-line block ×4, first 2 shown]
	s_waitcnt lgkmcnt(2)
	v_add_f64 v[3:4], v[3:4], v[5:6]
	s_waitcnt lgkmcnt(0)
	v_add_f64 v[5:6], v[1:2], v[7:8]
	v_cndmask_b32_e64 v1, 0, 1, s0
	v_cmp_ne_u32_e64 s0, 31, v14
	s_delay_alu instid0(VALU_DEP_2) | instskip(NEXT) | instid1(VALU_DEP_1)
	v_lshlrev_b32_e32 v1, 1, v1
	v_add_lshl_u32 v13, v1, v14, 2
	ds_bpermute_b32 v1, v13, v3
	ds_bpermute_b32 v2, v13, v4
	;; [unrolled: 1-line block ×4, first 2 shown]
	s_waitcnt lgkmcnt(2)
	v_add_f64 v[1:2], v[3:4], v[1:2]
	v_add_co_ci_u32_e64 v3, s0, 0, v14, s0
	s_waitcnt lgkmcnt(0)
	v_add_f64 v[5:6], v[5:6], v[7:8]
	s_delay_alu instid0(VALU_DEP_2)
	v_lshlrev_b32_e32 v14, 2, v3
	ds_bpermute_b32 v3, v14, v1
	ds_bpermute_b32 v4, v14, v2
	;; [unrolled: 1-line block ×4, first 2 shown]
	v_cmpx_eq_u32_e32 0, v15
	s_cbranch_execz .LBB258_8
; %bb.7:
	s_waitcnt lgkmcnt(0)
	v_add_f64 v[5:6], v[5:6], v[7:8]
	v_add_f64 v[3:4], v[1:2], v[3:4]
	v_lshrrev_b32_e32 v1, 1, v0
	s_delay_alu instid0(VALU_DEP_1)
	v_and_b32_e32 v1, 0x1f0, v1
	ds_store_b128 v1, v[3:6]
.LBB258_8:
	s_or_b32 exec_lo, exec_lo, s1
	s_waitcnt lgkmcnt(2)
	v_mov_b32_e32 v3, 0
	v_mov_b32_e32 v4, 0
	s_delay_alu instid0(VALU_DEP_2)
	v_mov_b32_e32 v1, v3
	s_waitcnt lgkmcnt(0)
	s_barrier
	buffer_gl0_inv
	v_mov_b32_e32 v2, v4
	s_and_saveexec_b32 s0, vcc_lo
	s_cbranch_execz .LBB258_10
; %bb.9:
	ds_load_b128 v[1:4], v11
.LBB258_10:
	s_or_b32 exec_lo, exec_lo, s0
	s_and_saveexec_b32 s0, vcc_lo
	s_cbranch_execz .LBB258_12
; %bb.11:
	s_waitcnt lgkmcnt(0)
	ds_bpermute_b32 v5, v9, v1
	ds_bpermute_b32 v6, v9, v2
	ds_bpermute_b32 v7, v9, v3
	ds_bpermute_b32 v8, v9, v4
	s_waitcnt lgkmcnt(2)
	v_add_f64 v[1:2], v[1:2], v[5:6]
	s_waitcnt lgkmcnt(0)
	v_add_f64 v[3:4], v[3:4], v[7:8]
	ds_bpermute_b32 v5, v10, v1
	ds_bpermute_b32 v6, v10, v2
	ds_bpermute_b32 v7, v10, v3
	ds_bpermute_b32 v8, v10, v4
	s_waitcnt lgkmcnt(2)
	v_add_f64 v[1:2], v[1:2], v[5:6]
	s_waitcnt lgkmcnt(0)
	v_add_f64 v[3:4], v[3:4], v[7:8]
	;; [unrolled: 8-line block ×5, first 2 shown]
.LBB258_12:
	s_or_b32 exec_lo, exec_lo, s0
	s_delay_alu instid0(SALU_CYCLE_1)
	s_mov_b32 s0, exec_lo
	v_cmpx_eq_u32_e32 0, v0
	s_cbranch_execz .LBB258_14
; %bb.13:
	s_lshl_b64 s[0:1], s[12:13], 4
	v_mov_b32_e32 v0, 0
	s_add_u32 s0, s2, s0
	s_addc_u32 s1, s3, s1
	s_waitcnt lgkmcnt(0)
	global_store_b128 v0, v[1:4], s[0:1]
.LBB258_14:
	s_nop 0
	s_sendmsg sendmsg(MSG_DEALLOC_VGPRS)
	s_endpgm
	.section	.rodata,"a",@progbits
	.p2align	6, 0x0
	.amdhsa_kernel _ZL18rocblas_dot_kernelIiLb1ELi1024ELi32ELb1E19rocblas_complex_numIdEPKPKS1_S1_EviT5_lT_lS6_lS7_liPT6_PT4_
		.amdhsa_group_segment_fixed_size 512
		.amdhsa_private_segment_fixed_size 0
		.amdhsa_kernarg_size 352
		.amdhsa_user_sgpr_count 14
		.amdhsa_user_sgpr_dispatch_ptr 0
		.amdhsa_user_sgpr_queue_ptr 0
		.amdhsa_user_sgpr_kernarg_segment_ptr 1
		.amdhsa_user_sgpr_dispatch_id 0
		.amdhsa_user_sgpr_private_segment_size 0
		.amdhsa_wavefront_size32 1
		.amdhsa_uses_dynamic_stack 0
		.amdhsa_enable_private_segment 0
		.amdhsa_system_sgpr_workgroup_id_x 1
		.amdhsa_system_sgpr_workgroup_id_y 0
		.amdhsa_system_sgpr_workgroup_id_z 1
		.amdhsa_system_sgpr_workgroup_info 0
		.amdhsa_system_vgpr_workitem_id 0
		.amdhsa_next_free_vgpr 20
		.amdhsa_next_free_sgpr 21
		.amdhsa_reserve_vcc 1
		.amdhsa_float_round_mode_32 0
		.amdhsa_float_round_mode_16_64 0
		.amdhsa_float_denorm_mode_32 3
		.amdhsa_float_denorm_mode_16_64 3
		.amdhsa_dx10_clamp 1
		.amdhsa_ieee_mode 1
		.amdhsa_fp16_overflow 0
		.amdhsa_workgroup_processor_mode 1
		.amdhsa_memory_ordered 1
		.amdhsa_forward_progress 0
		.amdhsa_shared_vgpr_count 0
		.amdhsa_exception_fp_ieee_invalid_op 0
		.amdhsa_exception_fp_denorm_src 0
		.amdhsa_exception_fp_ieee_div_zero 0
		.amdhsa_exception_fp_ieee_overflow 0
		.amdhsa_exception_fp_ieee_underflow 0
		.amdhsa_exception_fp_ieee_inexact 0
		.amdhsa_exception_int_div_zero 0
	.end_amdhsa_kernel
	.section	.text._ZL18rocblas_dot_kernelIiLb1ELi1024ELi32ELb1E19rocblas_complex_numIdEPKPKS1_S1_EviT5_lT_lS6_lS7_liPT6_PT4_,"axG",@progbits,_ZL18rocblas_dot_kernelIiLb1ELi1024ELi32ELb1E19rocblas_complex_numIdEPKPKS1_S1_EviT5_lT_lS6_lS7_liPT6_PT4_,comdat
.Lfunc_end258:
	.size	_ZL18rocblas_dot_kernelIiLb1ELi1024ELi32ELb1E19rocblas_complex_numIdEPKPKS1_S1_EviT5_lT_lS6_lS7_liPT6_PT4_, .Lfunc_end258-_ZL18rocblas_dot_kernelIiLb1ELi1024ELi32ELb1E19rocblas_complex_numIdEPKPKS1_S1_EviT5_lT_lS6_lS7_liPT6_PT4_
                                        ; -- End function
	.section	.AMDGPU.csdata,"",@progbits
; Kernel info:
; codeLenInByte = 1456
; NumSgprs: 23
; NumVgprs: 20
; ScratchSize: 0
; MemoryBound: 0
; FloatMode: 240
; IeeeMode: 1
; LDSByteSize: 512 bytes/workgroup (compile time only)
; SGPRBlocks: 2
; VGPRBlocks: 2
; NumSGPRsForWavesPerEU: 23
; NumVGPRsForWavesPerEU: 20
; Occupancy: 16
; WaveLimiterHint : 0
; COMPUTE_PGM_RSRC2:SCRATCH_EN: 0
; COMPUTE_PGM_RSRC2:USER_SGPR: 14
; COMPUTE_PGM_RSRC2:TRAP_HANDLER: 0
; COMPUTE_PGM_RSRC2:TGID_X_EN: 1
; COMPUTE_PGM_RSRC2:TGID_Y_EN: 0
; COMPUTE_PGM_RSRC2:TGID_Z_EN: 1
; COMPUTE_PGM_RSRC2:TIDIG_COMP_CNT: 0
	.section	.text._ZL24rocblas_dot_kernel_magsqIiLb1ELi1024ELi32ELb1E19rocblas_complex_numIdEPKPKS1_S1_EviT5_lT_liPT6_PT4_,"axG",@progbits,_ZL24rocblas_dot_kernel_magsqIiLb1ELi1024ELi32ELb1E19rocblas_complex_numIdEPKPKS1_S1_EviT5_lT_liPT6_PT4_,comdat
	.globl	_ZL24rocblas_dot_kernel_magsqIiLb1ELi1024ELi32ELb1E19rocblas_complex_numIdEPKPKS1_S1_EviT5_lT_liPT6_PT4_ ; -- Begin function _ZL24rocblas_dot_kernel_magsqIiLb1ELi1024ELi32ELb1E19rocblas_complex_numIdEPKPKS1_S1_EviT5_lT_liPT6_PT4_
	.p2align	8
	.type	_ZL24rocblas_dot_kernel_magsqIiLb1ELi1024ELi32ELb1E19rocblas_complex_numIdEPKPKS1_S1_EviT5_lT_liPT6_PT4_,@function
_ZL24rocblas_dot_kernel_magsqIiLb1ELi1024ELi32ELb1E19rocblas_complex_numIdEPKPKS1_S1_EviT5_lT_liPT6_PT4_: ; @_ZL24rocblas_dot_kernel_magsqIiLb1ELi1024ELi32ELb1E19rocblas_complex_numIdEPKPKS1_S1_EviT5_lT_liPT6_PT4_
; %bb.0:
	s_clause 0x1
	s_load_b32 s8, s[0:1], 0x0
	s_load_b64 s[2:3], s[0:1], 0x38
	v_mov_b32_e32 v1, 0
	v_mov_b32_e32 v2, 0
	s_mov_b32 s4, s15
	s_mov_b32 s5, 0
	s_mov_b32 s9, exec_lo
	s_delay_alu instid0(VALU_DEP_1)
	v_dual_mov_b32 v4, v2 :: v_dual_mov_b32 v3, v1
	s_waitcnt lgkmcnt(0)
	v_cmpx_gt_i32_e64 s8, v0
	s_cbranch_execz .LBB259_4
; %bb.1:
	s_clause 0x2
	s_load_b128 s[12:15], s[0:1], 0x8
	s_load_b32 s16, s[0:1], 0x18
	s_load_b32 s10, s[0:1], 0x40
	s_lshl_b64 s[0:1], s[4:5], 3
	v_mov_b32_e32 v1, 0
	v_mov_b32_e32 v2, 0
	s_waitcnt lgkmcnt(0)
	s_add_u32 s0, s12, s0
	s_addc_u32 s1, s13, s1
	v_mad_i64_i32 v[3:4], null, s16, v0, 0
	s_load_b64 s[6:7], s[0:1], 0x0
	s_lshl_b32 s1, s10, 10
	s_lshl_b64 s[10:11], s[14:15], 4
	v_or_b32_e32 v7, s1, v0
	s_mul_hi_i32 s13, s16, s1
	s_mul_i32 s12, s16, s1
	s_delay_alu instid0(VALU_DEP_2) | instskip(SKIP_3) | instid1(VALU_DEP_1)
	v_lshlrev_b64 v[3:4], 4, v[3:4]
	s_waitcnt lgkmcnt(0)
	s_add_u32 s0, s6, s10
	s_addc_u32 s6, s7, s11
	v_add_co_u32 v5, vcc_lo, s0, v3
	s_delay_alu instid0(VALU_DEP_2)
	v_add_co_ci_u32_e32 v6, vcc_lo, s6, v4, vcc_lo
	v_dual_mov_b32 v4, v2 :: v_dual_mov_b32 v3, v1
	s_lshl_b64 s[6:7], s[12:13], 4
	s_mov_b32 s10, s5
	s_mov_b32 s11, s5
	.p2align	6
.LBB259_2:                              ; =>This Inner Loop Header: Depth=1
	global_load_b128 v[8:11], v[5:6], off
	s_add_i32 s12, s11, 1
	v_cmp_le_i32_e32 vcc_lo, s8, v7
	s_cmp_gt_u32 s11, 30
	v_add_co_u32 v5, s0, v5, s6
	s_cselect_b32 s11, -1, 0
	v_add_nc_u32_e32 v7, s1, v7
	s_or_b32 s11, s11, vcc_lo
	v_add_co_ci_u32_e64 v6, vcc_lo, s7, v6, s0
	s_and_b32 s0, exec_lo, s11
	s_mov_b32 s11, s12
	s_or_b32 s10, s0, s10
	s_waitcnt vmcnt(0)
	v_mul_f64 v[12:13], v[10:11], v[10:11]
	v_mul_f64 v[14:15], v[8:9], v[10:11]
	s_delay_alu instid0(VALU_DEP_2) | instskip(NEXT) | instid1(VALU_DEP_2)
	v_fma_f64 v[12:13], v[8:9], v[8:9], v[12:13]
	v_fma_f64 v[8:9], v[8:9], v[10:11], -v[14:15]
	s_delay_alu instid0(VALU_DEP_2) | instskip(NEXT) | instid1(VALU_DEP_2)
	v_add_f64 v[3:4], v[3:4], v[12:13]
	v_add_f64 v[1:2], v[1:2], v[8:9]
	s_and_not1_b32 exec_lo, exec_lo, s10
	s_cbranch_execnz .LBB259_2
; %bb.3:
	s_or_b32 exec_lo, exec_lo, s10
.LBB259_4:
	s_delay_alu instid0(SALU_CYCLE_1) | instskip(SKIP_2) | instid1(VALU_DEP_2)
	s_or_b32 exec_lo, exec_lo, s9
	v_and_b32_e32 v15, 31, v0
	v_cmp_gt_u32_e32 vcc_lo, 32, v0
	v_lshlrev_b32_e32 v11, 4, v15
	s_and_saveexec_b32 s0, vcc_lo
	s_cbranch_execz .LBB259_6
; %bb.5:
	v_mov_b32_e32 v5, 0
	s_delay_alu instid0(VALU_DEP_1)
	v_mov_b32_e32 v6, v5
	v_mov_b32_e32 v7, v5
	;; [unrolled: 1-line block ×3, first 2 shown]
	ds_store_b128 v11, v[5:8]
.LBB259_6:
	s_or_b32 exec_lo, exec_lo, s0
	v_mbcnt_lo_u32_b32 v14, -1, 0
	s_mov_b32 s1, exec_lo
	s_waitcnt lgkmcnt(0)
	s_barrier
	buffer_gl0_inv
	v_cmp_gt_u32_e64 s0, 16, v14
	s_delay_alu instid0(VALU_DEP_1) | instskip(SKIP_1) | instid1(VALU_DEP_2)
	v_cndmask_b32_e64 v5, 0, 1, s0
	v_cmp_gt_u32_e64 s0, 24, v14
	v_lshlrev_b32_e32 v5, 4, v5
	s_delay_alu instid0(VALU_DEP_1)
	v_add_lshl_u32 v9, v5, v14, 2
	ds_bpermute_b32 v5, v9, v3
	ds_bpermute_b32 v6, v9, v4
	;; [unrolled: 1-line block ×4, first 2 shown]
	s_waitcnt lgkmcnt(2)
	v_add_f64 v[3:4], v[3:4], v[5:6]
	v_cndmask_b32_e64 v5, 0, 1, s0
	s_waitcnt lgkmcnt(0)
	v_add_f64 v[1:2], v[1:2], v[7:8]
	v_cmp_gt_u32_e64 s0, 28, v14
	s_delay_alu instid0(VALU_DEP_3) | instskip(NEXT) | instid1(VALU_DEP_1)
	v_lshlrev_b32_e32 v5, 3, v5
	v_add_lshl_u32 v10, v5, v14, 2
	ds_bpermute_b32 v5, v10, v3
	ds_bpermute_b32 v6, v10, v4
	ds_bpermute_b32 v7, v10, v1
	ds_bpermute_b32 v8, v10, v2
	s_waitcnt lgkmcnt(2)
	v_add_f64 v[3:4], v[3:4], v[5:6]
	v_cndmask_b32_e64 v5, 0, 1, s0
	s_waitcnt lgkmcnt(0)
	v_add_f64 v[1:2], v[1:2], v[7:8]
	v_cmp_gt_u32_e64 s0, 30, v14
	s_delay_alu instid0(VALU_DEP_3) | instskip(NEXT) | instid1(VALU_DEP_1)
	v_lshlrev_b32_e32 v5, 2, v5
	v_add_lshl_u32 v12, v5, v14, 2
	ds_bpermute_b32 v5, v12, v3
	ds_bpermute_b32 v6, v12, v4
	;; [unrolled: 1-line block ×4, first 2 shown]
	s_waitcnt lgkmcnt(2)
	v_add_f64 v[3:4], v[3:4], v[5:6]
	s_waitcnt lgkmcnt(0)
	v_add_f64 v[5:6], v[1:2], v[7:8]
	v_cndmask_b32_e64 v1, 0, 1, s0
	v_cmp_ne_u32_e64 s0, 31, v14
	s_delay_alu instid0(VALU_DEP_2) | instskip(NEXT) | instid1(VALU_DEP_1)
	v_lshlrev_b32_e32 v1, 1, v1
	v_add_lshl_u32 v13, v1, v14, 2
	ds_bpermute_b32 v1, v13, v3
	ds_bpermute_b32 v2, v13, v4
	;; [unrolled: 1-line block ×4, first 2 shown]
	s_waitcnt lgkmcnt(2)
	v_add_f64 v[1:2], v[3:4], v[1:2]
	v_add_co_ci_u32_e64 v3, s0, 0, v14, s0
	s_waitcnt lgkmcnt(0)
	v_add_f64 v[5:6], v[5:6], v[7:8]
	s_delay_alu instid0(VALU_DEP_2)
	v_lshlrev_b32_e32 v14, 2, v3
	ds_bpermute_b32 v3, v14, v1
	ds_bpermute_b32 v4, v14, v2
	;; [unrolled: 1-line block ×4, first 2 shown]
	v_cmpx_eq_u32_e32 0, v15
	s_cbranch_execz .LBB259_8
; %bb.7:
	s_waitcnt lgkmcnt(0)
	v_add_f64 v[5:6], v[5:6], v[7:8]
	v_add_f64 v[3:4], v[1:2], v[3:4]
	v_lshrrev_b32_e32 v1, 1, v0
	s_delay_alu instid0(VALU_DEP_1)
	v_and_b32_e32 v1, 0x1f0, v1
	ds_store_b128 v1, v[3:6]
.LBB259_8:
	s_or_b32 exec_lo, exec_lo, s1
	s_waitcnt lgkmcnt(2)
	v_mov_b32_e32 v3, 0
	v_mov_b32_e32 v4, 0
	s_delay_alu instid0(VALU_DEP_2)
	v_mov_b32_e32 v1, v3
	s_waitcnt lgkmcnt(0)
	s_barrier
	buffer_gl0_inv
	v_mov_b32_e32 v2, v4
	s_and_saveexec_b32 s0, vcc_lo
	s_cbranch_execz .LBB259_10
; %bb.9:
	ds_load_b128 v[1:4], v11
.LBB259_10:
	s_or_b32 exec_lo, exec_lo, s0
	s_and_saveexec_b32 s0, vcc_lo
	s_cbranch_execz .LBB259_12
; %bb.11:
	s_waitcnt lgkmcnt(0)
	ds_bpermute_b32 v5, v9, v1
	ds_bpermute_b32 v6, v9, v2
	ds_bpermute_b32 v7, v9, v3
	ds_bpermute_b32 v8, v9, v4
	s_waitcnt lgkmcnt(2)
	v_add_f64 v[1:2], v[1:2], v[5:6]
	s_waitcnt lgkmcnt(0)
	v_add_f64 v[3:4], v[3:4], v[7:8]
	ds_bpermute_b32 v5, v10, v1
	ds_bpermute_b32 v6, v10, v2
	ds_bpermute_b32 v7, v10, v3
	ds_bpermute_b32 v8, v10, v4
	s_waitcnt lgkmcnt(2)
	v_add_f64 v[1:2], v[1:2], v[5:6]
	s_waitcnt lgkmcnt(0)
	v_add_f64 v[3:4], v[3:4], v[7:8]
	;; [unrolled: 8-line block ×5, first 2 shown]
.LBB259_12:
	s_or_b32 exec_lo, exec_lo, s0
	s_delay_alu instid0(SALU_CYCLE_1)
	s_mov_b32 s0, exec_lo
	v_cmpx_eq_u32_e32 0, v0
	s_cbranch_execz .LBB259_14
; %bb.13:
	s_lshl_b64 s[0:1], s[4:5], 4
	v_mov_b32_e32 v0, 0
	s_add_u32 s0, s2, s0
	s_addc_u32 s1, s3, s1
	s_waitcnt lgkmcnt(0)
	global_store_b128 v0, v[1:4], s[0:1]
.LBB259_14:
	s_nop 0
	s_sendmsg sendmsg(MSG_DEALLOC_VGPRS)
	s_endpgm
	.section	.rodata,"a",@progbits
	.p2align	6, 0x0
	.amdhsa_kernel _ZL24rocblas_dot_kernel_magsqIiLb1ELi1024ELi32ELb1E19rocblas_complex_numIdEPKPKS1_S1_EviT5_lT_liPT6_PT4_
		.amdhsa_group_segment_fixed_size 512
		.amdhsa_private_segment_fixed_size 0
		.amdhsa_kernarg_size 320
		.amdhsa_user_sgpr_count 14
		.amdhsa_user_sgpr_dispatch_ptr 0
		.amdhsa_user_sgpr_queue_ptr 0
		.amdhsa_user_sgpr_kernarg_segment_ptr 1
		.amdhsa_user_sgpr_dispatch_id 0
		.amdhsa_user_sgpr_private_segment_size 0
		.amdhsa_wavefront_size32 1
		.amdhsa_uses_dynamic_stack 0
		.amdhsa_enable_private_segment 0
		.amdhsa_system_sgpr_workgroup_id_x 1
		.amdhsa_system_sgpr_workgroup_id_y 0
		.amdhsa_system_sgpr_workgroup_id_z 1
		.amdhsa_system_sgpr_workgroup_info 0
		.amdhsa_system_vgpr_workitem_id 0
		.amdhsa_next_free_vgpr 16
		.amdhsa_next_free_sgpr 17
		.amdhsa_reserve_vcc 1
		.amdhsa_float_round_mode_32 0
		.amdhsa_float_round_mode_16_64 0
		.amdhsa_float_denorm_mode_32 3
		.amdhsa_float_denorm_mode_16_64 3
		.amdhsa_dx10_clamp 1
		.amdhsa_ieee_mode 1
		.amdhsa_fp16_overflow 0
		.amdhsa_workgroup_processor_mode 1
		.amdhsa_memory_ordered 1
		.amdhsa_forward_progress 0
		.amdhsa_shared_vgpr_count 0
		.amdhsa_exception_fp_ieee_invalid_op 0
		.amdhsa_exception_fp_denorm_src 0
		.amdhsa_exception_fp_ieee_div_zero 0
		.amdhsa_exception_fp_ieee_overflow 0
		.amdhsa_exception_fp_ieee_underflow 0
		.amdhsa_exception_fp_ieee_inexact 0
		.amdhsa_exception_int_div_zero 0
	.end_amdhsa_kernel
	.section	.text._ZL24rocblas_dot_kernel_magsqIiLb1ELi1024ELi32ELb1E19rocblas_complex_numIdEPKPKS1_S1_EviT5_lT_liPT6_PT4_,"axG",@progbits,_ZL24rocblas_dot_kernel_magsqIiLb1ELi1024ELi32ELb1E19rocblas_complex_numIdEPKPKS1_S1_EviT5_lT_liPT6_PT4_,comdat
.Lfunc_end259:
	.size	_ZL24rocblas_dot_kernel_magsqIiLb1ELi1024ELi32ELb1E19rocblas_complex_numIdEPKPKS1_S1_EviT5_lT_liPT6_PT4_, .Lfunc_end259-_ZL24rocblas_dot_kernel_magsqIiLb1ELi1024ELi32ELb1E19rocblas_complex_numIdEPKPKS1_S1_EviT5_lT_liPT6_PT4_
                                        ; -- End function
	.section	.AMDGPU.csdata,"",@progbits
; Kernel info:
; codeLenInByte = 1316
; NumSgprs: 19
; NumVgprs: 16
; ScratchSize: 0
; MemoryBound: 0
; FloatMode: 240
; IeeeMode: 1
; LDSByteSize: 512 bytes/workgroup (compile time only)
; SGPRBlocks: 2
; VGPRBlocks: 1
; NumSGPRsForWavesPerEU: 19
; NumVGPRsForWavesPerEU: 16
; Occupancy: 16
; WaveLimiterHint : 0
; COMPUTE_PGM_RSRC2:SCRATCH_EN: 0
; COMPUTE_PGM_RSRC2:USER_SGPR: 14
; COMPUTE_PGM_RSRC2:TRAP_HANDLER: 0
; COMPUTE_PGM_RSRC2:TGID_X_EN: 1
; COMPUTE_PGM_RSRC2:TGID_Y_EN: 0
; COMPUTE_PGM_RSRC2:TGID_Z_EN: 1
; COMPUTE_PGM_RSRC2:TIDIG_COMP_CNT: 0
	.section	.text._ZL23rocblas_dot_kernel_inc1ILb0ELi512ELi2ELb1E19rocblas_complex_numIdEPKPKS1_S1_EviT4_llS6_lliPT5_PT3_,"axG",@progbits,_ZL23rocblas_dot_kernel_inc1ILb0ELi512ELi2ELb1E19rocblas_complex_numIdEPKPKS1_S1_EviT4_llS6_lliPT5_PT3_,comdat
	.globl	_ZL23rocblas_dot_kernel_inc1ILb0ELi512ELi2ELb1E19rocblas_complex_numIdEPKPKS1_S1_EviT4_llS6_lliPT5_PT3_ ; -- Begin function _ZL23rocblas_dot_kernel_inc1ILb0ELi512ELi2ELb1E19rocblas_complex_numIdEPKPKS1_S1_EviT4_llS6_lliPT5_PT3_
	.p2align	8
	.type	_ZL23rocblas_dot_kernel_inc1ILb0ELi512ELi2ELb1E19rocblas_complex_numIdEPKPKS1_S1_EviT4_llS6_lliPT5_PT3_,@function
_ZL23rocblas_dot_kernel_inc1ILb0ELi512ELi2ELb1E19rocblas_complex_numIdEPKPKS1_S1_EviT4_llS6_lliPT5_PT3_: ; @_ZL23rocblas_dot_kernel_inc1ILb0ELi512ELi2ELb1E19rocblas_complex_numIdEPKPKS1_S1_EviT4_llS6_lliPT5_PT3_
; %bb.0:
	s_clause 0x1
	s_load_b32 s6, s[0:1], 0x0
	s_load_b32 s3, s[0:1], 0x50
	v_mov_b32_e32 v1, 0
	v_mov_b32_e32 v2, 0
	v_lshl_or_b32 v5, s14, 9, v0
	s_mov_b32 s4, s15
	s_mov_b32 s5, 0
	s_mov_b32 s2, exec_lo
	v_dual_mov_b32 v4, v2 :: v_dual_mov_b32 v3, v1
	s_waitcnt lgkmcnt(0)
	v_cmpx_gt_i32_e64 s6, v5
	s_cbranch_execz .LBB260_4
; %bb.1:
	s_clause 0x1
	s_load_b128 s[8:11], s[0:1], 0x8
	s_load_b128 s[16:19], s[0:1], 0x20
	s_lshl_b64 s[12:13], s[4:5], 3
	v_ashrrev_i32_e32 v6, 31, v5
	s_delay_alu instid0(VALU_DEP_1)
	v_lshlrev_b64 v[1:2], 4, v[5:6]
	s_waitcnt lgkmcnt(0)
	s_add_u32 s8, s8, s12
	s_addc_u32 s9, s9, s13
	s_lshl_b64 s[10:11], s[10:11], 4
	s_load_b64 s[8:9], s[8:9], 0x0
	s_waitcnt lgkmcnt(0)
	s_add_u32 s7, s8, s10
	s_addc_u32 s8, s9, s11
	s_add_u32 s10, s16, s12
	s_addc_u32 s11, s17, s13
	s_lshl_b64 s[12:13], s[18:19], 4
	s_load_b64 s[10:11], s[10:11], 0x0
	v_add_co_u32 v3, vcc_lo, s7, v1
	v_add_co_ci_u32_e32 v4, vcc_lo, s8, v2, vcc_lo
	s_waitcnt lgkmcnt(0)
	s_add_u32 s9, s10, s12
	s_addc_u32 s10, s11, s13
	v_add_co_u32 v5, vcc_lo, s9, v1
	v_add_co_ci_u32_e32 v6, vcc_lo, s10, v2, vcc_lo
	s_add_i32 s11, s14, s3
	global_load_b128 v[1:4], v[3:4], off
	global_load_b128 v[5:8], v[5:6], off
	s_waitcnt vmcnt(0)
	v_mul_f64 v[9:10], v[7:8], v[3:4]
	v_mul_f64 v[3:4], v[5:6], v[3:4]
	s_delay_alu instid0(VALU_DEP_2) | instskip(NEXT) | instid1(VALU_DEP_2)
	v_fma_f64 v[5:6], v[5:6], v[1:2], v[9:10]
	v_fma_f64 v[3:4], v[7:8], v[1:2], -v[3:4]
	s_delay_alu instid0(VALU_DEP_2) | instskip(NEXT) | instid1(VALU_DEP_2)
	v_add_f64 v[1:2], v[5:6], 0
	v_add_f64 v[3:4], v[3:4], 0
	v_lshl_or_b32 v5, s11, 9, v0
	s_delay_alu instid0(VALU_DEP_1)
	v_cmp_gt_i32_e32 vcc_lo, s6, v5
	s_and_saveexec_b32 s6, vcc_lo
	s_cbranch_execz .LBB260_3
; %bb.2:
	v_ashrrev_i32_e32 v6, 31, v5
	s_delay_alu instid0(VALU_DEP_1) | instskip(NEXT) | instid1(VALU_DEP_1)
	v_lshlrev_b64 v[5:6], 4, v[5:6]
	v_add_co_u32 v7, vcc_lo, s9, v5
	s_delay_alu instid0(VALU_DEP_2)
	v_add_co_ci_u32_e32 v8, vcc_lo, s10, v6, vcc_lo
	v_add_co_u32 v9, vcc_lo, s7, v5
	v_add_co_ci_u32_e32 v10, vcc_lo, s8, v6, vcc_lo
	global_load_b128 v[5:8], v[7:8], off
	global_load_b128 v[9:12], v[9:10], off
	s_waitcnt vmcnt(0)
	v_mul_f64 v[13:14], v[5:6], v[11:12]
	v_mul_f64 v[11:12], v[7:8], v[11:12]
	s_delay_alu instid0(VALU_DEP_2) | instskip(NEXT) | instid1(VALU_DEP_2)
	v_fma_f64 v[7:8], v[7:8], v[9:10], -v[13:14]
	v_fma_f64 v[5:6], v[5:6], v[9:10], v[11:12]
	s_delay_alu instid0(VALU_DEP_2) | instskip(NEXT) | instid1(VALU_DEP_2)
	v_add_f64 v[3:4], v[3:4], v[7:8]
	v_add_f64 v[1:2], v[1:2], v[5:6]
.LBB260_3:
	s_or_b32 exec_lo, exec_lo, s6
.LBB260_4:
	s_delay_alu instid0(SALU_CYCLE_1) | instskip(SKIP_2) | instid1(VALU_DEP_2)
	s_or_b32 exec_lo, exec_lo, s2
	v_and_b32_e32 v14, 31, v0
	v_cmp_gt_u32_e32 vcc_lo, 32, v0
	v_lshlrev_b32_e32 v9, 4, v14
	s_and_saveexec_b32 s2, vcc_lo
	s_cbranch_execz .LBB260_6
; %bb.5:
	v_mov_b32_e32 v5, 0
	s_delay_alu instid0(VALU_DEP_1)
	v_mov_b32_e32 v6, v5
	v_mov_b32_e32 v7, v5
	;; [unrolled: 1-line block ×3, first 2 shown]
	ds_store_b128 v9, v[5:8]
.LBB260_6:
	s_or_b32 exec_lo, exec_lo, s2
	v_mbcnt_lo_u32_b32 v13, -1, 0
	s_mov_b32 s6, exec_lo
	s_waitcnt lgkmcnt(0)
	s_barrier
	buffer_gl0_inv
	v_cmp_gt_u32_e64 s2, 16, v13
	s_delay_alu instid0(VALU_DEP_1) | instskip(SKIP_1) | instid1(VALU_DEP_2)
	v_cndmask_b32_e64 v5, 0, 1, s2
	v_cmp_gt_u32_e64 s2, 24, v13
	v_lshlrev_b32_e32 v5, 4, v5
	s_delay_alu instid0(VALU_DEP_1)
	v_add_lshl_u32 v8, v5, v13, 2
	ds_bpermute_b32 v5, v8, v1
	ds_bpermute_b32 v6, v8, v2
	;; [unrolled: 1-line block ×4, first 2 shown]
	s_waitcnt lgkmcnt(2)
	v_add_f64 v[1:2], v[1:2], v[5:6]
	v_cndmask_b32_e64 v5, 0, 1, s2
	s_waitcnt lgkmcnt(0)
	v_add_f64 v[3:4], v[3:4], v[7:8]
	v_cmp_gt_u32_e64 s2, 28, v13
	s_delay_alu instid0(VALU_DEP_3) | instskip(NEXT) | instid1(VALU_DEP_1)
	v_lshlrev_b32_e32 v5, 3, v5
	v_add_lshl_u32 v10, v5, v13, 2
	ds_bpermute_b32 v5, v10, v1
	ds_bpermute_b32 v6, v10, v2
	;; [unrolled: 1-line block ×4, first 2 shown]
	s_waitcnt lgkmcnt(2)
	v_add_f64 v[1:2], v[1:2], v[5:6]
	v_cndmask_b32_e64 v5, 0, 1, s2
	s_waitcnt lgkmcnt(0)
	v_add_f64 v[3:4], v[3:4], v[7:8]
	v_cmp_gt_u32_e64 s2, 30, v13
	s_delay_alu instid0(VALU_DEP_3) | instskip(NEXT) | instid1(VALU_DEP_1)
	v_lshlrev_b32_e32 v5, 2, v5
	v_add_lshl_u32 v11, v5, v13, 2
	ds_bpermute_b32 v5, v11, v1
	ds_bpermute_b32 v6, v11, v2
	;; [unrolled: 1-line block ×4, first 2 shown]
	s_waitcnt lgkmcnt(2)
	v_add_f64 v[1:2], v[1:2], v[5:6]
	v_cndmask_b32_e64 v5, 0, 1, s2
	s_waitcnt lgkmcnt(0)
	v_add_f64 v[3:4], v[3:4], v[7:8]
	v_cmp_ne_u32_e64 s2, 31, v13
	s_delay_alu instid0(VALU_DEP_3) | instskip(NEXT) | instid1(VALU_DEP_1)
	v_lshlrev_b32_e32 v5, 1, v5
	v_add_lshl_u32 v12, v5, v13, 2
	ds_bpermute_b32 v5, v12, v1
	ds_bpermute_b32 v6, v12, v2
	;; [unrolled: 1-line block ×4, first 2 shown]
	s_waitcnt lgkmcnt(2)
	v_add_f64 v[1:2], v[1:2], v[5:6]
	s_waitcnt lgkmcnt(0)
	v_add_f64 v[5:6], v[3:4], v[7:8]
	v_add_co_ci_u32_e64 v3, s2, 0, v13, s2
	s_delay_alu instid0(VALU_DEP_1)
	v_lshlrev_b32_e32 v13, 2, v3
	ds_bpermute_b32 v3, v13, v1
	ds_bpermute_b32 v4, v13, v2
	;; [unrolled: 1-line block ×4, first 2 shown]
	v_cmpx_eq_u32_e32 0, v14
	s_cbranch_execz .LBB260_8
; %bb.7:
	s_waitcnt lgkmcnt(0)
	v_add_f64 v[5:6], v[5:6], v[7:8]
	v_add_f64 v[3:4], v[1:2], v[3:4]
	v_lshrrev_b32_e32 v1, 1, v0
	s_delay_alu instid0(VALU_DEP_1)
	v_and_b32_e32 v1, 0xf0, v1
	ds_store_b128 v1, v[3:6]
.LBB260_8:
	s_or_b32 exec_lo, exec_lo, s6
	s_waitcnt lgkmcnt(2)
	v_mov_b32_e32 v3, 0
	v_mov_b32_e32 v4, 0
	s_delay_alu instid0(VALU_DEP_2)
	v_mov_b32_e32 v1, v3
	s_mov_b32 s6, exec_lo
	s_waitcnt lgkmcnt(0)
	s_barrier
	v_mov_b32_e32 v2, v4
	buffer_gl0_inv
	v_cmpx_gt_u32_e32 16, v0
	s_cbranch_execz .LBB260_10
; %bb.9:
	ds_load_b128 v[1:4], v9
.LBB260_10:
	s_or_b32 exec_lo, exec_lo, s6
	s_and_saveexec_b32 s2, vcc_lo
	s_cbranch_execz .LBB260_12
; %bb.11:
	s_waitcnt lgkmcnt(0)
	ds_bpermute_b32 v5, v10, v1
	ds_bpermute_b32 v6, v10, v2
	ds_bpermute_b32 v7, v10, v3
	ds_bpermute_b32 v8, v10, v4
	s_waitcnt lgkmcnt(2)
	v_add_f64 v[1:2], v[1:2], v[5:6]
	s_waitcnt lgkmcnt(0)
	v_add_f64 v[3:4], v[3:4], v[7:8]
	ds_bpermute_b32 v5, v11, v1
	ds_bpermute_b32 v6, v11, v2
	ds_bpermute_b32 v7, v11, v3
	ds_bpermute_b32 v8, v11, v4
	s_waitcnt lgkmcnt(2)
	v_add_f64 v[1:2], v[1:2], v[5:6]
	s_waitcnt lgkmcnt(0)
	v_add_f64 v[3:4], v[3:4], v[7:8]
	;; [unrolled: 8-line block ×4, first 2 shown]
.LBB260_12:
	s_or_b32 exec_lo, exec_lo, s2
	s_delay_alu instid0(SALU_CYCLE_1)
	s_mov_b32 s2, exec_lo
	v_cmpx_eq_u32_e32 0, v0
	s_cbranch_execz .LBB260_18
; %bb.13:
	s_cmp_lg_u32 s3, 1
	s_cbranch_scc0 .LBB260_15
; %bb.14:
	s_load_b64 s[6:7], s[0:1], 0x40
	s_mul_hi_u32 s9, s3, s4
	s_mul_i32 s8, s3, s4
	s_mov_b32 s15, 0
	s_lshl_b64 s[2:3], s[8:9], 4
	s_waitcnt lgkmcnt(0)
	s_add_u32 s6, s6, s2
	s_addc_u32 s7, s7, s3
	s_lshl_b64 s[2:3], s[14:15], 4
	s_delay_alu instid0(SALU_CYCLE_1)
	s_add_u32 s2, s6, s2
	s_addc_u32 s3, s7, s3
	s_cbranch_execz .LBB260_16
	s_branch .LBB260_17
.LBB260_15:
                                        ; implicit-def: $sgpr2_sgpr3
.LBB260_16:
	s_load_b64 s[0:1], s[0:1], 0x48
	s_lshl_b64 s[2:3], s[4:5], 4
	s_waitcnt lgkmcnt(0)
	s_add_u32 s2, s0, s2
	s_addc_u32 s3, s1, s3
.LBB260_17:
	v_mov_b32_e32 v0, 0
	s_waitcnt lgkmcnt(0)
	global_store_b128 v0, v[1:4], s[2:3]
.LBB260_18:
	s_nop 0
	s_sendmsg sendmsg(MSG_DEALLOC_VGPRS)
	s_endpgm
	.section	.rodata,"a",@progbits
	.p2align	6, 0x0
	.amdhsa_kernel _ZL23rocblas_dot_kernel_inc1ILb0ELi512ELi2ELb1E19rocblas_complex_numIdEPKPKS1_S1_EviT4_llS6_lliPT5_PT3_
		.amdhsa_group_segment_fixed_size 512
		.amdhsa_private_segment_fixed_size 0
		.amdhsa_kernarg_size 336
		.amdhsa_user_sgpr_count 14
		.amdhsa_user_sgpr_dispatch_ptr 0
		.amdhsa_user_sgpr_queue_ptr 0
		.amdhsa_user_sgpr_kernarg_segment_ptr 1
		.amdhsa_user_sgpr_dispatch_id 0
		.amdhsa_user_sgpr_private_segment_size 0
		.amdhsa_wavefront_size32 1
		.amdhsa_uses_dynamic_stack 0
		.amdhsa_enable_private_segment 0
		.amdhsa_system_sgpr_workgroup_id_x 1
		.amdhsa_system_sgpr_workgroup_id_y 0
		.amdhsa_system_sgpr_workgroup_id_z 1
		.amdhsa_system_sgpr_workgroup_info 0
		.amdhsa_system_vgpr_workitem_id 0
		.amdhsa_next_free_vgpr 15
		.amdhsa_next_free_sgpr 20
		.amdhsa_reserve_vcc 1
		.amdhsa_float_round_mode_32 0
		.amdhsa_float_round_mode_16_64 0
		.amdhsa_float_denorm_mode_32 3
		.amdhsa_float_denorm_mode_16_64 3
		.amdhsa_dx10_clamp 1
		.amdhsa_ieee_mode 1
		.amdhsa_fp16_overflow 0
		.amdhsa_workgroup_processor_mode 1
		.amdhsa_memory_ordered 1
		.amdhsa_forward_progress 0
		.amdhsa_shared_vgpr_count 0
		.amdhsa_exception_fp_ieee_invalid_op 0
		.amdhsa_exception_fp_denorm_src 0
		.amdhsa_exception_fp_ieee_div_zero 0
		.amdhsa_exception_fp_ieee_overflow 0
		.amdhsa_exception_fp_ieee_underflow 0
		.amdhsa_exception_fp_ieee_inexact 0
		.amdhsa_exception_int_div_zero 0
	.end_amdhsa_kernel
	.section	.text._ZL23rocblas_dot_kernel_inc1ILb0ELi512ELi2ELb1E19rocblas_complex_numIdEPKPKS1_S1_EviT4_llS6_lliPT5_PT3_,"axG",@progbits,_ZL23rocblas_dot_kernel_inc1ILb0ELi512ELi2ELb1E19rocblas_complex_numIdEPKPKS1_S1_EviT4_llS6_lliPT5_PT3_,comdat
.Lfunc_end260:
	.size	_ZL23rocblas_dot_kernel_inc1ILb0ELi512ELi2ELb1E19rocblas_complex_numIdEPKPKS1_S1_EviT4_llS6_lliPT5_PT3_, .Lfunc_end260-_ZL23rocblas_dot_kernel_inc1ILb0ELi512ELi2ELb1E19rocblas_complex_numIdEPKPKS1_S1_EviT4_llS6_lliPT5_PT3_
                                        ; -- End function
	.section	.AMDGPU.csdata,"",@progbits
; Kernel info:
; codeLenInByte = 1428
; NumSgprs: 22
; NumVgprs: 15
; ScratchSize: 0
; MemoryBound: 0
; FloatMode: 240
; IeeeMode: 1
; LDSByteSize: 512 bytes/workgroup (compile time only)
; SGPRBlocks: 2
; VGPRBlocks: 1
; NumSGPRsForWavesPerEU: 22
; NumVGPRsForWavesPerEU: 15
; Occupancy: 16
; WaveLimiterHint : 1
; COMPUTE_PGM_RSRC2:SCRATCH_EN: 0
; COMPUTE_PGM_RSRC2:USER_SGPR: 14
; COMPUTE_PGM_RSRC2:TRAP_HANDLER: 0
; COMPUTE_PGM_RSRC2:TGID_X_EN: 1
; COMPUTE_PGM_RSRC2:TGID_Y_EN: 0
; COMPUTE_PGM_RSRC2:TGID_Z_EN: 1
; COMPUTE_PGM_RSRC2:TIDIG_COMP_CNT: 0
	.section	.text._ZL18rocblas_dot_kernelIiLb0ELi512ELi2ELb1E19rocblas_complex_numIdEPKPKS1_S1_EviT5_lT_lS6_lS7_liPT6_PT4_,"axG",@progbits,_ZL18rocblas_dot_kernelIiLb0ELi512ELi2ELb1E19rocblas_complex_numIdEPKPKS1_S1_EviT5_lT_lS6_lS7_liPT6_PT4_,comdat
	.globl	_ZL18rocblas_dot_kernelIiLb0ELi512ELi2ELb1E19rocblas_complex_numIdEPKPKS1_S1_EviT5_lT_lS6_lS7_liPT6_PT4_ ; -- Begin function _ZL18rocblas_dot_kernelIiLb0ELi512ELi2ELb1E19rocblas_complex_numIdEPKPKS1_S1_EviT5_lT_lS6_lS7_liPT6_PT4_
	.p2align	8
	.type	_ZL18rocblas_dot_kernelIiLb0ELi512ELi2ELb1E19rocblas_complex_numIdEPKPKS1_S1_EviT5_lT_lS6_lS7_liPT6_PT4_,@function
_ZL18rocblas_dot_kernelIiLb0ELi512ELi2ELb1E19rocblas_complex_numIdEPKPKS1_S1_EviT5_lT_lS6_lS7_liPT6_PT4_: ; @_ZL18rocblas_dot_kernelIiLb0ELi512ELi2ELb1E19rocblas_complex_numIdEPKPKS1_S1_EviT5_lT_lS6_lS7_liPT6_PT4_
; %bb.0:
	s_clause 0x1
	s_load_b32 s7, s[0:1], 0x0
	s_load_b32 s3, s[0:1], 0x60
	v_mov_b32_e32 v1, 0
	v_mov_b32_e32 v2, 0
	v_lshl_or_b32 v5, s14, 9, v0
	s_mov_b32 s4, s15
	s_mov_b32 s5, 0
	s_mov_b32 s2, exec_lo
	v_dual_mov_b32 v4, v2 :: v_dual_mov_b32 v3, v1
	s_waitcnt lgkmcnt(0)
	v_cmpx_gt_i32_e64 s7, v5
	s_cbranch_execz .LBB261_4
; %bb.1:
	s_clause 0x1
	s_load_b128 s[16:19], s[0:1], 0x8
	s_load_b32 s6, s[0:1], 0x18
	s_lshl_b64 s[12:13], s[4:5], 3
	s_waitcnt lgkmcnt(0)
	s_add_u32 s8, s16, s12
	s_addc_u32 s9, s17, s13
	s_lshl_b64 s[16:17], s[18:19], 4
	s_load_b64 s[8:9], s[8:9], 0x0
	s_clause 0x1
	s_load_b128 s[20:23], s[0:1], 0x28
	s_load_b32 s10, s[0:1], 0x38
	v_mad_i64_i32 v[1:2], null, v5, s6, 0
	s_delay_alu instid0(VALU_DEP_1)
	v_lshlrev_b64 v[1:2], 4, v[1:2]
	s_waitcnt lgkmcnt(0)
	s_add_u32 s8, s8, s16
	s_addc_u32 s9, s9, s17
	s_add_u32 s12, s20, s12
	s_addc_u32 s13, s21, s13
	v_mad_i64_i32 v[3:4], null, v5, s10, 0
	s_load_b64 s[12:13], s[12:13], 0x0
	s_lshl_b64 s[16:17], s[22:23], 4
	v_add_co_u32 v1, vcc_lo, s8, v1
	v_add_co_ci_u32_e32 v2, vcc_lo, s9, v2, vcc_lo
	s_delay_alu instid0(VALU_DEP_3) | instskip(SKIP_3) | instid1(VALU_DEP_1)
	v_lshlrev_b64 v[3:4], 4, v[3:4]
	s_waitcnt lgkmcnt(0)
	s_add_u32 s11, s12, s16
	s_addc_u32 s12, s13, s17
	v_add_co_u32 v5, vcc_lo, s11, v3
	s_delay_alu instid0(VALU_DEP_2)
	v_add_co_ci_u32_e32 v6, vcc_lo, s12, v4, vcc_lo
	s_add_i32 s13, s14, s3
	global_load_b128 v[1:4], v[1:2], off
	global_load_b128 v[5:8], v[5:6], off
	s_waitcnt vmcnt(0)
	v_mul_f64 v[9:10], v[7:8], v[3:4]
	v_mul_f64 v[3:4], v[5:6], v[3:4]
	s_delay_alu instid0(VALU_DEP_2) | instskip(NEXT) | instid1(VALU_DEP_2)
	v_fma_f64 v[5:6], v[5:6], v[1:2], v[9:10]
	v_fma_f64 v[3:4], v[7:8], v[1:2], -v[3:4]
	s_delay_alu instid0(VALU_DEP_2) | instskip(NEXT) | instid1(VALU_DEP_2)
	v_add_f64 v[1:2], v[5:6], 0
	v_add_f64 v[3:4], v[3:4], 0
	v_lshl_or_b32 v5, s13, 9, v0
	s_delay_alu instid0(VALU_DEP_1)
	v_cmp_gt_i32_e32 vcc_lo, s7, v5
	s_and_saveexec_b32 s7, vcc_lo
	s_cbranch_execz .LBB261_3
; %bb.2:
	v_mad_i64_i32 v[6:7], null, v5, s10, 0
	v_mad_i64_i32 v[8:9], null, v5, s6, 0
	s_delay_alu instid0(VALU_DEP_2) | instskip(NEXT) | instid1(VALU_DEP_2)
	v_lshlrev_b64 v[5:6], 4, v[6:7]
	v_lshlrev_b64 v[7:8], 4, v[8:9]
	s_delay_alu instid0(VALU_DEP_2) | instskip(NEXT) | instid1(VALU_DEP_3)
	v_add_co_u32 v5, vcc_lo, s11, v5
	v_add_co_ci_u32_e32 v6, vcc_lo, s12, v6, vcc_lo
	s_delay_alu instid0(VALU_DEP_3) | instskip(NEXT) | instid1(VALU_DEP_4)
	v_add_co_u32 v9, vcc_lo, s8, v7
	v_add_co_ci_u32_e32 v10, vcc_lo, s9, v8, vcc_lo
	global_load_b128 v[5:8], v[5:6], off
	global_load_b128 v[9:12], v[9:10], off
	s_waitcnt vmcnt(0)
	v_mul_f64 v[13:14], v[5:6], v[11:12]
	v_mul_f64 v[11:12], v[7:8], v[11:12]
	s_delay_alu instid0(VALU_DEP_2) | instskip(NEXT) | instid1(VALU_DEP_2)
	v_fma_f64 v[7:8], v[7:8], v[9:10], -v[13:14]
	v_fma_f64 v[5:6], v[5:6], v[9:10], v[11:12]
	s_delay_alu instid0(VALU_DEP_2) | instskip(NEXT) | instid1(VALU_DEP_2)
	v_add_f64 v[3:4], v[3:4], v[7:8]
	v_add_f64 v[1:2], v[1:2], v[5:6]
.LBB261_3:
	s_or_b32 exec_lo, exec_lo, s7
.LBB261_4:
	s_delay_alu instid0(SALU_CYCLE_1) | instskip(SKIP_2) | instid1(VALU_DEP_2)
	s_or_b32 exec_lo, exec_lo, s2
	v_and_b32_e32 v14, 31, v0
	v_cmp_gt_u32_e32 vcc_lo, 32, v0
	v_lshlrev_b32_e32 v9, 4, v14
	s_and_saveexec_b32 s2, vcc_lo
	s_cbranch_execz .LBB261_6
; %bb.5:
	v_mov_b32_e32 v5, 0
	s_delay_alu instid0(VALU_DEP_1)
	v_mov_b32_e32 v6, v5
	v_mov_b32_e32 v7, v5
	;; [unrolled: 1-line block ×3, first 2 shown]
	ds_store_b128 v9, v[5:8]
.LBB261_6:
	s_or_b32 exec_lo, exec_lo, s2
	v_mbcnt_lo_u32_b32 v13, -1, 0
	s_mov_b32 s6, exec_lo
	s_waitcnt lgkmcnt(0)
	s_barrier
	buffer_gl0_inv
	v_cmp_gt_u32_e64 s2, 16, v13
	s_delay_alu instid0(VALU_DEP_1) | instskip(SKIP_1) | instid1(VALU_DEP_2)
	v_cndmask_b32_e64 v5, 0, 1, s2
	v_cmp_gt_u32_e64 s2, 24, v13
	v_lshlrev_b32_e32 v5, 4, v5
	s_delay_alu instid0(VALU_DEP_1)
	v_add_lshl_u32 v8, v5, v13, 2
	ds_bpermute_b32 v5, v8, v1
	ds_bpermute_b32 v6, v8, v2
	;; [unrolled: 1-line block ×4, first 2 shown]
	s_waitcnt lgkmcnt(2)
	v_add_f64 v[1:2], v[1:2], v[5:6]
	v_cndmask_b32_e64 v5, 0, 1, s2
	s_waitcnt lgkmcnt(0)
	v_add_f64 v[3:4], v[3:4], v[7:8]
	v_cmp_gt_u32_e64 s2, 28, v13
	s_delay_alu instid0(VALU_DEP_3) | instskip(NEXT) | instid1(VALU_DEP_1)
	v_lshlrev_b32_e32 v5, 3, v5
	v_add_lshl_u32 v10, v5, v13, 2
	ds_bpermute_b32 v5, v10, v1
	ds_bpermute_b32 v6, v10, v2
	;; [unrolled: 1-line block ×4, first 2 shown]
	s_waitcnt lgkmcnt(2)
	v_add_f64 v[1:2], v[1:2], v[5:6]
	v_cndmask_b32_e64 v5, 0, 1, s2
	s_waitcnt lgkmcnt(0)
	v_add_f64 v[3:4], v[3:4], v[7:8]
	v_cmp_gt_u32_e64 s2, 30, v13
	s_delay_alu instid0(VALU_DEP_3) | instskip(NEXT) | instid1(VALU_DEP_1)
	v_lshlrev_b32_e32 v5, 2, v5
	v_add_lshl_u32 v11, v5, v13, 2
	ds_bpermute_b32 v5, v11, v1
	ds_bpermute_b32 v6, v11, v2
	;; [unrolled: 1-line block ×4, first 2 shown]
	s_waitcnt lgkmcnt(2)
	v_add_f64 v[1:2], v[1:2], v[5:6]
	v_cndmask_b32_e64 v5, 0, 1, s2
	s_waitcnt lgkmcnt(0)
	v_add_f64 v[3:4], v[3:4], v[7:8]
	v_cmp_ne_u32_e64 s2, 31, v13
	s_delay_alu instid0(VALU_DEP_3) | instskip(NEXT) | instid1(VALU_DEP_1)
	v_lshlrev_b32_e32 v5, 1, v5
	v_add_lshl_u32 v12, v5, v13, 2
	ds_bpermute_b32 v5, v12, v1
	ds_bpermute_b32 v6, v12, v2
	;; [unrolled: 1-line block ×4, first 2 shown]
	s_waitcnt lgkmcnt(2)
	v_add_f64 v[1:2], v[1:2], v[5:6]
	s_waitcnt lgkmcnt(0)
	v_add_f64 v[5:6], v[3:4], v[7:8]
	v_add_co_ci_u32_e64 v3, s2, 0, v13, s2
	s_delay_alu instid0(VALU_DEP_1)
	v_lshlrev_b32_e32 v13, 2, v3
	ds_bpermute_b32 v3, v13, v1
	ds_bpermute_b32 v4, v13, v2
	;; [unrolled: 1-line block ×4, first 2 shown]
	v_cmpx_eq_u32_e32 0, v14
	s_cbranch_execz .LBB261_8
; %bb.7:
	s_waitcnt lgkmcnt(0)
	v_add_f64 v[5:6], v[5:6], v[7:8]
	v_add_f64 v[3:4], v[1:2], v[3:4]
	v_lshrrev_b32_e32 v1, 1, v0
	s_delay_alu instid0(VALU_DEP_1)
	v_and_b32_e32 v1, 0xf0, v1
	ds_store_b128 v1, v[3:6]
.LBB261_8:
	s_or_b32 exec_lo, exec_lo, s6
	s_waitcnt lgkmcnt(2)
	v_mov_b32_e32 v3, 0
	v_mov_b32_e32 v4, 0
	s_delay_alu instid0(VALU_DEP_2)
	v_mov_b32_e32 v1, v3
	s_mov_b32 s6, exec_lo
	s_waitcnt lgkmcnt(0)
	s_barrier
	v_mov_b32_e32 v2, v4
	buffer_gl0_inv
	v_cmpx_gt_u32_e32 16, v0
	s_cbranch_execz .LBB261_10
; %bb.9:
	ds_load_b128 v[1:4], v9
.LBB261_10:
	s_or_b32 exec_lo, exec_lo, s6
	s_and_saveexec_b32 s2, vcc_lo
	s_cbranch_execz .LBB261_12
; %bb.11:
	s_waitcnt lgkmcnt(0)
	ds_bpermute_b32 v5, v10, v1
	ds_bpermute_b32 v6, v10, v2
	ds_bpermute_b32 v7, v10, v3
	ds_bpermute_b32 v8, v10, v4
	s_waitcnt lgkmcnt(2)
	v_add_f64 v[1:2], v[1:2], v[5:6]
	s_waitcnt lgkmcnt(0)
	v_add_f64 v[3:4], v[3:4], v[7:8]
	ds_bpermute_b32 v5, v11, v1
	ds_bpermute_b32 v6, v11, v2
	ds_bpermute_b32 v7, v11, v3
	ds_bpermute_b32 v8, v11, v4
	s_waitcnt lgkmcnt(2)
	v_add_f64 v[1:2], v[1:2], v[5:6]
	s_waitcnt lgkmcnt(0)
	v_add_f64 v[3:4], v[3:4], v[7:8]
	;; [unrolled: 8-line block ×4, first 2 shown]
.LBB261_12:
	s_or_b32 exec_lo, exec_lo, s2
	s_delay_alu instid0(SALU_CYCLE_1)
	s_mov_b32 s2, exec_lo
	v_cmpx_eq_u32_e32 0, v0
	s_cbranch_execz .LBB261_18
; %bb.13:
	s_cmp_lg_u32 s3, 1
	s_cbranch_scc0 .LBB261_15
; %bb.14:
	s_load_b64 s[6:7], s[0:1], 0x50
	s_mul_hi_u32 s9, s3, s4
	s_mul_i32 s8, s3, s4
	s_mov_b32 s15, 0
	s_lshl_b64 s[2:3], s[8:9], 4
	s_waitcnt lgkmcnt(0)
	s_add_u32 s6, s6, s2
	s_addc_u32 s7, s7, s3
	s_lshl_b64 s[2:3], s[14:15], 4
	s_delay_alu instid0(SALU_CYCLE_1)
	s_add_u32 s2, s6, s2
	s_addc_u32 s3, s7, s3
	s_cbranch_execz .LBB261_16
	s_branch .LBB261_17
.LBB261_15:
                                        ; implicit-def: $sgpr2_sgpr3
.LBB261_16:
	s_load_b64 s[0:1], s[0:1], 0x58
	s_lshl_b64 s[2:3], s[4:5], 4
	s_waitcnt lgkmcnt(0)
	s_add_u32 s2, s0, s2
	s_addc_u32 s3, s1, s3
.LBB261_17:
	v_mov_b32_e32 v0, 0
	s_waitcnt lgkmcnt(0)
	global_store_b128 v0, v[1:4], s[2:3]
.LBB261_18:
	s_nop 0
	s_sendmsg sendmsg(MSG_DEALLOC_VGPRS)
	s_endpgm
	.section	.rodata,"a",@progbits
	.p2align	6, 0x0
	.amdhsa_kernel _ZL18rocblas_dot_kernelIiLb0ELi512ELi2ELb1E19rocblas_complex_numIdEPKPKS1_S1_EviT5_lT_lS6_lS7_liPT6_PT4_
		.amdhsa_group_segment_fixed_size 512
		.amdhsa_private_segment_fixed_size 0
		.amdhsa_kernarg_size 352
		.amdhsa_user_sgpr_count 14
		.amdhsa_user_sgpr_dispatch_ptr 0
		.amdhsa_user_sgpr_queue_ptr 0
		.amdhsa_user_sgpr_kernarg_segment_ptr 1
		.amdhsa_user_sgpr_dispatch_id 0
		.amdhsa_user_sgpr_private_segment_size 0
		.amdhsa_wavefront_size32 1
		.amdhsa_uses_dynamic_stack 0
		.amdhsa_enable_private_segment 0
		.amdhsa_system_sgpr_workgroup_id_x 1
		.amdhsa_system_sgpr_workgroup_id_y 0
		.amdhsa_system_sgpr_workgroup_id_z 1
		.amdhsa_system_sgpr_workgroup_info 0
		.amdhsa_system_vgpr_workitem_id 0
		.amdhsa_next_free_vgpr 15
		.amdhsa_next_free_sgpr 24
		.amdhsa_reserve_vcc 1
		.amdhsa_float_round_mode_32 0
		.amdhsa_float_round_mode_16_64 0
		.amdhsa_float_denorm_mode_32 3
		.amdhsa_float_denorm_mode_16_64 3
		.amdhsa_dx10_clamp 1
		.amdhsa_ieee_mode 1
		.amdhsa_fp16_overflow 0
		.amdhsa_workgroup_processor_mode 1
		.amdhsa_memory_ordered 1
		.amdhsa_forward_progress 0
		.amdhsa_shared_vgpr_count 0
		.amdhsa_exception_fp_ieee_invalid_op 0
		.amdhsa_exception_fp_denorm_src 0
		.amdhsa_exception_fp_ieee_div_zero 0
		.amdhsa_exception_fp_ieee_overflow 0
		.amdhsa_exception_fp_ieee_underflow 0
		.amdhsa_exception_fp_ieee_inexact 0
		.amdhsa_exception_int_div_zero 0
	.end_amdhsa_kernel
	.section	.text._ZL18rocblas_dot_kernelIiLb0ELi512ELi2ELb1E19rocblas_complex_numIdEPKPKS1_S1_EviT5_lT_lS6_lS7_liPT6_PT4_,"axG",@progbits,_ZL18rocblas_dot_kernelIiLb0ELi512ELi2ELb1E19rocblas_complex_numIdEPKPKS1_S1_EviT5_lT_lS6_lS7_liPT6_PT4_,comdat
.Lfunc_end261:
	.size	_ZL18rocblas_dot_kernelIiLb0ELi512ELi2ELb1E19rocblas_complex_numIdEPKPKS1_S1_EviT5_lT_lS6_lS7_liPT6_PT4_, .Lfunc_end261-_ZL18rocblas_dot_kernelIiLb0ELi512ELi2ELb1E19rocblas_complex_numIdEPKPKS1_S1_EviT5_lT_lS6_lS7_liPT6_PT4_
                                        ; -- End function
	.section	.AMDGPU.csdata,"",@progbits
; Kernel info:
; codeLenInByte = 1500
; NumSgprs: 26
; NumVgprs: 15
; ScratchSize: 0
; MemoryBound: 0
; FloatMode: 240
; IeeeMode: 1
; LDSByteSize: 512 bytes/workgroup (compile time only)
; SGPRBlocks: 3
; VGPRBlocks: 1
; NumSGPRsForWavesPerEU: 26
; NumVGPRsForWavesPerEU: 15
; Occupancy: 16
; WaveLimiterHint : 1
; COMPUTE_PGM_RSRC2:SCRATCH_EN: 0
; COMPUTE_PGM_RSRC2:USER_SGPR: 14
; COMPUTE_PGM_RSRC2:TRAP_HANDLER: 0
; COMPUTE_PGM_RSRC2:TGID_X_EN: 1
; COMPUTE_PGM_RSRC2:TGID_Y_EN: 0
; COMPUTE_PGM_RSRC2:TGID_Z_EN: 1
; COMPUTE_PGM_RSRC2:TIDIG_COMP_CNT: 0
	.section	.text._ZL24rocblas_dot_kernel_magsqIiLb0ELi512ELi2ELb1E19rocblas_complex_numIdEPKPKS1_S1_EviT5_lT_liPT6_PT4_,"axG",@progbits,_ZL24rocblas_dot_kernel_magsqIiLb0ELi512ELi2ELb1E19rocblas_complex_numIdEPKPKS1_S1_EviT5_lT_liPT6_PT4_,comdat
	.globl	_ZL24rocblas_dot_kernel_magsqIiLb0ELi512ELi2ELb1E19rocblas_complex_numIdEPKPKS1_S1_EviT5_lT_liPT6_PT4_ ; -- Begin function _ZL24rocblas_dot_kernel_magsqIiLb0ELi512ELi2ELb1E19rocblas_complex_numIdEPKPKS1_S1_EviT5_lT_liPT6_PT4_
	.p2align	8
	.type	_ZL24rocblas_dot_kernel_magsqIiLb0ELi512ELi2ELb1E19rocblas_complex_numIdEPKPKS1_S1_EviT5_lT_liPT6_PT4_,@function
_ZL24rocblas_dot_kernel_magsqIiLb0ELi512ELi2ELb1E19rocblas_complex_numIdEPKPKS1_S1_EviT5_lT_liPT6_PT4_: ; @_ZL24rocblas_dot_kernel_magsqIiLb0ELi512ELi2ELb1E19rocblas_complex_numIdEPKPKS1_S1_EviT5_lT_liPT6_PT4_
; %bb.0:
	s_clause 0x1
	s_load_b32 s6, s[0:1], 0x0
	s_load_b32 s3, s[0:1], 0x40
	v_mov_b32_e32 v1, 0
	v_mov_b32_e32 v2, 0
	v_lshl_or_b32 v5, s14, 9, v0
	s_mov_b32 s4, s15
	s_mov_b32 s5, 0
	s_mov_b32 s2, exec_lo
	v_dual_mov_b32 v4, v2 :: v_dual_mov_b32 v3, v1
	s_waitcnt lgkmcnt(0)
	v_cmpx_gt_i32_e64 s6, v5
	s_cbranch_execz .LBB262_4
; %bb.1:
	s_clause 0x1
	s_load_b128 s[8:11], s[0:1], 0x8
	s_load_b32 s7, s[0:1], 0x18
	s_lshl_b64 s[12:13], s[4:5], 3
	s_waitcnt lgkmcnt(0)
	s_add_u32 s8, s8, s12
	s_addc_u32 s9, s9, s13
	v_mad_i64_i32 v[1:2], null, v5, s7, 0
	s_load_b64 s[8:9], s[8:9], 0x0
	s_lshl_b64 s[10:11], s[10:11], 4
	s_delay_alu instid0(VALU_DEP_1) | instskip(SKIP_3) | instid1(VALU_DEP_1)
	v_lshlrev_b64 v[1:2], 4, v[1:2]
	s_waitcnt lgkmcnt(0)
	s_add_u32 s8, s8, s10
	s_addc_u32 s9, s9, s11
	v_add_co_u32 v1, vcc_lo, s8, v1
	s_delay_alu instid0(VALU_DEP_2)
	v_add_co_ci_u32_e32 v2, vcc_lo, s9, v2, vcc_lo
	s_add_i32 s10, s14, s3
	global_load_b128 v[1:4], v[1:2], off
	s_waitcnt vmcnt(0)
	v_mul_f64 v[5:6], v[1:2], v[3:4]
	v_mul_f64 v[7:8], v[3:4], v[3:4]
	s_delay_alu instid0(VALU_DEP_2) | instskip(NEXT) | instid1(VALU_DEP_2)
	v_fma_f64 v[3:4], v[1:2], v[3:4], -v[5:6]
	v_fma_f64 v[1:2], v[1:2], v[1:2], v[7:8]
	v_lshl_or_b32 v5, s10, 9, v0
	s_delay_alu instid0(VALU_DEP_1) | instskip(NEXT) | instid1(VALU_DEP_4)
	v_cmp_gt_i32_e32 vcc_lo, s6, v5
	v_add_f64 v[3:4], v[3:4], 0
	s_and_saveexec_b32 s6, vcc_lo
	s_cbranch_execz .LBB262_3
; %bb.2:
	v_mad_i64_i32 v[6:7], null, v5, s7, 0
	s_delay_alu instid0(VALU_DEP_1) | instskip(NEXT) | instid1(VALU_DEP_1)
	v_lshlrev_b64 v[5:6], 4, v[6:7]
	v_add_co_u32 v5, vcc_lo, s8, v5
	s_delay_alu instid0(VALU_DEP_2) | instskip(SKIP_4) | instid1(VALU_DEP_2)
	v_add_co_ci_u32_e32 v6, vcc_lo, s9, v6, vcc_lo
	global_load_b128 v[5:8], v[5:6], off
	s_waitcnt vmcnt(0)
	v_mul_f64 v[9:10], v[5:6], v[7:8]
	v_mul_f64 v[11:12], v[7:8], v[7:8]
	v_fma_f64 v[7:8], v[5:6], v[7:8], -v[9:10]
	s_delay_alu instid0(VALU_DEP_2) | instskip(NEXT) | instid1(VALU_DEP_2)
	v_fma_f64 v[5:6], v[5:6], v[5:6], v[11:12]
	v_add_f64 v[3:4], v[3:4], v[7:8]
	s_delay_alu instid0(VALU_DEP_2)
	v_add_f64 v[1:2], v[1:2], v[5:6]
.LBB262_3:
	s_or_b32 exec_lo, exec_lo, s6
.LBB262_4:
	s_delay_alu instid0(SALU_CYCLE_1) | instskip(SKIP_2) | instid1(VALU_DEP_2)
	s_or_b32 exec_lo, exec_lo, s2
	v_and_b32_e32 v14, 31, v0
	v_cmp_gt_u32_e32 vcc_lo, 32, v0
	v_lshlrev_b32_e32 v9, 4, v14
	s_and_saveexec_b32 s2, vcc_lo
	s_cbranch_execz .LBB262_6
; %bb.5:
	v_mov_b32_e32 v5, 0
	s_delay_alu instid0(VALU_DEP_1)
	v_mov_b32_e32 v6, v5
	v_mov_b32_e32 v7, v5
	;; [unrolled: 1-line block ×3, first 2 shown]
	ds_store_b128 v9, v[5:8]
.LBB262_6:
	s_or_b32 exec_lo, exec_lo, s2
	v_mbcnt_lo_u32_b32 v13, -1, 0
	s_mov_b32 s6, exec_lo
	s_waitcnt lgkmcnt(0)
	s_barrier
	buffer_gl0_inv
	v_cmp_gt_u32_e64 s2, 16, v13
	s_delay_alu instid0(VALU_DEP_1) | instskip(SKIP_1) | instid1(VALU_DEP_2)
	v_cndmask_b32_e64 v5, 0, 1, s2
	v_cmp_gt_u32_e64 s2, 24, v13
	v_lshlrev_b32_e32 v5, 4, v5
	s_delay_alu instid0(VALU_DEP_1)
	v_add_lshl_u32 v8, v5, v13, 2
	ds_bpermute_b32 v5, v8, v1
	ds_bpermute_b32 v6, v8, v2
	;; [unrolled: 1-line block ×4, first 2 shown]
	s_waitcnt lgkmcnt(2)
	v_add_f64 v[1:2], v[1:2], v[5:6]
	v_cndmask_b32_e64 v5, 0, 1, s2
	s_waitcnt lgkmcnt(0)
	v_add_f64 v[3:4], v[3:4], v[7:8]
	v_cmp_gt_u32_e64 s2, 28, v13
	s_delay_alu instid0(VALU_DEP_3) | instskip(NEXT) | instid1(VALU_DEP_1)
	v_lshlrev_b32_e32 v5, 3, v5
	v_add_lshl_u32 v10, v5, v13, 2
	ds_bpermute_b32 v5, v10, v1
	ds_bpermute_b32 v6, v10, v2
	;; [unrolled: 1-line block ×4, first 2 shown]
	s_waitcnt lgkmcnt(2)
	v_add_f64 v[1:2], v[1:2], v[5:6]
	v_cndmask_b32_e64 v5, 0, 1, s2
	s_waitcnt lgkmcnt(0)
	v_add_f64 v[3:4], v[3:4], v[7:8]
	v_cmp_gt_u32_e64 s2, 30, v13
	s_delay_alu instid0(VALU_DEP_3) | instskip(NEXT) | instid1(VALU_DEP_1)
	v_lshlrev_b32_e32 v5, 2, v5
	v_add_lshl_u32 v11, v5, v13, 2
	ds_bpermute_b32 v5, v11, v1
	ds_bpermute_b32 v6, v11, v2
	;; [unrolled: 1-line block ×4, first 2 shown]
	s_waitcnt lgkmcnt(2)
	v_add_f64 v[1:2], v[1:2], v[5:6]
	v_cndmask_b32_e64 v5, 0, 1, s2
	s_waitcnt lgkmcnt(0)
	v_add_f64 v[3:4], v[3:4], v[7:8]
	v_cmp_ne_u32_e64 s2, 31, v13
	s_delay_alu instid0(VALU_DEP_3) | instskip(NEXT) | instid1(VALU_DEP_1)
	v_lshlrev_b32_e32 v5, 1, v5
	v_add_lshl_u32 v12, v5, v13, 2
	ds_bpermute_b32 v5, v12, v1
	ds_bpermute_b32 v6, v12, v2
	;; [unrolled: 1-line block ×4, first 2 shown]
	s_waitcnt lgkmcnt(2)
	v_add_f64 v[1:2], v[1:2], v[5:6]
	s_waitcnt lgkmcnt(0)
	v_add_f64 v[5:6], v[3:4], v[7:8]
	v_add_co_ci_u32_e64 v3, s2, 0, v13, s2
	s_delay_alu instid0(VALU_DEP_1)
	v_lshlrev_b32_e32 v13, 2, v3
	ds_bpermute_b32 v3, v13, v1
	ds_bpermute_b32 v4, v13, v2
	;; [unrolled: 1-line block ×4, first 2 shown]
	v_cmpx_eq_u32_e32 0, v14
	s_cbranch_execz .LBB262_8
; %bb.7:
	s_waitcnt lgkmcnt(0)
	v_add_f64 v[5:6], v[5:6], v[7:8]
	v_add_f64 v[3:4], v[1:2], v[3:4]
	v_lshrrev_b32_e32 v1, 1, v0
	s_delay_alu instid0(VALU_DEP_1)
	v_and_b32_e32 v1, 0xf0, v1
	ds_store_b128 v1, v[3:6]
.LBB262_8:
	s_or_b32 exec_lo, exec_lo, s6
	s_waitcnt lgkmcnt(2)
	v_mov_b32_e32 v3, 0
	v_mov_b32_e32 v4, 0
	s_delay_alu instid0(VALU_DEP_2)
	v_mov_b32_e32 v1, v3
	s_mov_b32 s6, exec_lo
	s_waitcnt lgkmcnt(0)
	s_barrier
	v_mov_b32_e32 v2, v4
	buffer_gl0_inv
	v_cmpx_gt_u32_e32 16, v0
	s_cbranch_execz .LBB262_10
; %bb.9:
	ds_load_b128 v[1:4], v9
.LBB262_10:
	s_or_b32 exec_lo, exec_lo, s6
	s_and_saveexec_b32 s2, vcc_lo
	s_cbranch_execz .LBB262_12
; %bb.11:
	s_waitcnt lgkmcnt(0)
	ds_bpermute_b32 v5, v10, v1
	ds_bpermute_b32 v6, v10, v2
	ds_bpermute_b32 v7, v10, v3
	ds_bpermute_b32 v8, v10, v4
	s_waitcnt lgkmcnt(2)
	v_add_f64 v[1:2], v[1:2], v[5:6]
	s_waitcnt lgkmcnt(0)
	v_add_f64 v[3:4], v[3:4], v[7:8]
	ds_bpermute_b32 v5, v11, v1
	ds_bpermute_b32 v6, v11, v2
	ds_bpermute_b32 v7, v11, v3
	ds_bpermute_b32 v8, v11, v4
	s_waitcnt lgkmcnt(2)
	v_add_f64 v[1:2], v[1:2], v[5:6]
	s_waitcnt lgkmcnt(0)
	v_add_f64 v[3:4], v[3:4], v[7:8]
	;; [unrolled: 8-line block ×4, first 2 shown]
.LBB262_12:
	s_or_b32 exec_lo, exec_lo, s2
	s_delay_alu instid0(SALU_CYCLE_1)
	s_mov_b32 s2, exec_lo
	v_cmpx_eq_u32_e32 0, v0
	s_cbranch_execz .LBB262_18
; %bb.13:
	s_cmp_lg_u32 s3, 1
	s_cbranch_scc0 .LBB262_15
; %bb.14:
	s_load_b64 s[6:7], s[0:1], 0x30
	s_mul_hi_u32 s9, s3, s4
	s_mul_i32 s8, s3, s4
	s_mov_b32 s15, 0
	s_lshl_b64 s[2:3], s[8:9], 4
	s_waitcnt lgkmcnt(0)
	s_add_u32 s6, s6, s2
	s_addc_u32 s7, s7, s3
	s_lshl_b64 s[2:3], s[14:15], 4
	s_delay_alu instid0(SALU_CYCLE_1)
	s_add_u32 s2, s6, s2
	s_addc_u32 s3, s7, s3
	s_cbranch_execz .LBB262_16
	s_branch .LBB262_17
.LBB262_15:
                                        ; implicit-def: $sgpr2_sgpr3
.LBB262_16:
	s_load_b64 s[0:1], s[0:1], 0x38
	s_lshl_b64 s[2:3], s[4:5], 4
	s_waitcnt lgkmcnt(0)
	s_add_u32 s2, s0, s2
	s_addc_u32 s3, s1, s3
.LBB262_17:
	v_mov_b32_e32 v0, 0
	s_waitcnt lgkmcnt(0)
	global_store_b128 v0, v[1:4], s[2:3]
.LBB262_18:
	s_nop 0
	s_sendmsg sendmsg(MSG_DEALLOC_VGPRS)
	s_endpgm
	.section	.rodata,"a",@progbits
	.p2align	6, 0x0
	.amdhsa_kernel _ZL24rocblas_dot_kernel_magsqIiLb0ELi512ELi2ELb1E19rocblas_complex_numIdEPKPKS1_S1_EviT5_lT_liPT6_PT4_
		.amdhsa_group_segment_fixed_size 512
		.amdhsa_private_segment_fixed_size 0
		.amdhsa_kernarg_size 320
		.amdhsa_user_sgpr_count 14
		.amdhsa_user_sgpr_dispatch_ptr 0
		.amdhsa_user_sgpr_queue_ptr 0
		.amdhsa_user_sgpr_kernarg_segment_ptr 1
		.amdhsa_user_sgpr_dispatch_id 0
		.amdhsa_user_sgpr_private_segment_size 0
		.amdhsa_wavefront_size32 1
		.amdhsa_uses_dynamic_stack 0
		.amdhsa_enable_private_segment 0
		.amdhsa_system_sgpr_workgroup_id_x 1
		.amdhsa_system_sgpr_workgroup_id_y 0
		.amdhsa_system_sgpr_workgroup_id_z 1
		.amdhsa_system_sgpr_workgroup_info 0
		.amdhsa_system_vgpr_workitem_id 0
		.amdhsa_next_free_vgpr 15
		.amdhsa_next_free_sgpr 16
		.amdhsa_reserve_vcc 1
		.amdhsa_float_round_mode_32 0
		.amdhsa_float_round_mode_16_64 0
		.amdhsa_float_denorm_mode_32 3
		.amdhsa_float_denorm_mode_16_64 3
		.amdhsa_dx10_clamp 1
		.amdhsa_ieee_mode 1
		.amdhsa_fp16_overflow 0
		.amdhsa_workgroup_processor_mode 1
		.amdhsa_memory_ordered 1
		.amdhsa_forward_progress 0
		.amdhsa_shared_vgpr_count 0
		.amdhsa_exception_fp_ieee_invalid_op 0
		.amdhsa_exception_fp_denorm_src 0
		.amdhsa_exception_fp_ieee_div_zero 0
		.amdhsa_exception_fp_ieee_overflow 0
		.amdhsa_exception_fp_ieee_underflow 0
		.amdhsa_exception_fp_ieee_inexact 0
		.amdhsa_exception_int_div_zero 0
	.end_amdhsa_kernel
	.section	.text._ZL24rocblas_dot_kernel_magsqIiLb0ELi512ELi2ELb1E19rocblas_complex_numIdEPKPKS1_S1_EviT5_lT_liPT6_PT4_,"axG",@progbits,_ZL24rocblas_dot_kernel_magsqIiLb0ELi512ELi2ELb1E19rocblas_complex_numIdEPKPKS1_S1_EviT5_lT_liPT6_PT4_,comdat
.Lfunc_end262:
	.size	_ZL24rocblas_dot_kernel_magsqIiLb0ELi512ELi2ELb1E19rocblas_complex_numIdEPKPKS1_S1_EviT5_lT_liPT6_PT4_, .Lfunc_end262-_ZL24rocblas_dot_kernel_magsqIiLb0ELi512ELi2ELb1E19rocblas_complex_numIdEPKPKS1_S1_EviT5_lT_liPT6_PT4_
                                        ; -- End function
	.section	.AMDGPU.csdata,"",@progbits
; Kernel info:
; codeLenInByte = 1356
; NumSgprs: 18
; NumVgprs: 15
; ScratchSize: 0
; MemoryBound: 0
; FloatMode: 240
; IeeeMode: 1
; LDSByteSize: 512 bytes/workgroup (compile time only)
; SGPRBlocks: 2
; VGPRBlocks: 1
; NumSGPRsForWavesPerEU: 18
; NumVGPRsForWavesPerEU: 15
; Occupancy: 16
; WaveLimiterHint : 1
; COMPUTE_PGM_RSRC2:SCRATCH_EN: 0
; COMPUTE_PGM_RSRC2:USER_SGPR: 14
; COMPUTE_PGM_RSRC2:TRAP_HANDLER: 0
; COMPUTE_PGM_RSRC2:TGID_X_EN: 1
; COMPUTE_PGM_RSRC2:TGID_Y_EN: 0
; COMPUTE_PGM_RSRC2:TGID_Z_EN: 1
; COMPUTE_PGM_RSRC2:TIDIG_COMP_CNT: 0
	.section	.text._ZL28rocblas_dot_batched_4_kernelIlLi32ELi4ELb1E19rocblas_complex_numIdES1_PKPKS1_EviT5_lT_lS6_lS7_liPT4_,"axG",@progbits,_ZL28rocblas_dot_batched_4_kernelIlLi32ELi4ELb1E19rocblas_complex_numIdES1_PKPKS1_EviT5_lT_lS6_lS7_liPT4_,comdat
	.globl	_ZL28rocblas_dot_batched_4_kernelIlLi32ELi4ELb1E19rocblas_complex_numIdES1_PKPKS1_EviT5_lT_lS6_lS7_liPT4_ ; -- Begin function _ZL28rocblas_dot_batched_4_kernelIlLi32ELi4ELb1E19rocblas_complex_numIdES1_PKPKS1_EviT5_lT_lS6_lS7_liPT4_
	.p2align	8
	.type	_ZL28rocblas_dot_batched_4_kernelIlLi32ELi4ELb1E19rocblas_complex_numIdES1_PKPKS1_EviT5_lT_lS6_lS7_liPT4_,@function
_ZL28rocblas_dot_batched_4_kernelIlLi32ELi4ELb1E19rocblas_complex_numIdES1_PKPKS1_EviT5_lT_lS6_lS7_liPT4_: ; @_ZL28rocblas_dot_batched_4_kernelIlLi32ELi4ELb1E19rocblas_complex_numIdES1_PKPKS1_EviT5_lT_lS6_lS7_liPT4_
; %bb.0:
	s_load_b32 s2, s[0:1], 0x48
	v_bfe_u32 v1, v0, 10, 10
	s_delay_alu instid0(VALU_DEP_1) | instskip(SKIP_1) | instid1(VALU_DEP_1)
	v_lshl_add_u32 v1, s15, 2, v1
	s_waitcnt lgkmcnt(0)
	v_cmp_gt_u32_e32 vcc_lo, s2, v1
	s_and_saveexec_b32 s2, vcc_lo
	s_cbranch_execz .LBB263_7
; %bb.1:
	s_clause 0x1
	s_load_b32 s10, s[0:1], 0x0
	s_load_b64 s[8:9], s[0:1], 0x50
	v_dual_mov_b32 v3, 0 :: v_dual_and_b32 v0, 0x3ff, v0
	v_mov_b32_e32 v4, 0
	v_mov_b32_e32 v2, 0
	s_mov_b32 s11, exec_lo
	s_delay_alu instid0(VALU_DEP_2)
	v_dual_mov_b32 v6, v4 :: v_dual_mov_b32 v5, v3
	s_waitcnt lgkmcnt(0)
	v_cmpx_gt_i32_e64 s10, v0
	s_cbranch_execz .LBB263_5
; %bb.2:
	s_clause 0x1
	s_load_b64 s[12:13], s[0:1], 0x28
	s_load_b64 s[14:15], s[0:1], 0x8
	v_lshlrev_b64 v[3:4], 3, v[1:2]
	s_clause 0x1
	s_load_b128 s[4:7], s[0:1], 0x10
	s_load_b128 s[0:3], s[0:1], 0x30
	s_waitcnt lgkmcnt(0)
	s_delay_alu instid0(VALU_DEP_1)
	v_add_co_u32 v5, vcc_lo, s12, v3
	v_add_co_ci_u32_e32 v6, vcc_lo, s13, v4, vcc_lo
	v_add_co_u32 v3, vcc_lo, s14, v3
	v_add_co_ci_u32_e32 v4, vcc_lo, s15, v4, vcc_lo
	v_mad_u64_u32 v[9:10], null, s2, v0, 0
	global_load_b64 v[5:6], v[5:6], off
	global_load_b64 v[7:8], v[3:4], off
	v_mad_u64_u32 v[12:13], null, s6, v0, 0
	s_lshl_b64 s[0:1], s[0:1], 4
	s_lshl_b64 s[4:5], s[4:5], 4
	s_delay_alu instid0(VALU_DEP_1) | instskip(NEXT) | instid1(VALU_DEP_1)
	v_dual_mov_b32 v3, v10 :: v_dual_mov_b32 v4, v13
	v_mad_u64_u32 v[10:11], null, s3, v0, v[3:4]
	s_lshl_b64 s[2:3], s[2:3], 9
	v_mov_b32_e32 v11, v0
	s_delay_alu instid0(VALU_DEP_2) | instskip(NEXT) | instid1(VALU_DEP_1)
	v_lshlrev_b64 v[9:10], 4, v[9:10]
	v_add_co_u32 v9, vcc_lo, v9, s0
	s_delay_alu instid0(VALU_DEP_2)
	v_add_co_ci_u32_e32 v10, vcc_lo, s1, v10, vcc_lo
	s_mov_b32 s1, 0
	s_waitcnt vmcnt(1)
	v_mad_u64_u32 v[13:14], null, s7, v0, v[4:5]
	v_mov_b32_e32 v3, 0
	v_mov_b32_e32 v4, 0
	s_delay_alu instid0(VALU_DEP_3) | instskip(NEXT) | instid1(VALU_DEP_1)
	v_lshlrev_b64 v[12:13], 4, v[12:13]
	v_add_co_u32 v12, vcc_lo, v12, s4
	s_delay_alu instid0(VALU_DEP_2)
	v_add_co_ci_u32_e32 v13, vcc_lo, s5, v13, vcc_lo
	v_add_co_u32 v5, vcc_lo, v9, v5
	v_add_co_ci_u32_e32 v6, vcc_lo, v10, v6, vcc_lo
	s_waitcnt vmcnt(0)
	v_add_co_u32 v9, vcc_lo, v12, v7
	v_add_co_ci_u32_e32 v10, vcc_lo, v13, v8, vcc_lo
	v_add_co_u32 v7, vcc_lo, v5, 8
	v_add_co_ci_u32_e32 v8, vcc_lo, 0, v6, vcc_lo
	s_delay_alu instid0(VALU_DEP_4) | instskip(NEXT) | instid1(VALU_DEP_4)
	v_add_co_u32 v9, vcc_lo, v9, 8
	v_add_co_ci_u32_e32 v10, vcc_lo, 0, v10, vcc_lo
	v_dual_mov_b32 v6, v4 :: v_dual_mov_b32 v5, v3
	s_lshl_b64 s[4:5], s[6:7], 9
	.p2align	6
.LBB263_3:                              ; =>This Inner Loop Header: Depth=1
	global_load_b128 v[12:15], v[9:10], off offset:-8
	global_load_b128 v[16:19], v[7:8], off offset:-8
	v_add_nc_u32_e32 v11, 32, v11
	v_add_co_u32 v7, vcc_lo, v7, s2
	v_add_co_ci_u32_e32 v8, vcc_lo, s3, v8, vcc_lo
	s_delay_alu instid0(VALU_DEP_3) | instskip(SKIP_1) | instid1(VALU_DEP_1)
	v_cmp_le_i32_e32 vcc_lo, s10, v11
	v_add_co_u32 v9, s0, v9, s4
	v_add_co_ci_u32_e64 v10, s0, s5, v10, s0
	s_or_b32 s1, vcc_lo, s1
	s_waitcnt vmcnt(0)
	v_mul_f64 v[20:21], v[14:15], v[18:19]
	v_mul_f64 v[14:15], v[14:15], v[16:17]
	s_delay_alu instid0(VALU_DEP_2) | instskip(NEXT) | instid1(VALU_DEP_2)
	v_fma_f64 v[16:17], v[12:13], v[16:17], v[20:21]
	v_fma_f64 v[12:13], v[12:13], v[18:19], -v[14:15]
	s_delay_alu instid0(VALU_DEP_2) | instskip(NEXT) | instid1(VALU_DEP_2)
	v_add_f64 v[3:4], v[3:4], v[16:17]
	v_add_f64 v[5:6], v[5:6], v[12:13]
	s_and_not1_b32 exec_lo, exec_lo, s1
	s_cbranch_execnz .LBB263_3
; %bb.4:
	s_or_b32 exec_lo, exec_lo, s1
.LBB263_5:
	s_delay_alu instid0(SALU_CYCLE_1)
	s_or_b32 exec_lo, exec_lo, s11
	v_mbcnt_lo_u32_b32 v11, -1, 0
	s_barrier
	buffer_gl0_inv
	v_cmp_gt_u32_e32 vcc_lo, 16, v11
	v_cndmask_b32_e64 v7, 0, 1, vcc_lo
	v_cmp_gt_u32_e32 vcc_lo, 24, v11
	s_delay_alu instid0(VALU_DEP_2) | instskip(NEXT) | instid1(VALU_DEP_1)
	v_lshlrev_b32_e32 v7, 4, v7
	v_add_lshl_u32 v10, v7, v11, 2
	ds_bpermute_b32 v7, v10, v3
	ds_bpermute_b32 v8, v10, v4
	;; [unrolled: 1-line block ×4, first 2 shown]
	s_waitcnt lgkmcnt(2)
	v_add_f64 v[3:4], v[3:4], v[7:8]
	v_cndmask_b32_e64 v7, 0, 1, vcc_lo
	s_waitcnt lgkmcnt(0)
	v_add_f64 v[5:6], v[5:6], v[9:10]
	v_cmp_gt_u32_e32 vcc_lo, 28, v11
	s_delay_alu instid0(VALU_DEP_3) | instskip(NEXT) | instid1(VALU_DEP_1)
	v_lshlrev_b32_e32 v7, 3, v7
	v_add_lshl_u32 v10, v7, v11, 2
	ds_bpermute_b32 v7, v10, v3
	ds_bpermute_b32 v8, v10, v4
	;; [unrolled: 1-line block ×4, first 2 shown]
	s_waitcnt lgkmcnt(2)
	v_add_f64 v[3:4], v[3:4], v[7:8]
	v_cndmask_b32_e64 v7, 0, 1, vcc_lo
	s_waitcnt lgkmcnt(0)
	v_add_f64 v[5:6], v[5:6], v[9:10]
	v_cmp_gt_u32_e32 vcc_lo, 30, v11
	s_delay_alu instid0(VALU_DEP_3) | instskip(NEXT) | instid1(VALU_DEP_1)
	v_lshlrev_b32_e32 v7, 2, v7
	v_add_lshl_u32 v10, v7, v11, 2
	ds_bpermute_b32 v7, v10, v3
	ds_bpermute_b32 v8, v10, v4
	;; [unrolled: 1-line block ×4, first 2 shown]
	s_waitcnt lgkmcnt(2)
	v_add_f64 v[3:4], v[3:4], v[7:8]
	v_cndmask_b32_e64 v7, 0, 1, vcc_lo
	s_waitcnt lgkmcnt(0)
	v_add_f64 v[5:6], v[5:6], v[9:10]
	v_cmp_ne_u32_e32 vcc_lo, 31, v11
	s_delay_alu instid0(VALU_DEP_3) | instskip(NEXT) | instid1(VALU_DEP_1)
	v_lshlrev_b32_e32 v7, 1, v7
	v_add_lshl_u32 v10, v7, v11, 2
	ds_bpermute_b32 v7, v10, v3
	ds_bpermute_b32 v8, v10, v4
	;; [unrolled: 1-line block ×4, first 2 shown]
	s_waitcnt lgkmcnt(2)
	v_add_f64 v[3:4], v[3:4], v[7:8]
	s_waitcnt lgkmcnt(0)
	v_add_f64 v[7:8], v[5:6], v[9:10]
	v_add_co_ci_u32_e32 v5, vcc_lo, 0, v11, vcc_lo
	v_cmp_eq_u32_e32 vcc_lo, 0, v0
	s_delay_alu instid0(VALU_DEP_2)
	v_lshlrev_b32_e32 v10, 2, v5
	ds_bpermute_b32 v5, v10, v3
	ds_bpermute_b32 v6, v10, v4
	;; [unrolled: 1-line block ×4, first 2 shown]
	s_and_b32 exec_lo, exec_lo, vcc_lo
	s_cbranch_execz .LBB263_7
; %bb.6:
	s_waitcnt lgkmcnt(0)
	v_add_f64 v[7:8], v[7:8], v[9:10]
	v_add_f64 v[5:6], v[3:4], v[5:6]
	v_lshlrev_b64 v[0:1], 4, v[1:2]
	s_delay_alu instid0(VALU_DEP_1) | instskip(NEXT) | instid1(VALU_DEP_2)
	v_add_co_u32 v0, vcc_lo, s8, v0
	v_add_co_ci_u32_e32 v1, vcc_lo, s9, v1, vcc_lo
	global_store_b128 v[0:1], v[5:8], off
.LBB263_7:
	s_nop 0
	s_sendmsg sendmsg(MSG_DEALLOC_VGPRS)
	s_endpgm
	.section	.rodata,"a",@progbits
	.p2align	6, 0x0
	.amdhsa_kernel _ZL28rocblas_dot_batched_4_kernelIlLi32ELi4ELb1E19rocblas_complex_numIdES1_PKPKS1_EviT5_lT_lS6_lS7_liPT4_
		.amdhsa_group_segment_fixed_size 0
		.amdhsa_private_segment_fixed_size 0
		.amdhsa_kernarg_size 88
		.amdhsa_user_sgpr_count 15
		.amdhsa_user_sgpr_dispatch_ptr 0
		.amdhsa_user_sgpr_queue_ptr 0
		.amdhsa_user_sgpr_kernarg_segment_ptr 1
		.amdhsa_user_sgpr_dispatch_id 0
		.amdhsa_user_sgpr_private_segment_size 0
		.amdhsa_wavefront_size32 1
		.amdhsa_uses_dynamic_stack 0
		.amdhsa_enable_private_segment 0
		.amdhsa_system_sgpr_workgroup_id_x 1
		.amdhsa_system_sgpr_workgroup_id_y 0
		.amdhsa_system_sgpr_workgroup_id_z 0
		.amdhsa_system_sgpr_workgroup_info 0
		.amdhsa_system_vgpr_workitem_id 1
		.amdhsa_next_free_vgpr 22
		.amdhsa_next_free_sgpr 16
		.amdhsa_reserve_vcc 1
		.amdhsa_float_round_mode_32 0
		.amdhsa_float_round_mode_16_64 0
		.amdhsa_float_denorm_mode_32 3
		.amdhsa_float_denorm_mode_16_64 3
		.amdhsa_dx10_clamp 1
		.amdhsa_ieee_mode 1
		.amdhsa_fp16_overflow 0
		.amdhsa_workgroup_processor_mode 1
		.amdhsa_memory_ordered 1
		.amdhsa_forward_progress 0
		.amdhsa_shared_vgpr_count 0
		.amdhsa_exception_fp_ieee_invalid_op 0
		.amdhsa_exception_fp_denorm_src 0
		.amdhsa_exception_fp_ieee_div_zero 0
		.amdhsa_exception_fp_ieee_overflow 0
		.amdhsa_exception_fp_ieee_underflow 0
		.amdhsa_exception_fp_ieee_inexact 0
		.amdhsa_exception_int_div_zero 0
	.end_amdhsa_kernel
	.section	.text._ZL28rocblas_dot_batched_4_kernelIlLi32ELi4ELb1E19rocblas_complex_numIdES1_PKPKS1_EviT5_lT_lS6_lS7_liPT4_,"axG",@progbits,_ZL28rocblas_dot_batched_4_kernelIlLi32ELi4ELb1E19rocblas_complex_numIdES1_PKPKS1_EviT5_lT_lS6_lS7_liPT4_,comdat
.Lfunc_end263:
	.size	_ZL28rocblas_dot_batched_4_kernelIlLi32ELi4ELb1E19rocblas_complex_numIdES1_PKPKS1_EviT5_lT_lS6_lS7_liPT4_, .Lfunc_end263-_ZL28rocblas_dot_batched_4_kernelIlLi32ELi4ELb1E19rocblas_complex_numIdES1_PKPKS1_EviT5_lT_lS6_lS7_liPT4_
                                        ; -- End function
	.section	.AMDGPU.csdata,"",@progbits
; Kernel info:
; codeLenInByte = 1032
; NumSgprs: 18
; NumVgprs: 22
; ScratchSize: 0
; MemoryBound: 0
; FloatMode: 240
; IeeeMode: 1
; LDSByteSize: 0 bytes/workgroup (compile time only)
; SGPRBlocks: 2
; VGPRBlocks: 2
; NumSGPRsForWavesPerEU: 18
; NumVGPRsForWavesPerEU: 22
; Occupancy: 16
; WaveLimiterHint : 0
; COMPUTE_PGM_RSRC2:SCRATCH_EN: 0
; COMPUTE_PGM_RSRC2:USER_SGPR: 15
; COMPUTE_PGM_RSRC2:TRAP_HANDLER: 0
; COMPUTE_PGM_RSRC2:TGID_X_EN: 1
; COMPUTE_PGM_RSRC2:TGID_Y_EN: 0
; COMPUTE_PGM_RSRC2:TGID_Z_EN: 0
; COMPUTE_PGM_RSRC2:TIDIG_COMP_CNT: 1
	.section	.text._ZL28rocblas_dot_batched_4_kernelIlLi64ELi4ELb1E19rocblas_complex_numIdES1_PKPKS1_EviT5_lT_lS6_lS7_liPT4_,"axG",@progbits,_ZL28rocblas_dot_batched_4_kernelIlLi64ELi4ELb1E19rocblas_complex_numIdES1_PKPKS1_EviT5_lT_lS6_lS7_liPT4_,comdat
	.globl	_ZL28rocblas_dot_batched_4_kernelIlLi64ELi4ELb1E19rocblas_complex_numIdES1_PKPKS1_EviT5_lT_lS6_lS7_liPT4_ ; -- Begin function _ZL28rocblas_dot_batched_4_kernelIlLi64ELi4ELb1E19rocblas_complex_numIdES1_PKPKS1_EviT5_lT_lS6_lS7_liPT4_
	.p2align	8
	.type	_ZL28rocblas_dot_batched_4_kernelIlLi64ELi4ELb1E19rocblas_complex_numIdES1_PKPKS1_EviT5_lT_lS6_lS7_liPT4_,@function
_ZL28rocblas_dot_batched_4_kernelIlLi64ELi4ELb1E19rocblas_complex_numIdES1_PKPKS1_EviT5_lT_lS6_lS7_liPT4_: ; @_ZL28rocblas_dot_batched_4_kernelIlLi64ELi4ELb1E19rocblas_complex_numIdES1_PKPKS1_EviT5_lT_lS6_lS7_liPT4_
; %bb.0:
	s_load_b32 s2, s[0:1], 0x48
	v_bfe_u32 v1, v0, 10, 10
	s_delay_alu instid0(VALU_DEP_1) | instskip(SKIP_1) | instid1(VALU_DEP_1)
	v_lshl_add_u32 v1, s15, 2, v1
	s_waitcnt lgkmcnt(0)
	v_cmp_gt_u32_e32 vcc_lo, s2, v1
	s_and_saveexec_b32 s2, vcc_lo
	s_cbranch_execz .LBB264_7
; %bb.1:
	s_clause 0x1
	s_load_b32 s10, s[0:1], 0x0
	s_load_b64 s[8:9], s[0:1], 0x50
	v_dual_mov_b32 v3, 0 :: v_dual_and_b32 v0, 0x3ff, v0
	v_mov_b32_e32 v4, 0
	v_mov_b32_e32 v2, 0
	s_mov_b32 s11, exec_lo
	s_delay_alu instid0(VALU_DEP_2)
	v_dual_mov_b32 v6, v4 :: v_dual_mov_b32 v5, v3
	s_waitcnt lgkmcnt(0)
	v_cmpx_gt_i32_e64 s10, v0
	s_cbranch_execz .LBB264_5
; %bb.2:
	s_clause 0x1
	s_load_b64 s[12:13], s[0:1], 0x28
	s_load_b64 s[14:15], s[0:1], 0x8
	v_lshlrev_b64 v[3:4], 3, v[1:2]
	s_clause 0x1
	s_load_b128 s[4:7], s[0:1], 0x10
	s_load_b128 s[0:3], s[0:1], 0x30
	s_waitcnt lgkmcnt(0)
	s_delay_alu instid0(VALU_DEP_1)
	v_add_co_u32 v5, vcc_lo, s12, v3
	v_add_co_ci_u32_e32 v6, vcc_lo, s13, v4, vcc_lo
	v_add_co_u32 v3, vcc_lo, s14, v3
	v_add_co_ci_u32_e32 v4, vcc_lo, s15, v4, vcc_lo
	v_mad_u64_u32 v[9:10], null, s2, v0, 0
	global_load_b64 v[5:6], v[5:6], off
	global_load_b64 v[7:8], v[3:4], off
	v_mad_u64_u32 v[12:13], null, s6, v0, 0
	s_lshl_b64 s[0:1], s[0:1], 4
	s_lshl_b64 s[4:5], s[4:5], 4
	s_delay_alu instid0(VALU_DEP_1) | instskip(NEXT) | instid1(VALU_DEP_1)
	v_dual_mov_b32 v3, v10 :: v_dual_mov_b32 v4, v13
	v_mad_u64_u32 v[10:11], null, s3, v0, v[3:4]
	s_lshl_b64 s[2:3], s[2:3], 10
	v_mov_b32_e32 v11, v0
	s_delay_alu instid0(VALU_DEP_2) | instskip(NEXT) | instid1(VALU_DEP_1)
	v_lshlrev_b64 v[9:10], 4, v[9:10]
	v_add_co_u32 v9, vcc_lo, v9, s0
	s_delay_alu instid0(VALU_DEP_2)
	v_add_co_ci_u32_e32 v10, vcc_lo, s1, v10, vcc_lo
	s_mov_b32 s1, 0
	s_waitcnt vmcnt(1)
	v_mad_u64_u32 v[13:14], null, s7, v0, v[4:5]
	v_mov_b32_e32 v3, 0
	v_mov_b32_e32 v4, 0
	s_delay_alu instid0(VALU_DEP_3) | instskip(NEXT) | instid1(VALU_DEP_1)
	v_lshlrev_b64 v[12:13], 4, v[12:13]
	v_add_co_u32 v12, vcc_lo, v12, s4
	s_delay_alu instid0(VALU_DEP_2)
	v_add_co_ci_u32_e32 v13, vcc_lo, s5, v13, vcc_lo
	v_add_co_u32 v5, vcc_lo, v9, v5
	v_add_co_ci_u32_e32 v6, vcc_lo, v10, v6, vcc_lo
	s_waitcnt vmcnt(0)
	v_add_co_u32 v9, vcc_lo, v12, v7
	v_add_co_ci_u32_e32 v10, vcc_lo, v13, v8, vcc_lo
	v_add_co_u32 v7, vcc_lo, v5, 8
	v_add_co_ci_u32_e32 v8, vcc_lo, 0, v6, vcc_lo
	s_delay_alu instid0(VALU_DEP_4) | instskip(NEXT) | instid1(VALU_DEP_4)
	v_add_co_u32 v9, vcc_lo, v9, 8
	v_add_co_ci_u32_e32 v10, vcc_lo, 0, v10, vcc_lo
	v_dual_mov_b32 v6, v4 :: v_dual_mov_b32 v5, v3
	s_lshl_b64 s[4:5], s[6:7], 10
	.p2align	6
.LBB264_3:                              ; =>This Inner Loop Header: Depth=1
	global_load_b128 v[12:15], v[9:10], off offset:-8
	global_load_b128 v[16:19], v[7:8], off offset:-8
	v_add_nc_u32_e32 v11, 64, v11
	v_add_co_u32 v7, vcc_lo, v7, s2
	v_add_co_ci_u32_e32 v8, vcc_lo, s3, v8, vcc_lo
	s_delay_alu instid0(VALU_DEP_3) | instskip(SKIP_1) | instid1(VALU_DEP_1)
	v_cmp_le_i32_e32 vcc_lo, s10, v11
	v_add_co_u32 v9, s0, v9, s4
	v_add_co_ci_u32_e64 v10, s0, s5, v10, s0
	s_or_b32 s1, vcc_lo, s1
	s_waitcnt vmcnt(0)
	v_mul_f64 v[20:21], v[14:15], v[18:19]
	v_mul_f64 v[14:15], v[14:15], v[16:17]
	s_delay_alu instid0(VALU_DEP_2) | instskip(NEXT) | instid1(VALU_DEP_2)
	v_fma_f64 v[16:17], v[12:13], v[16:17], v[20:21]
	v_fma_f64 v[12:13], v[12:13], v[18:19], -v[14:15]
	s_delay_alu instid0(VALU_DEP_2) | instskip(NEXT) | instid1(VALU_DEP_2)
	v_add_f64 v[3:4], v[3:4], v[16:17]
	v_add_f64 v[5:6], v[5:6], v[12:13]
	s_and_not1_b32 exec_lo, exec_lo, s1
	s_cbranch_execnz .LBB264_3
; %bb.4:
	s_or_b32 exec_lo, exec_lo, s1
.LBB264_5:
	s_delay_alu instid0(SALU_CYCLE_1)
	s_or_b32 exec_lo, exec_lo, s11
	v_mbcnt_lo_u32_b32 v11, -1, 0
	s_barrier
	buffer_gl0_inv
	v_lshlrev_b32_e32 v10, 2, v11
	v_cmp_gt_u32_e32 vcc_lo, 16, v11
	ds_bpermute_b32 v7, v10, v3
	ds_bpermute_b32 v8, v10, v4
	ds_bpermute_b32 v9, v10, v5
	ds_bpermute_b32 v10, v10, v6
	s_waitcnt lgkmcnt(2)
	v_add_f64 v[3:4], v[3:4], v[7:8]
	v_cndmask_b32_e64 v7, 0, 1, vcc_lo
	s_waitcnt lgkmcnt(0)
	v_add_f64 v[5:6], v[5:6], v[9:10]
	v_cmp_gt_u32_e32 vcc_lo, 24, v11
	s_delay_alu instid0(VALU_DEP_3) | instskip(NEXT) | instid1(VALU_DEP_1)
	v_lshlrev_b32_e32 v7, 4, v7
	v_add_lshl_u32 v10, v7, v11, 2
	ds_bpermute_b32 v7, v10, v3
	ds_bpermute_b32 v8, v10, v4
	ds_bpermute_b32 v9, v10, v5
	ds_bpermute_b32 v10, v10, v6
	s_waitcnt lgkmcnt(2)
	v_add_f64 v[3:4], v[3:4], v[7:8]
	v_cndmask_b32_e64 v7, 0, 1, vcc_lo
	s_waitcnt lgkmcnt(0)
	v_add_f64 v[5:6], v[5:6], v[9:10]
	v_cmp_gt_u32_e32 vcc_lo, 28, v11
	s_delay_alu instid0(VALU_DEP_3) | instskip(NEXT) | instid1(VALU_DEP_1)
	v_lshlrev_b32_e32 v7, 3, v7
	v_add_lshl_u32 v10, v7, v11, 2
	;; [unrolled: 13-line block ×3, first 2 shown]
	ds_bpermute_b32 v7, v10, v3
	ds_bpermute_b32 v8, v10, v4
	;; [unrolled: 1-line block ×4, first 2 shown]
	s_waitcnt lgkmcnt(2)
	v_add_f64 v[3:4], v[3:4], v[7:8]
	v_cndmask_b32_e64 v7, 0, 1, vcc_lo
	s_waitcnt lgkmcnt(0)
	v_add_f64 v[5:6], v[5:6], v[9:10]
	v_cmp_ne_u32_e32 vcc_lo, 31, v11
	s_delay_alu instid0(VALU_DEP_3) | instskip(NEXT) | instid1(VALU_DEP_1)
	v_lshlrev_b32_e32 v7, 1, v7
	v_add_lshl_u32 v10, v7, v11, 2
	ds_bpermute_b32 v7, v10, v3
	ds_bpermute_b32 v8, v10, v4
	;; [unrolled: 1-line block ×4, first 2 shown]
	s_waitcnt lgkmcnt(2)
	v_add_f64 v[3:4], v[3:4], v[7:8]
	s_waitcnt lgkmcnt(0)
	v_add_f64 v[7:8], v[5:6], v[9:10]
	v_add_co_ci_u32_e32 v5, vcc_lo, 0, v11, vcc_lo
	v_cmp_eq_u32_e32 vcc_lo, 0, v0
	s_delay_alu instid0(VALU_DEP_2)
	v_lshlrev_b32_e32 v10, 2, v5
	ds_bpermute_b32 v5, v10, v3
	ds_bpermute_b32 v6, v10, v4
	;; [unrolled: 1-line block ×4, first 2 shown]
	s_and_b32 exec_lo, exec_lo, vcc_lo
	s_cbranch_execz .LBB264_7
; %bb.6:
	s_waitcnt lgkmcnt(0)
	v_add_f64 v[7:8], v[7:8], v[9:10]
	v_add_f64 v[5:6], v[3:4], v[5:6]
	v_lshlrev_b64 v[0:1], 4, v[1:2]
	s_delay_alu instid0(VALU_DEP_1) | instskip(NEXT) | instid1(VALU_DEP_2)
	v_add_co_u32 v0, vcc_lo, s8, v0
	v_add_co_ci_u32_e32 v1, vcc_lo, s9, v1, vcc_lo
	global_store_b128 v[0:1], v[5:8], off
.LBB264_7:
	s_nop 0
	s_sendmsg sendmsg(MSG_DEALLOC_VGPRS)
	s_endpgm
	.section	.rodata,"a",@progbits
	.p2align	6, 0x0
	.amdhsa_kernel _ZL28rocblas_dot_batched_4_kernelIlLi64ELi4ELb1E19rocblas_complex_numIdES1_PKPKS1_EviT5_lT_lS6_lS7_liPT4_
		.amdhsa_group_segment_fixed_size 0
		.amdhsa_private_segment_fixed_size 0
		.amdhsa_kernarg_size 88
		.amdhsa_user_sgpr_count 15
		.amdhsa_user_sgpr_dispatch_ptr 0
		.amdhsa_user_sgpr_queue_ptr 0
		.amdhsa_user_sgpr_kernarg_segment_ptr 1
		.amdhsa_user_sgpr_dispatch_id 0
		.amdhsa_user_sgpr_private_segment_size 0
		.amdhsa_wavefront_size32 1
		.amdhsa_uses_dynamic_stack 0
		.amdhsa_enable_private_segment 0
		.amdhsa_system_sgpr_workgroup_id_x 1
		.amdhsa_system_sgpr_workgroup_id_y 0
		.amdhsa_system_sgpr_workgroup_id_z 0
		.amdhsa_system_sgpr_workgroup_info 0
		.amdhsa_system_vgpr_workitem_id 1
		.amdhsa_next_free_vgpr 22
		.amdhsa_next_free_sgpr 16
		.amdhsa_reserve_vcc 1
		.amdhsa_float_round_mode_32 0
		.amdhsa_float_round_mode_16_64 0
		.amdhsa_float_denorm_mode_32 3
		.amdhsa_float_denorm_mode_16_64 3
		.amdhsa_dx10_clamp 1
		.amdhsa_ieee_mode 1
		.amdhsa_fp16_overflow 0
		.amdhsa_workgroup_processor_mode 1
		.amdhsa_memory_ordered 1
		.amdhsa_forward_progress 0
		.amdhsa_shared_vgpr_count 0
		.amdhsa_exception_fp_ieee_invalid_op 0
		.amdhsa_exception_fp_denorm_src 0
		.amdhsa_exception_fp_ieee_div_zero 0
		.amdhsa_exception_fp_ieee_overflow 0
		.amdhsa_exception_fp_ieee_underflow 0
		.amdhsa_exception_fp_ieee_inexact 0
		.amdhsa_exception_int_div_zero 0
	.end_amdhsa_kernel
	.section	.text._ZL28rocblas_dot_batched_4_kernelIlLi64ELi4ELb1E19rocblas_complex_numIdES1_PKPKS1_EviT5_lT_lS6_lS7_liPT4_,"axG",@progbits,_ZL28rocblas_dot_batched_4_kernelIlLi64ELi4ELb1E19rocblas_complex_numIdES1_PKPKS1_EviT5_lT_lS6_lS7_liPT4_,comdat
.Lfunc_end264:
	.size	_ZL28rocblas_dot_batched_4_kernelIlLi64ELi4ELb1E19rocblas_complex_numIdES1_PKPKS1_EviT5_lT_lS6_lS7_liPT4_, .Lfunc_end264-_ZL28rocblas_dot_batched_4_kernelIlLi64ELi4ELb1E19rocblas_complex_numIdES1_PKPKS1_EviT5_lT_lS6_lS7_liPT4_
                                        ; -- End function
	.section	.AMDGPU.csdata,"",@progbits
; Kernel info:
; codeLenInByte = 1092
; NumSgprs: 18
; NumVgprs: 22
; ScratchSize: 0
; MemoryBound: 0
; FloatMode: 240
; IeeeMode: 1
; LDSByteSize: 0 bytes/workgroup (compile time only)
; SGPRBlocks: 2
; VGPRBlocks: 2
; NumSGPRsForWavesPerEU: 18
; NumVGPRsForWavesPerEU: 22
; Occupancy: 16
; WaveLimiterHint : 0
; COMPUTE_PGM_RSRC2:SCRATCH_EN: 0
; COMPUTE_PGM_RSRC2:USER_SGPR: 15
; COMPUTE_PGM_RSRC2:TRAP_HANDLER: 0
; COMPUTE_PGM_RSRC2:TGID_X_EN: 1
; COMPUTE_PGM_RSRC2:TGID_Y_EN: 0
; COMPUTE_PGM_RSRC2:TGID_Z_EN: 0
; COMPUTE_PGM_RSRC2:TIDIG_COMP_CNT: 1
	.section	.text._ZL18rocblas_dot_kernelIlLb1ELi1024ELi32ELb1E19rocblas_complex_numIdEPKPKS1_S1_EviT5_lT_lS6_lS7_liPT6_PT4_,"axG",@progbits,_ZL18rocblas_dot_kernelIlLb1ELi1024ELi32ELb1E19rocblas_complex_numIdEPKPKS1_S1_EviT5_lT_lS6_lS7_liPT6_PT4_,comdat
	.globl	_ZL18rocblas_dot_kernelIlLb1ELi1024ELi32ELb1E19rocblas_complex_numIdEPKPKS1_S1_EviT5_lT_lS6_lS7_liPT6_PT4_ ; -- Begin function _ZL18rocblas_dot_kernelIlLb1ELi1024ELi32ELb1E19rocblas_complex_numIdEPKPKS1_S1_EviT5_lT_lS6_lS7_liPT6_PT4_
	.p2align	8
	.type	_ZL18rocblas_dot_kernelIlLb1ELi1024ELi32ELb1E19rocblas_complex_numIdEPKPKS1_S1_EviT5_lT_lS6_lS7_liPT6_PT4_,@function
_ZL18rocblas_dot_kernelIlLb1ELi1024ELi32ELb1E19rocblas_complex_numIdEPKPKS1_S1_EviT5_lT_lS6_lS7_liPT6_PT4_: ; @_ZL18rocblas_dot_kernelIlLb1ELi1024ELi32ELb1E19rocblas_complex_numIdEPKPKS1_S1_EviT5_lT_lS6_lS7_liPT6_PT4_
; %bb.0:
	s_clause 0x1
	s_load_b32 s14, s[0:1], 0x0
	s_load_b64 s[2:3], s[0:1], 0x58
	v_mov_b32_e32 v1, 0
	v_mov_b32_e32 v2, 0
	s_mov_b32 s12, s15
	s_mov_b32 s13, 0
	s_mov_b32 s15, exec_lo
	s_delay_alu instid0(VALU_DEP_1)
	v_dual_mov_b32 v4, v2 :: v_dual_mov_b32 v3, v1
	s_waitcnt lgkmcnt(0)
	v_cmpx_gt_i32_e64 s14, v0
	s_cbranch_execz .LBB265_4
; %bb.1:
	s_clause 0x4
	s_load_b64 s[16:17], s[0:1], 0x8
	s_load_b128 s[8:11], s[0:1], 0x10
	s_load_b128 s[4:7], s[0:1], 0x30
	s_load_b64 s[18:19], s[0:1], 0x28
	s_load_b32 s20, s[0:1], 0x60
	s_lshl_b64 s[0:1], s[12:13], 3
	s_waitcnt lgkmcnt(0)
	s_add_u32 s16, s16, s0
	v_mad_u64_u32 v[3:4], null, s10, v0, 0
	v_mad_u64_u32 v[5:6], null, s6, v0, 0
	s_addc_u32 s17, s17, s1
	s_add_u32 s18, s18, s0
	s_load_b64 s[16:17], s[16:17], 0x0
	s_addc_u32 s19, s19, s1
	s_lshl_b64 s[8:9], s[8:9], 4
	s_load_b64 s[18:19], s[18:19], 0x0
	s_delay_alu instid0(VALU_DEP_1)
	v_mad_u64_u32 v[7:8], null, s11, v0, v[4:5]
	v_mov_b32_e32 v1, 0
	s_lshl_b32 s1, s20, 10
	v_mov_b32_e32 v2, 0
	s_mul_hi_u32 s0, s10, s1
	s_mul_i32 s11, s11, s1
	s_mul_i32 s20, s10, s1
	s_delay_alu instid0(VALU_DEP_3) | instskip(SKIP_3) | instid1(VALU_DEP_2)
	v_mov_b32_e32 v4, v7
	v_mad_u64_u32 v[8:9], null, s7, v0, v[6:7]
	s_mul_hi_u32 s22, s6, s1
	s_mul_i32 s7, s7, s1
	v_lshlrev_b64 v[3:4], 4, v[3:4]
	v_or_b32_e32 v9, s1, v0
	s_waitcnt lgkmcnt(0)
	s_add_u32 s16, s16, s8
	s_delay_alu instid0(VALU_DEP_3)
	v_mov_b32_e32 v6, v8
	s_addc_u32 s17, s17, s9
	s_ashr_i32 s21, s1, 31
	s_lshl_b64 s[8:9], s[4:5], 4
	s_mul_i32 s4, s10, s21
	v_lshlrev_b64 v[5:6], 4, v[5:6]
	s_add_i32 s0, s0, s4
	s_mul_i32 s10, s6, s21
	s_add_i32 s21, s0, s11
	v_add_co_u32 v3, vcc_lo, s16, v3
	s_lshl_b64 s[4:5], s[20:21], 4
	s_add_u32 s0, s18, s8
	v_add_co_ci_u32_e32 v4, vcc_lo, s17, v4, vcc_lo
	s_addc_u32 s8, s19, s9
	v_add_co_u32 v7, vcc_lo, s0, v5
	v_add_co_ci_u32_e32 v8, vcc_lo, s8, v6, vcc_lo
	v_add_co_u32 v5, vcc_lo, v3, 8
	v_add_co_ci_u32_e32 v6, vcc_lo, 0, v4, vcc_lo
	s_delay_alu instid0(VALU_DEP_4)
	v_add_co_u32 v7, vcc_lo, v7, 8
	s_add_i32 s9, s22, s10
	v_dual_mov_b32 v4, v2 :: v_dual_mov_b32 v3, v1
	v_add_co_ci_u32_e32 v8, vcc_lo, 0, v8, vcc_lo
	s_add_i32 s7, s9, s7
	s_mul_i32 s6, s6, s1
	s_mov_b32 s8, s13
	s_lshl_b64 s[6:7], s[6:7], 4
	s_mov_b32 s9, s13
	s_set_inst_prefetch_distance 0x1
	.p2align	6
.LBB265_2:                              ; =>This Inner Loop Header: Depth=1
	global_load_b128 v[10:13], v[7:8], off offset:-8
	global_load_b128 v[14:17], v[5:6], off offset:-8
	s_add_i32 s10, s9, 1
	v_cmp_le_i32_e32 vcc_lo, s14, v9
	v_add_co_u32 v5, s0, v5, s4
	s_cmp_gt_u32 s9, 30
	v_add_co_ci_u32_e64 v6, s0, s5, v6, s0
	s_cselect_b32 s9, -1, 0
	v_add_co_u32 v7, s0, v7, s6
	s_or_b32 s9, s9, vcc_lo
	v_add_nc_u32_e32 v9, s1, v9
	v_add_co_ci_u32_e64 v8, vcc_lo, s7, v8, s0
	s_and_b32 s0, exec_lo, s9
	s_mov_b32 s9, s10
	s_or_b32 s8, s0, s8
	s_waitcnt vmcnt(0)
	v_mul_f64 v[18:19], v[12:13], v[16:17]
	v_mul_f64 v[16:17], v[10:11], v[16:17]
	s_delay_alu instid0(VALU_DEP_2) | instskip(NEXT) | instid1(VALU_DEP_2)
	v_fma_f64 v[10:11], v[10:11], v[14:15], v[18:19]
	v_fma_f64 v[12:13], v[12:13], v[14:15], -v[16:17]
	s_delay_alu instid0(VALU_DEP_2) | instskip(NEXT) | instid1(VALU_DEP_2)
	v_add_f64 v[3:4], v[3:4], v[10:11]
	v_add_f64 v[1:2], v[1:2], v[12:13]
	s_and_not1_b32 exec_lo, exec_lo, s8
	s_cbranch_execnz .LBB265_2
; %bb.3:
	s_set_inst_prefetch_distance 0x2
	s_or_b32 exec_lo, exec_lo, s8
.LBB265_4:
	s_delay_alu instid0(SALU_CYCLE_1) | instskip(SKIP_2) | instid1(VALU_DEP_2)
	s_or_b32 exec_lo, exec_lo, s15
	v_and_b32_e32 v15, 31, v0
	v_cmp_gt_u32_e32 vcc_lo, 32, v0
	v_lshlrev_b32_e32 v11, 4, v15
	s_and_saveexec_b32 s0, vcc_lo
	s_cbranch_execz .LBB265_6
; %bb.5:
	v_mov_b32_e32 v5, 0
	s_delay_alu instid0(VALU_DEP_1)
	v_mov_b32_e32 v6, v5
	v_mov_b32_e32 v7, v5
	;; [unrolled: 1-line block ×3, first 2 shown]
	ds_store_b128 v11, v[5:8]
.LBB265_6:
	s_or_b32 exec_lo, exec_lo, s0
	v_mbcnt_lo_u32_b32 v14, -1, 0
	s_mov_b32 s1, exec_lo
	s_waitcnt lgkmcnt(0)
	s_barrier
	buffer_gl0_inv
	v_cmp_gt_u32_e64 s0, 16, v14
	s_delay_alu instid0(VALU_DEP_1) | instskip(SKIP_1) | instid1(VALU_DEP_2)
	v_cndmask_b32_e64 v5, 0, 1, s0
	v_cmp_gt_u32_e64 s0, 24, v14
	v_lshlrev_b32_e32 v5, 4, v5
	s_delay_alu instid0(VALU_DEP_1)
	v_add_lshl_u32 v9, v5, v14, 2
	ds_bpermute_b32 v5, v9, v3
	ds_bpermute_b32 v6, v9, v4
	;; [unrolled: 1-line block ×4, first 2 shown]
	s_waitcnt lgkmcnt(2)
	v_add_f64 v[3:4], v[3:4], v[5:6]
	v_cndmask_b32_e64 v5, 0, 1, s0
	s_waitcnt lgkmcnt(0)
	v_add_f64 v[1:2], v[1:2], v[7:8]
	v_cmp_gt_u32_e64 s0, 28, v14
	s_delay_alu instid0(VALU_DEP_3) | instskip(NEXT) | instid1(VALU_DEP_1)
	v_lshlrev_b32_e32 v5, 3, v5
	v_add_lshl_u32 v10, v5, v14, 2
	ds_bpermute_b32 v5, v10, v3
	ds_bpermute_b32 v6, v10, v4
	;; [unrolled: 1-line block ×4, first 2 shown]
	s_waitcnt lgkmcnt(2)
	v_add_f64 v[3:4], v[3:4], v[5:6]
	v_cndmask_b32_e64 v5, 0, 1, s0
	s_waitcnt lgkmcnt(0)
	v_add_f64 v[1:2], v[1:2], v[7:8]
	v_cmp_gt_u32_e64 s0, 30, v14
	s_delay_alu instid0(VALU_DEP_3) | instskip(NEXT) | instid1(VALU_DEP_1)
	v_lshlrev_b32_e32 v5, 2, v5
	v_add_lshl_u32 v12, v5, v14, 2
	ds_bpermute_b32 v5, v12, v3
	ds_bpermute_b32 v6, v12, v4
	;; [unrolled: 1-line block ×4, first 2 shown]
	s_waitcnt lgkmcnt(2)
	v_add_f64 v[3:4], v[3:4], v[5:6]
	s_waitcnt lgkmcnt(0)
	v_add_f64 v[5:6], v[1:2], v[7:8]
	v_cndmask_b32_e64 v1, 0, 1, s0
	v_cmp_ne_u32_e64 s0, 31, v14
	s_delay_alu instid0(VALU_DEP_2) | instskip(NEXT) | instid1(VALU_DEP_1)
	v_lshlrev_b32_e32 v1, 1, v1
	v_add_lshl_u32 v13, v1, v14, 2
	ds_bpermute_b32 v1, v13, v3
	ds_bpermute_b32 v2, v13, v4
	;; [unrolled: 1-line block ×4, first 2 shown]
	s_waitcnt lgkmcnt(2)
	v_add_f64 v[1:2], v[3:4], v[1:2]
	v_add_co_ci_u32_e64 v3, s0, 0, v14, s0
	s_waitcnt lgkmcnt(0)
	v_add_f64 v[5:6], v[5:6], v[7:8]
	s_delay_alu instid0(VALU_DEP_2)
	v_lshlrev_b32_e32 v14, 2, v3
	ds_bpermute_b32 v3, v14, v1
	ds_bpermute_b32 v4, v14, v2
	;; [unrolled: 1-line block ×4, first 2 shown]
	v_cmpx_eq_u32_e32 0, v15
	s_cbranch_execz .LBB265_8
; %bb.7:
	s_waitcnt lgkmcnt(0)
	v_add_f64 v[5:6], v[5:6], v[7:8]
	v_add_f64 v[3:4], v[1:2], v[3:4]
	v_lshrrev_b32_e32 v1, 1, v0
	s_delay_alu instid0(VALU_DEP_1)
	v_and_b32_e32 v1, 0x1f0, v1
	ds_store_b128 v1, v[3:6]
.LBB265_8:
	s_or_b32 exec_lo, exec_lo, s1
	s_waitcnt lgkmcnt(2)
	v_mov_b32_e32 v3, 0
	v_mov_b32_e32 v4, 0
	s_delay_alu instid0(VALU_DEP_2)
	v_mov_b32_e32 v1, v3
	s_waitcnt lgkmcnt(0)
	s_barrier
	buffer_gl0_inv
	v_mov_b32_e32 v2, v4
	s_and_saveexec_b32 s0, vcc_lo
	s_cbranch_execz .LBB265_10
; %bb.9:
	ds_load_b128 v[1:4], v11
.LBB265_10:
	s_or_b32 exec_lo, exec_lo, s0
	s_and_saveexec_b32 s0, vcc_lo
	s_cbranch_execz .LBB265_12
; %bb.11:
	s_waitcnt lgkmcnt(0)
	ds_bpermute_b32 v5, v9, v1
	ds_bpermute_b32 v6, v9, v2
	ds_bpermute_b32 v7, v9, v3
	ds_bpermute_b32 v8, v9, v4
	s_waitcnt lgkmcnt(2)
	v_add_f64 v[1:2], v[1:2], v[5:6]
	s_waitcnt lgkmcnt(0)
	v_add_f64 v[3:4], v[3:4], v[7:8]
	ds_bpermute_b32 v5, v10, v1
	ds_bpermute_b32 v6, v10, v2
	ds_bpermute_b32 v7, v10, v3
	ds_bpermute_b32 v8, v10, v4
	s_waitcnt lgkmcnt(2)
	v_add_f64 v[1:2], v[1:2], v[5:6]
	s_waitcnt lgkmcnt(0)
	v_add_f64 v[3:4], v[3:4], v[7:8]
	;; [unrolled: 8-line block ×5, first 2 shown]
.LBB265_12:
	s_or_b32 exec_lo, exec_lo, s0
	s_delay_alu instid0(SALU_CYCLE_1)
	s_mov_b32 s0, exec_lo
	v_cmpx_eq_u32_e32 0, v0
	s_cbranch_execz .LBB265_14
; %bb.13:
	s_lshl_b64 s[0:1], s[12:13], 4
	v_mov_b32_e32 v0, 0
	s_add_u32 s0, s2, s0
	s_addc_u32 s1, s3, s1
	s_waitcnt lgkmcnt(0)
	global_store_b128 v0, v[1:4], s[0:1]
.LBB265_14:
	s_nop 0
	s_sendmsg sendmsg(MSG_DEALLOC_VGPRS)
	s_endpgm
	.section	.rodata,"a",@progbits
	.p2align	6, 0x0
	.amdhsa_kernel _ZL18rocblas_dot_kernelIlLb1ELi1024ELi32ELb1E19rocblas_complex_numIdEPKPKS1_S1_EviT5_lT_lS6_lS7_liPT6_PT4_
		.amdhsa_group_segment_fixed_size 512
		.amdhsa_private_segment_fixed_size 0
		.amdhsa_kernarg_size 352
		.amdhsa_user_sgpr_count 14
		.amdhsa_user_sgpr_dispatch_ptr 0
		.amdhsa_user_sgpr_queue_ptr 0
		.amdhsa_user_sgpr_kernarg_segment_ptr 1
		.amdhsa_user_sgpr_dispatch_id 0
		.amdhsa_user_sgpr_private_segment_size 0
		.amdhsa_wavefront_size32 1
		.amdhsa_uses_dynamic_stack 0
		.amdhsa_enable_private_segment 0
		.amdhsa_system_sgpr_workgroup_id_x 1
		.amdhsa_system_sgpr_workgroup_id_y 0
		.amdhsa_system_sgpr_workgroup_id_z 1
		.amdhsa_system_sgpr_workgroup_info 0
		.amdhsa_system_vgpr_workitem_id 0
		.amdhsa_next_free_vgpr 20
		.amdhsa_next_free_sgpr 23
		.amdhsa_reserve_vcc 1
		.amdhsa_float_round_mode_32 0
		.amdhsa_float_round_mode_16_64 0
		.amdhsa_float_denorm_mode_32 3
		.amdhsa_float_denorm_mode_16_64 3
		.amdhsa_dx10_clamp 1
		.amdhsa_ieee_mode 1
		.amdhsa_fp16_overflow 0
		.amdhsa_workgroup_processor_mode 1
		.amdhsa_memory_ordered 1
		.amdhsa_forward_progress 0
		.amdhsa_shared_vgpr_count 0
		.amdhsa_exception_fp_ieee_invalid_op 0
		.amdhsa_exception_fp_denorm_src 0
		.amdhsa_exception_fp_ieee_div_zero 0
		.amdhsa_exception_fp_ieee_overflow 0
		.amdhsa_exception_fp_ieee_underflow 0
		.amdhsa_exception_fp_ieee_inexact 0
		.amdhsa_exception_int_div_zero 0
	.end_amdhsa_kernel
	.section	.text._ZL18rocblas_dot_kernelIlLb1ELi1024ELi32ELb1E19rocblas_complex_numIdEPKPKS1_S1_EviT5_lT_lS6_lS7_liPT6_PT4_,"axG",@progbits,_ZL18rocblas_dot_kernelIlLb1ELi1024ELi32ELb1E19rocblas_complex_numIdEPKPKS1_S1_EviT5_lT_lS6_lS7_liPT6_PT4_,comdat
.Lfunc_end265:
	.size	_ZL18rocblas_dot_kernelIlLb1ELi1024ELi32ELb1E19rocblas_complex_numIdEPKPKS1_S1_EviT5_lT_lS6_lS7_liPT6_PT4_, .Lfunc_end265-_ZL18rocblas_dot_kernelIlLb1ELi1024ELi32ELb1E19rocblas_complex_numIdEPKPKS1_S1_EviT5_lT_lS6_lS7_liPT6_PT4_
                                        ; -- End function
	.section	.AMDGPU.csdata,"",@progbits
; Kernel info:
; codeLenInByte = 1524
; NumSgprs: 25
; NumVgprs: 20
; ScratchSize: 0
; MemoryBound: 0
; FloatMode: 240
; IeeeMode: 1
; LDSByteSize: 512 bytes/workgroup (compile time only)
; SGPRBlocks: 3
; VGPRBlocks: 2
; NumSGPRsForWavesPerEU: 25
; NumVGPRsForWavesPerEU: 20
; Occupancy: 16
; WaveLimiterHint : 0
; COMPUTE_PGM_RSRC2:SCRATCH_EN: 0
; COMPUTE_PGM_RSRC2:USER_SGPR: 14
; COMPUTE_PGM_RSRC2:TRAP_HANDLER: 0
; COMPUTE_PGM_RSRC2:TGID_X_EN: 1
; COMPUTE_PGM_RSRC2:TGID_Y_EN: 0
; COMPUTE_PGM_RSRC2:TGID_Z_EN: 1
; COMPUTE_PGM_RSRC2:TIDIG_COMP_CNT: 0
	.section	.text._ZL24rocblas_dot_kernel_magsqIlLb1ELi1024ELi32ELb1E19rocblas_complex_numIdEPKPKS1_S1_EviT5_lT_liPT6_PT4_,"axG",@progbits,_ZL24rocblas_dot_kernel_magsqIlLb1ELi1024ELi32ELb1E19rocblas_complex_numIdEPKPKS1_S1_EviT5_lT_liPT6_PT4_,comdat
	.globl	_ZL24rocblas_dot_kernel_magsqIlLb1ELi1024ELi32ELb1E19rocblas_complex_numIdEPKPKS1_S1_EviT5_lT_liPT6_PT4_ ; -- Begin function _ZL24rocblas_dot_kernel_magsqIlLb1ELi1024ELi32ELb1E19rocblas_complex_numIdEPKPKS1_S1_EviT5_lT_liPT6_PT4_
	.p2align	8
	.type	_ZL24rocblas_dot_kernel_magsqIlLb1ELi1024ELi32ELb1E19rocblas_complex_numIdEPKPKS1_S1_EviT5_lT_liPT6_PT4_,@function
_ZL24rocblas_dot_kernel_magsqIlLb1ELi1024ELi32ELb1E19rocblas_complex_numIdEPKPKS1_S1_EviT5_lT_liPT6_PT4_: ; @_ZL24rocblas_dot_kernel_magsqIlLb1ELi1024ELi32ELb1E19rocblas_complex_numIdEPKPKS1_S1_EviT5_lT_liPT6_PT4_
; %bb.0:
	s_clause 0x1
	s_load_b32 s10, s[0:1], 0x0
	s_load_b64 s[2:3], s[0:1], 0x38
	v_mov_b32_e32 v1, 0
	v_mov_b32_e32 v2, 0
	s_mov_b32 s8, s15
	s_mov_b32 s9, 0
	s_mov_b32 s11, exec_lo
	s_delay_alu instid0(VALU_DEP_1)
	v_dual_mov_b32 v4, v2 :: v_dual_mov_b32 v3, v1
	s_waitcnt lgkmcnt(0)
	v_cmpx_gt_i32_e64 s10, v0
	s_cbranch_execz .LBB266_4
; %bb.1:
	s_clause 0x1
	s_load_b64 s[12:13], s[0:1], 0x8
	s_load_b128 s[4:7], s[0:1], 0x10
	s_lshl_b64 s[14:15], s[8:9], 3
	s_load_b32 s16, s[0:1], 0x40
	s_waitcnt lgkmcnt(0)
	s_add_u32 s0, s12, s14
	v_mad_u64_u32 v[3:4], null, s6, v0, 0
	s_addc_u32 s1, s13, s15
	s_lshl_b64 s[4:5], s[4:5], 4
	s_load_b64 s[12:13], s[0:1], 0x0
	s_lshl_b32 s1, s16, 10
	s_delay_alu instid0(SALU_CYCLE_1) | instskip(NEXT) | instid1(VALU_DEP_1)
	s_mul_hi_u32 s0, s6, s1
	v_mov_b32_e32 v1, v4
	v_or_b32_e32 v7, s1, v0
	s_delay_alu instid0(VALU_DEP_2) | instskip(SKIP_2) | instid1(VALU_DEP_3)
	v_mad_u64_u32 v[4:5], null, s7, v0, v[1:2]
	v_mov_b32_e32 v1, 0
	v_mov_b32_e32 v2, 0
	v_lshlrev_b64 v[3:4], 4, v[3:4]
	s_waitcnt lgkmcnt(0)
	s_add_u32 s12, s12, s4
	s_addc_u32 s13, s13, s5
	s_ashr_i32 s4, s1, 31
	s_delay_alu instid0(VALU_DEP_1)
	v_add_co_u32 v5, vcc_lo, s12, v3
	s_mul_i32 s4, s6, s4
	s_mul_i32 s5, s7, s1
	s_add_i32 s0, s0, s4
	v_add_co_ci_u32_e32 v6, vcc_lo, s13, v4, vcc_lo
	v_dual_mov_b32 v4, v2 :: v_dual_mov_b32 v3, v1
	s_mul_i32 s4, s6, s1
	s_add_i32 s5, s0, s5
	s_mov_b32 s6, s9
	s_lshl_b64 s[4:5], s[4:5], 4
	s_mov_b32 s7, s9
	.p2align	6
.LBB266_2:                              ; =>This Inner Loop Header: Depth=1
	global_load_b128 v[8:11], v[5:6], off
	s_add_i32 s12, s7, 1
	v_cmp_le_i32_e32 vcc_lo, s10, v7
	s_cmp_gt_u32 s7, 30
	v_add_co_u32 v5, s0, v5, s4
	s_cselect_b32 s7, -1, 0
	v_add_nc_u32_e32 v7, s1, v7
	s_or_b32 s7, s7, vcc_lo
	v_add_co_ci_u32_e64 v6, vcc_lo, s5, v6, s0
	s_and_b32 s0, exec_lo, s7
	s_mov_b32 s7, s12
	s_or_b32 s6, s0, s6
	s_waitcnt vmcnt(0)
	v_mul_f64 v[12:13], v[10:11], v[10:11]
	v_mul_f64 v[14:15], v[8:9], v[10:11]
	s_delay_alu instid0(VALU_DEP_2) | instskip(NEXT) | instid1(VALU_DEP_2)
	v_fma_f64 v[12:13], v[8:9], v[8:9], v[12:13]
	v_fma_f64 v[8:9], v[8:9], v[10:11], -v[14:15]
	s_delay_alu instid0(VALU_DEP_2) | instskip(NEXT) | instid1(VALU_DEP_2)
	v_add_f64 v[3:4], v[3:4], v[12:13]
	v_add_f64 v[1:2], v[1:2], v[8:9]
	s_and_not1_b32 exec_lo, exec_lo, s6
	s_cbranch_execnz .LBB266_2
; %bb.3:
	s_or_b32 exec_lo, exec_lo, s6
.LBB266_4:
	s_delay_alu instid0(SALU_CYCLE_1) | instskip(SKIP_2) | instid1(VALU_DEP_2)
	s_or_b32 exec_lo, exec_lo, s11
	v_and_b32_e32 v15, 31, v0
	v_cmp_gt_u32_e32 vcc_lo, 32, v0
	v_lshlrev_b32_e32 v11, 4, v15
	s_and_saveexec_b32 s0, vcc_lo
	s_cbranch_execz .LBB266_6
; %bb.5:
	v_mov_b32_e32 v5, 0
	s_delay_alu instid0(VALU_DEP_1)
	v_mov_b32_e32 v6, v5
	v_mov_b32_e32 v7, v5
	;; [unrolled: 1-line block ×3, first 2 shown]
	ds_store_b128 v11, v[5:8]
.LBB266_6:
	s_or_b32 exec_lo, exec_lo, s0
	v_mbcnt_lo_u32_b32 v14, -1, 0
	s_mov_b32 s1, exec_lo
	s_waitcnt lgkmcnt(0)
	s_barrier
	buffer_gl0_inv
	v_cmp_gt_u32_e64 s0, 16, v14
	s_delay_alu instid0(VALU_DEP_1) | instskip(SKIP_1) | instid1(VALU_DEP_2)
	v_cndmask_b32_e64 v5, 0, 1, s0
	v_cmp_gt_u32_e64 s0, 24, v14
	v_lshlrev_b32_e32 v5, 4, v5
	s_delay_alu instid0(VALU_DEP_1)
	v_add_lshl_u32 v9, v5, v14, 2
	ds_bpermute_b32 v5, v9, v3
	ds_bpermute_b32 v6, v9, v4
	;; [unrolled: 1-line block ×4, first 2 shown]
	s_waitcnt lgkmcnt(2)
	v_add_f64 v[3:4], v[3:4], v[5:6]
	v_cndmask_b32_e64 v5, 0, 1, s0
	s_waitcnt lgkmcnt(0)
	v_add_f64 v[1:2], v[1:2], v[7:8]
	v_cmp_gt_u32_e64 s0, 28, v14
	s_delay_alu instid0(VALU_DEP_3) | instskip(NEXT) | instid1(VALU_DEP_1)
	v_lshlrev_b32_e32 v5, 3, v5
	v_add_lshl_u32 v10, v5, v14, 2
	ds_bpermute_b32 v5, v10, v3
	ds_bpermute_b32 v6, v10, v4
	;; [unrolled: 1-line block ×4, first 2 shown]
	s_waitcnt lgkmcnt(2)
	v_add_f64 v[3:4], v[3:4], v[5:6]
	v_cndmask_b32_e64 v5, 0, 1, s0
	s_waitcnt lgkmcnt(0)
	v_add_f64 v[1:2], v[1:2], v[7:8]
	v_cmp_gt_u32_e64 s0, 30, v14
	s_delay_alu instid0(VALU_DEP_3) | instskip(NEXT) | instid1(VALU_DEP_1)
	v_lshlrev_b32_e32 v5, 2, v5
	v_add_lshl_u32 v12, v5, v14, 2
	ds_bpermute_b32 v5, v12, v3
	ds_bpermute_b32 v6, v12, v4
	;; [unrolled: 1-line block ×4, first 2 shown]
	s_waitcnt lgkmcnt(2)
	v_add_f64 v[3:4], v[3:4], v[5:6]
	s_waitcnt lgkmcnt(0)
	v_add_f64 v[5:6], v[1:2], v[7:8]
	v_cndmask_b32_e64 v1, 0, 1, s0
	v_cmp_ne_u32_e64 s0, 31, v14
	s_delay_alu instid0(VALU_DEP_2) | instskip(NEXT) | instid1(VALU_DEP_1)
	v_lshlrev_b32_e32 v1, 1, v1
	v_add_lshl_u32 v13, v1, v14, 2
	ds_bpermute_b32 v1, v13, v3
	ds_bpermute_b32 v2, v13, v4
	;; [unrolled: 1-line block ×4, first 2 shown]
	s_waitcnt lgkmcnt(2)
	v_add_f64 v[1:2], v[3:4], v[1:2]
	v_add_co_ci_u32_e64 v3, s0, 0, v14, s0
	s_waitcnt lgkmcnt(0)
	v_add_f64 v[5:6], v[5:6], v[7:8]
	s_delay_alu instid0(VALU_DEP_2)
	v_lshlrev_b32_e32 v14, 2, v3
	ds_bpermute_b32 v3, v14, v1
	ds_bpermute_b32 v4, v14, v2
	;; [unrolled: 1-line block ×4, first 2 shown]
	v_cmpx_eq_u32_e32 0, v15
	s_cbranch_execz .LBB266_8
; %bb.7:
	s_waitcnt lgkmcnt(0)
	v_add_f64 v[5:6], v[5:6], v[7:8]
	v_add_f64 v[3:4], v[1:2], v[3:4]
	v_lshrrev_b32_e32 v1, 1, v0
	s_delay_alu instid0(VALU_DEP_1)
	v_and_b32_e32 v1, 0x1f0, v1
	ds_store_b128 v1, v[3:6]
.LBB266_8:
	s_or_b32 exec_lo, exec_lo, s1
	s_waitcnt lgkmcnt(2)
	v_mov_b32_e32 v3, 0
	v_mov_b32_e32 v4, 0
	s_delay_alu instid0(VALU_DEP_2)
	v_mov_b32_e32 v1, v3
	s_waitcnt lgkmcnt(0)
	s_barrier
	buffer_gl0_inv
	v_mov_b32_e32 v2, v4
	s_and_saveexec_b32 s0, vcc_lo
	s_cbranch_execz .LBB266_10
; %bb.9:
	ds_load_b128 v[1:4], v11
.LBB266_10:
	s_or_b32 exec_lo, exec_lo, s0
	s_and_saveexec_b32 s0, vcc_lo
	s_cbranch_execz .LBB266_12
; %bb.11:
	s_waitcnt lgkmcnt(0)
	ds_bpermute_b32 v5, v9, v1
	ds_bpermute_b32 v6, v9, v2
	ds_bpermute_b32 v7, v9, v3
	ds_bpermute_b32 v8, v9, v4
	s_waitcnt lgkmcnt(2)
	v_add_f64 v[1:2], v[1:2], v[5:6]
	s_waitcnt lgkmcnt(0)
	v_add_f64 v[3:4], v[3:4], v[7:8]
	ds_bpermute_b32 v5, v10, v1
	ds_bpermute_b32 v6, v10, v2
	ds_bpermute_b32 v7, v10, v3
	ds_bpermute_b32 v8, v10, v4
	s_waitcnt lgkmcnt(2)
	v_add_f64 v[1:2], v[1:2], v[5:6]
	s_waitcnt lgkmcnt(0)
	v_add_f64 v[3:4], v[3:4], v[7:8]
	;; [unrolled: 8-line block ×5, first 2 shown]
.LBB266_12:
	s_or_b32 exec_lo, exec_lo, s0
	s_delay_alu instid0(SALU_CYCLE_1)
	s_mov_b32 s0, exec_lo
	v_cmpx_eq_u32_e32 0, v0
	s_cbranch_execz .LBB266_14
; %bb.13:
	s_lshl_b64 s[0:1], s[8:9], 4
	v_mov_b32_e32 v0, 0
	s_add_u32 s0, s2, s0
	s_addc_u32 s1, s3, s1
	s_waitcnt lgkmcnt(0)
	global_store_b128 v0, v[1:4], s[0:1]
.LBB266_14:
	s_nop 0
	s_sendmsg sendmsg(MSG_DEALLOC_VGPRS)
	s_endpgm
	.section	.rodata,"a",@progbits
	.p2align	6, 0x0
	.amdhsa_kernel _ZL24rocblas_dot_kernel_magsqIlLb1ELi1024ELi32ELb1E19rocblas_complex_numIdEPKPKS1_S1_EviT5_lT_liPT6_PT4_
		.amdhsa_group_segment_fixed_size 512
		.amdhsa_private_segment_fixed_size 0
		.amdhsa_kernarg_size 320
		.amdhsa_user_sgpr_count 14
		.amdhsa_user_sgpr_dispatch_ptr 0
		.amdhsa_user_sgpr_queue_ptr 0
		.amdhsa_user_sgpr_kernarg_segment_ptr 1
		.amdhsa_user_sgpr_dispatch_id 0
		.amdhsa_user_sgpr_private_segment_size 0
		.amdhsa_wavefront_size32 1
		.amdhsa_uses_dynamic_stack 0
		.amdhsa_enable_private_segment 0
		.amdhsa_system_sgpr_workgroup_id_x 1
		.amdhsa_system_sgpr_workgroup_id_y 0
		.amdhsa_system_sgpr_workgroup_id_z 1
		.amdhsa_system_sgpr_workgroup_info 0
		.amdhsa_system_vgpr_workitem_id 0
		.amdhsa_next_free_vgpr 16
		.amdhsa_next_free_sgpr 17
		.amdhsa_reserve_vcc 1
		.amdhsa_float_round_mode_32 0
		.amdhsa_float_round_mode_16_64 0
		.amdhsa_float_denorm_mode_32 3
		.amdhsa_float_denorm_mode_16_64 3
		.amdhsa_dx10_clamp 1
		.amdhsa_ieee_mode 1
		.amdhsa_fp16_overflow 0
		.amdhsa_workgroup_processor_mode 1
		.amdhsa_memory_ordered 1
		.amdhsa_forward_progress 0
		.amdhsa_shared_vgpr_count 0
		.amdhsa_exception_fp_ieee_invalid_op 0
		.amdhsa_exception_fp_denorm_src 0
		.amdhsa_exception_fp_ieee_div_zero 0
		.amdhsa_exception_fp_ieee_overflow 0
		.amdhsa_exception_fp_ieee_underflow 0
		.amdhsa_exception_fp_ieee_inexact 0
		.amdhsa_exception_int_div_zero 0
	.end_amdhsa_kernel
	.section	.text._ZL24rocblas_dot_kernel_magsqIlLb1ELi1024ELi32ELb1E19rocblas_complex_numIdEPKPKS1_S1_EviT5_lT_liPT6_PT4_,"axG",@progbits,_ZL24rocblas_dot_kernel_magsqIlLb1ELi1024ELi32ELb1E19rocblas_complex_numIdEPKPKS1_S1_EviT5_lT_liPT6_PT4_,comdat
.Lfunc_end266:
	.size	_ZL24rocblas_dot_kernel_magsqIlLb1ELi1024ELi32ELb1E19rocblas_complex_numIdEPKPKS1_S1_EviT5_lT_liPT6_PT4_, .Lfunc_end266-_ZL24rocblas_dot_kernel_magsqIlLb1ELi1024ELi32ELb1E19rocblas_complex_numIdEPKPKS1_S1_EviT5_lT_liPT6_PT4_
                                        ; -- End function
	.section	.AMDGPU.csdata,"",@progbits
; Kernel info:
; codeLenInByte = 1352
; NumSgprs: 19
; NumVgprs: 16
; ScratchSize: 0
; MemoryBound: 0
; FloatMode: 240
; IeeeMode: 1
; LDSByteSize: 512 bytes/workgroup (compile time only)
; SGPRBlocks: 2
; VGPRBlocks: 1
; NumSGPRsForWavesPerEU: 19
; NumVGPRsForWavesPerEU: 16
; Occupancy: 16
; WaveLimiterHint : 0
; COMPUTE_PGM_RSRC2:SCRATCH_EN: 0
; COMPUTE_PGM_RSRC2:USER_SGPR: 14
; COMPUTE_PGM_RSRC2:TRAP_HANDLER: 0
; COMPUTE_PGM_RSRC2:TGID_X_EN: 1
; COMPUTE_PGM_RSRC2:TGID_Y_EN: 0
; COMPUTE_PGM_RSRC2:TGID_Z_EN: 1
; COMPUTE_PGM_RSRC2:TIDIG_COMP_CNT: 0
	.section	.text._ZL18rocblas_dot_kernelIlLb0ELi512ELi2ELb1E19rocblas_complex_numIdEPKPKS1_S1_EviT5_lT_lS6_lS7_liPT6_PT4_,"axG",@progbits,_ZL18rocblas_dot_kernelIlLb0ELi512ELi2ELb1E19rocblas_complex_numIdEPKPKS1_S1_EviT5_lT_lS6_lS7_liPT6_PT4_,comdat
	.globl	_ZL18rocblas_dot_kernelIlLb0ELi512ELi2ELb1E19rocblas_complex_numIdEPKPKS1_S1_EviT5_lT_lS6_lS7_liPT6_PT4_ ; -- Begin function _ZL18rocblas_dot_kernelIlLb0ELi512ELi2ELb1E19rocblas_complex_numIdEPKPKS1_S1_EviT5_lT_lS6_lS7_liPT6_PT4_
	.p2align	8
	.type	_ZL18rocblas_dot_kernelIlLb0ELi512ELi2ELb1E19rocblas_complex_numIdEPKPKS1_S1_EviT5_lT_lS6_lS7_liPT6_PT4_,@function
_ZL18rocblas_dot_kernelIlLb0ELi512ELi2ELb1E19rocblas_complex_numIdEPKPKS1_S1_EviT5_lT_lS6_lS7_liPT6_PT4_: ; @_ZL18rocblas_dot_kernelIlLb0ELi512ELi2ELb1E19rocblas_complex_numIdEPKPKS1_S1_EviT5_lT_lS6_lS7_liPT6_PT4_
; %bb.0:
	s_mov_b32 s12, s15
	s_clause 0x1
	s_load_b32 s15, s[0:1], 0x0
	s_load_b32 s3, s[0:1], 0x60
	v_mov_b32_e32 v1, 0
	v_mov_b32_e32 v2, 0
	v_lshl_or_b32 v5, s14, 9, v0
	s_mov_b32 s13, 0
	s_mov_b32 s2, exec_lo
	s_delay_alu instid0(VALU_DEP_2)
	v_dual_mov_b32 v4, v2 :: v_dual_mov_b32 v3, v1
	s_waitcnt lgkmcnt(0)
	v_cmpx_gt_i32_e64 s15, v5
	s_cbranch_execz .LBB267_4
; %bb.1:
	s_clause 0x1
	s_load_b64 s[16:17], s[0:1], 0x8
	s_load_b128 s[8:11], s[0:1], 0x30
	s_lshl_b64 s[18:19], s[12:13], 3
	s_load_b128 s[4:7], s[0:1], 0x10
	v_ashrrev_i32_e32 v1, 31, v5
	s_waitcnt lgkmcnt(0)
	s_add_u32 s16, s16, s18
	s_addc_u32 s17, s17, s19
	s_delay_alu instid0(VALU_DEP_1)
	v_mul_lo_u32 v7, v1, s10
	s_load_b64 s[16:17], s[16:17], 0x0
	s_load_b64 s[20:21], s[0:1], 0x28
	s_lshl_b64 s[4:5], s[4:5], 4
	v_mul_lo_u32 v8, v5, s7
	v_mul_lo_u32 v9, v1, s6
	v_mad_u64_u32 v[1:2], null, v5, s6, 0
	v_mul_lo_u32 v6, v5, s11
	v_mad_u64_u32 v[3:4], null, v5, s10, 0
	s_delay_alu instid0(VALU_DEP_3) | instskip(NEXT) | instid1(VALU_DEP_2)
	v_add3_u32 v2, v2, v8, v9
	v_add3_u32 v4, v4, v6, v7
	s_delay_alu instid0(VALU_DEP_2)
	v_lshlrev_b64 v[1:2], 4, v[1:2]
	s_waitcnt lgkmcnt(0)
	s_add_u32 s4, s16, s4
	s_addc_u32 s5, s17, s5
	s_add_u32 s16, s20, s18
	s_addc_u32 s17, s21, s19
	v_lshlrev_b64 v[3:4], 4, v[3:4]
	s_load_b64 s[16:17], s[16:17], 0x0
	s_lshl_b64 s[18:19], s[8:9], 4
	v_add_co_u32 v1, vcc_lo, s4, v1
	v_add_co_ci_u32_e32 v2, vcc_lo, s5, v2, vcc_lo
	s_waitcnt lgkmcnt(0)
	s_add_u32 s9, s16, s18
	s_addc_u32 s16, s17, s19
	v_add_co_u32 v5, vcc_lo, s9, v3
	v_add_co_ci_u32_e32 v6, vcc_lo, s16, v4, vcc_lo
	s_add_i32 s8, s14, s3
	global_load_b128 v[1:4], v[1:2], off
	global_load_b128 v[5:8], v[5:6], off
	s_waitcnt vmcnt(0)
	v_mul_f64 v[9:10], v[7:8], v[3:4]
	v_mul_f64 v[3:4], v[5:6], v[3:4]
	s_delay_alu instid0(VALU_DEP_2) | instskip(NEXT) | instid1(VALU_DEP_2)
	v_fma_f64 v[5:6], v[5:6], v[1:2], v[9:10]
	v_fma_f64 v[3:4], v[7:8], v[1:2], -v[3:4]
	s_delay_alu instid0(VALU_DEP_2) | instskip(NEXT) | instid1(VALU_DEP_2)
	v_add_f64 v[1:2], v[5:6], 0
	v_add_f64 v[3:4], v[3:4], 0
	v_lshl_or_b32 v5, s8, 9, v0
	s_mov_b32 s8, exec_lo
	s_delay_alu instid0(VALU_DEP_1)
	v_cmpx_gt_i32_e64 s15, v5
	s_cbranch_execz .LBB267_3
; %bb.2:
	v_ashrrev_i32_e32 v10, 31, v5
	v_mul_lo_u32 v11, v5, s11
	v_mad_u64_u32 v[6:7], null, v5, s10, 0
	v_mul_lo_u32 v13, v5, s7
	s_delay_alu instid0(VALU_DEP_4) | instskip(SKIP_2) | instid1(VALU_DEP_3)
	v_mul_lo_u32 v12, v10, s10
	v_mad_u64_u32 v[8:9], null, v5, s6, 0
	v_mul_lo_u32 v5, v10, s6
	v_add3_u32 v7, v7, v11, v12
	s_delay_alu instid0(VALU_DEP_2) | instskip(NEXT) | instid1(VALU_DEP_2)
	v_add3_u32 v9, v9, v13, v5
	v_lshlrev_b64 v[5:6], 4, v[6:7]
	s_delay_alu instid0(VALU_DEP_2) | instskip(NEXT) | instid1(VALU_DEP_2)
	v_lshlrev_b64 v[7:8], 4, v[8:9]
	v_add_co_u32 v5, vcc_lo, s9, v5
	s_delay_alu instid0(VALU_DEP_3) | instskip(NEXT) | instid1(VALU_DEP_3)
	v_add_co_ci_u32_e32 v6, vcc_lo, s16, v6, vcc_lo
	v_add_co_u32 v9, vcc_lo, s4, v7
	s_delay_alu instid0(VALU_DEP_4)
	v_add_co_ci_u32_e32 v10, vcc_lo, s5, v8, vcc_lo
	global_load_b128 v[5:8], v[5:6], off
	global_load_b128 v[9:12], v[9:10], off
	s_waitcnt vmcnt(0)
	v_mul_f64 v[13:14], v[5:6], v[11:12]
	v_mul_f64 v[11:12], v[7:8], v[11:12]
	s_delay_alu instid0(VALU_DEP_2) | instskip(NEXT) | instid1(VALU_DEP_2)
	v_fma_f64 v[7:8], v[7:8], v[9:10], -v[13:14]
	v_fma_f64 v[5:6], v[5:6], v[9:10], v[11:12]
	s_delay_alu instid0(VALU_DEP_2) | instskip(NEXT) | instid1(VALU_DEP_2)
	v_add_f64 v[3:4], v[3:4], v[7:8]
	v_add_f64 v[1:2], v[1:2], v[5:6]
.LBB267_3:
	s_or_b32 exec_lo, exec_lo, s8
.LBB267_4:
	s_delay_alu instid0(SALU_CYCLE_1) | instskip(SKIP_2) | instid1(VALU_DEP_2)
	s_or_b32 exec_lo, exec_lo, s2
	v_and_b32_e32 v14, 31, v0
	v_cmp_gt_u32_e32 vcc_lo, 32, v0
	v_lshlrev_b32_e32 v9, 4, v14
	s_and_saveexec_b32 s2, vcc_lo
	s_cbranch_execz .LBB267_6
; %bb.5:
	v_mov_b32_e32 v5, 0
	s_delay_alu instid0(VALU_DEP_1)
	v_mov_b32_e32 v6, v5
	v_mov_b32_e32 v7, v5
	;; [unrolled: 1-line block ×3, first 2 shown]
	ds_store_b128 v9, v[5:8]
.LBB267_6:
	s_or_b32 exec_lo, exec_lo, s2
	v_mbcnt_lo_u32_b32 v13, -1, 0
	s_mov_b32 s4, exec_lo
	s_waitcnt lgkmcnt(0)
	s_barrier
	buffer_gl0_inv
	v_cmp_gt_u32_e64 s2, 16, v13
	s_delay_alu instid0(VALU_DEP_1) | instskip(SKIP_1) | instid1(VALU_DEP_2)
	v_cndmask_b32_e64 v5, 0, 1, s2
	v_cmp_gt_u32_e64 s2, 24, v13
	v_lshlrev_b32_e32 v5, 4, v5
	s_delay_alu instid0(VALU_DEP_1)
	v_add_lshl_u32 v8, v5, v13, 2
	ds_bpermute_b32 v5, v8, v1
	ds_bpermute_b32 v6, v8, v2
	;; [unrolled: 1-line block ×4, first 2 shown]
	s_waitcnt lgkmcnt(2)
	v_add_f64 v[1:2], v[1:2], v[5:6]
	v_cndmask_b32_e64 v5, 0, 1, s2
	s_waitcnt lgkmcnt(0)
	v_add_f64 v[3:4], v[3:4], v[7:8]
	v_cmp_gt_u32_e64 s2, 28, v13
	s_delay_alu instid0(VALU_DEP_3) | instskip(NEXT) | instid1(VALU_DEP_1)
	v_lshlrev_b32_e32 v5, 3, v5
	v_add_lshl_u32 v10, v5, v13, 2
	ds_bpermute_b32 v5, v10, v1
	ds_bpermute_b32 v6, v10, v2
	;; [unrolled: 1-line block ×4, first 2 shown]
	s_waitcnt lgkmcnt(2)
	v_add_f64 v[1:2], v[1:2], v[5:6]
	v_cndmask_b32_e64 v5, 0, 1, s2
	s_waitcnt lgkmcnt(0)
	v_add_f64 v[3:4], v[3:4], v[7:8]
	v_cmp_gt_u32_e64 s2, 30, v13
	s_delay_alu instid0(VALU_DEP_3) | instskip(NEXT) | instid1(VALU_DEP_1)
	v_lshlrev_b32_e32 v5, 2, v5
	v_add_lshl_u32 v11, v5, v13, 2
	ds_bpermute_b32 v5, v11, v1
	ds_bpermute_b32 v6, v11, v2
	ds_bpermute_b32 v7, v11, v3
	ds_bpermute_b32 v8, v11, v4
	s_waitcnt lgkmcnt(2)
	v_add_f64 v[1:2], v[1:2], v[5:6]
	v_cndmask_b32_e64 v5, 0, 1, s2
	s_waitcnt lgkmcnt(0)
	v_add_f64 v[3:4], v[3:4], v[7:8]
	v_cmp_ne_u32_e64 s2, 31, v13
	s_delay_alu instid0(VALU_DEP_3) | instskip(NEXT) | instid1(VALU_DEP_1)
	v_lshlrev_b32_e32 v5, 1, v5
	v_add_lshl_u32 v12, v5, v13, 2
	ds_bpermute_b32 v5, v12, v1
	ds_bpermute_b32 v6, v12, v2
	;; [unrolled: 1-line block ×4, first 2 shown]
	s_waitcnt lgkmcnt(2)
	v_add_f64 v[1:2], v[1:2], v[5:6]
	s_waitcnt lgkmcnt(0)
	v_add_f64 v[5:6], v[3:4], v[7:8]
	v_add_co_ci_u32_e64 v3, s2, 0, v13, s2
	s_delay_alu instid0(VALU_DEP_1)
	v_lshlrev_b32_e32 v13, 2, v3
	ds_bpermute_b32 v3, v13, v1
	ds_bpermute_b32 v4, v13, v2
	;; [unrolled: 1-line block ×4, first 2 shown]
	v_cmpx_eq_u32_e32 0, v14
	s_cbranch_execz .LBB267_8
; %bb.7:
	s_waitcnt lgkmcnt(0)
	v_add_f64 v[5:6], v[5:6], v[7:8]
	v_add_f64 v[3:4], v[1:2], v[3:4]
	v_lshrrev_b32_e32 v1, 1, v0
	s_delay_alu instid0(VALU_DEP_1)
	v_and_b32_e32 v1, 0xf0, v1
	ds_store_b128 v1, v[3:6]
.LBB267_8:
	s_or_b32 exec_lo, exec_lo, s4
	s_waitcnt lgkmcnt(2)
	v_mov_b32_e32 v3, 0
	v_mov_b32_e32 v4, 0
	s_delay_alu instid0(VALU_DEP_2)
	v_mov_b32_e32 v1, v3
	s_mov_b32 s4, exec_lo
	s_waitcnt lgkmcnt(0)
	s_barrier
	v_mov_b32_e32 v2, v4
	buffer_gl0_inv
	v_cmpx_gt_u32_e32 16, v0
	s_cbranch_execz .LBB267_10
; %bb.9:
	ds_load_b128 v[1:4], v9
.LBB267_10:
	s_or_b32 exec_lo, exec_lo, s4
	s_and_saveexec_b32 s2, vcc_lo
	s_cbranch_execz .LBB267_12
; %bb.11:
	s_waitcnt lgkmcnt(0)
	ds_bpermute_b32 v5, v10, v1
	ds_bpermute_b32 v6, v10, v2
	ds_bpermute_b32 v7, v10, v3
	ds_bpermute_b32 v8, v10, v4
	s_waitcnt lgkmcnt(2)
	v_add_f64 v[1:2], v[1:2], v[5:6]
	s_waitcnt lgkmcnt(0)
	v_add_f64 v[3:4], v[3:4], v[7:8]
	ds_bpermute_b32 v5, v11, v1
	ds_bpermute_b32 v6, v11, v2
	ds_bpermute_b32 v7, v11, v3
	ds_bpermute_b32 v8, v11, v4
	s_waitcnt lgkmcnt(2)
	v_add_f64 v[1:2], v[1:2], v[5:6]
	s_waitcnt lgkmcnt(0)
	v_add_f64 v[3:4], v[3:4], v[7:8]
	;; [unrolled: 8-line block ×4, first 2 shown]
.LBB267_12:
	s_or_b32 exec_lo, exec_lo, s2
	s_delay_alu instid0(SALU_CYCLE_1)
	s_mov_b32 s2, exec_lo
	v_cmpx_eq_u32_e32 0, v0
	s_cbranch_execz .LBB267_18
; %bb.13:
	s_cmp_lg_u32 s3, 1
	s_cbranch_scc0 .LBB267_15
; %bb.14:
	s_load_b64 s[4:5], s[0:1], 0x50
	s_mul_hi_u32 s7, s3, s12
	s_mul_i32 s6, s3, s12
	s_mov_b32 s15, 0
	s_lshl_b64 s[2:3], s[6:7], 4
	s_waitcnt lgkmcnt(0)
	s_add_u32 s4, s4, s2
	s_addc_u32 s5, s5, s3
	s_lshl_b64 s[2:3], s[14:15], 4
	s_delay_alu instid0(SALU_CYCLE_1)
	s_add_u32 s2, s4, s2
	s_addc_u32 s3, s5, s3
	s_cbranch_execz .LBB267_16
	s_branch .LBB267_17
.LBB267_15:
                                        ; implicit-def: $sgpr2_sgpr3
.LBB267_16:
	s_load_b64 s[0:1], s[0:1], 0x58
	s_lshl_b64 s[2:3], s[12:13], 4
	s_waitcnt lgkmcnt(0)
	s_add_u32 s2, s0, s2
	s_addc_u32 s3, s1, s3
.LBB267_17:
	v_mov_b32_e32 v0, 0
	s_waitcnt lgkmcnt(0)
	global_store_b128 v0, v[1:4], s[2:3]
.LBB267_18:
	s_nop 0
	s_sendmsg sendmsg(MSG_DEALLOC_VGPRS)
	s_endpgm
	.section	.rodata,"a",@progbits
	.p2align	6, 0x0
	.amdhsa_kernel _ZL18rocblas_dot_kernelIlLb0ELi512ELi2ELb1E19rocblas_complex_numIdEPKPKS1_S1_EviT5_lT_lS6_lS7_liPT6_PT4_
		.amdhsa_group_segment_fixed_size 512
		.amdhsa_private_segment_fixed_size 0
		.amdhsa_kernarg_size 352
		.amdhsa_user_sgpr_count 14
		.amdhsa_user_sgpr_dispatch_ptr 0
		.amdhsa_user_sgpr_queue_ptr 0
		.amdhsa_user_sgpr_kernarg_segment_ptr 1
		.amdhsa_user_sgpr_dispatch_id 0
		.amdhsa_user_sgpr_private_segment_size 0
		.amdhsa_wavefront_size32 1
		.amdhsa_uses_dynamic_stack 0
		.amdhsa_enable_private_segment 0
		.amdhsa_system_sgpr_workgroup_id_x 1
		.amdhsa_system_sgpr_workgroup_id_y 0
		.amdhsa_system_sgpr_workgroup_id_z 1
		.amdhsa_system_sgpr_workgroup_info 0
		.amdhsa_system_vgpr_workitem_id 0
		.amdhsa_next_free_vgpr 15
		.amdhsa_next_free_sgpr 22
		.amdhsa_reserve_vcc 1
		.amdhsa_float_round_mode_32 0
		.amdhsa_float_round_mode_16_64 0
		.amdhsa_float_denorm_mode_32 3
		.amdhsa_float_denorm_mode_16_64 3
		.amdhsa_dx10_clamp 1
		.amdhsa_ieee_mode 1
		.amdhsa_fp16_overflow 0
		.amdhsa_workgroup_processor_mode 1
		.amdhsa_memory_ordered 1
		.amdhsa_forward_progress 0
		.amdhsa_shared_vgpr_count 0
		.amdhsa_exception_fp_ieee_invalid_op 0
		.amdhsa_exception_fp_denorm_src 0
		.amdhsa_exception_fp_ieee_div_zero 0
		.amdhsa_exception_fp_ieee_overflow 0
		.amdhsa_exception_fp_ieee_underflow 0
		.amdhsa_exception_fp_ieee_inexact 0
		.amdhsa_exception_int_div_zero 0
	.end_amdhsa_kernel
	.section	.text._ZL18rocblas_dot_kernelIlLb0ELi512ELi2ELb1E19rocblas_complex_numIdEPKPKS1_S1_EviT5_lT_lS6_lS7_liPT6_PT4_,"axG",@progbits,_ZL18rocblas_dot_kernelIlLb0ELi512ELi2ELb1E19rocblas_complex_numIdEPKPKS1_S1_EviT5_lT_lS6_lS7_liPT6_PT4_,comdat
.Lfunc_end267:
	.size	_ZL18rocblas_dot_kernelIlLb0ELi512ELi2ELb1E19rocblas_complex_numIdEPKPKS1_S1_EviT5_lT_lS6_lS7_liPT6_PT4_, .Lfunc_end267-_ZL18rocblas_dot_kernelIlLb0ELi512ELi2ELb1E19rocblas_complex_numIdEPKPKS1_S1_EviT5_lT_lS6_lS7_liPT6_PT4_
                                        ; -- End function
	.section	.AMDGPU.csdata,"",@progbits
; Kernel info:
; codeLenInByte = 1616
; NumSgprs: 24
; NumVgprs: 15
; ScratchSize: 0
; MemoryBound: 0
; FloatMode: 240
; IeeeMode: 1
; LDSByteSize: 512 bytes/workgroup (compile time only)
; SGPRBlocks: 2
; VGPRBlocks: 1
; NumSGPRsForWavesPerEU: 24
; NumVGPRsForWavesPerEU: 15
; Occupancy: 16
; WaveLimiterHint : 1
; COMPUTE_PGM_RSRC2:SCRATCH_EN: 0
; COMPUTE_PGM_RSRC2:USER_SGPR: 14
; COMPUTE_PGM_RSRC2:TRAP_HANDLER: 0
; COMPUTE_PGM_RSRC2:TGID_X_EN: 1
; COMPUTE_PGM_RSRC2:TGID_Y_EN: 0
; COMPUTE_PGM_RSRC2:TGID_Z_EN: 1
; COMPUTE_PGM_RSRC2:TIDIG_COMP_CNT: 0
	.section	.text._ZL24rocblas_dot_kernel_magsqIlLb0ELi512ELi2ELb1E19rocblas_complex_numIdEPKPKS1_S1_EviT5_lT_liPT6_PT4_,"axG",@progbits,_ZL24rocblas_dot_kernel_magsqIlLb0ELi512ELi2ELb1E19rocblas_complex_numIdEPKPKS1_S1_EviT5_lT_liPT6_PT4_,comdat
	.globl	_ZL24rocblas_dot_kernel_magsqIlLb0ELi512ELi2ELb1E19rocblas_complex_numIdEPKPKS1_S1_EviT5_lT_liPT6_PT4_ ; -- Begin function _ZL24rocblas_dot_kernel_magsqIlLb0ELi512ELi2ELb1E19rocblas_complex_numIdEPKPKS1_S1_EviT5_lT_liPT6_PT4_
	.p2align	8
	.type	_ZL24rocblas_dot_kernel_magsqIlLb0ELi512ELi2ELb1E19rocblas_complex_numIdEPKPKS1_S1_EviT5_lT_liPT6_PT4_,@function
_ZL24rocblas_dot_kernel_magsqIlLb0ELi512ELi2ELb1E19rocblas_complex_numIdEPKPKS1_S1_EviT5_lT_liPT6_PT4_: ; @_ZL24rocblas_dot_kernel_magsqIlLb0ELi512ELi2ELb1E19rocblas_complex_numIdEPKPKS1_S1_EviT5_lT_liPT6_PT4_
; %bb.0:
	s_clause 0x1
	s_load_b32 s10, s[0:1], 0x0
	s_load_b32 s3, s[0:1], 0x40
	v_mov_b32_e32 v1, 0
	v_mov_b32_e32 v2, 0
	v_lshl_or_b32 v5, s14, 9, v0
	s_mov_b32 s8, s15
	s_mov_b32 s9, 0
	s_mov_b32 s2, exec_lo
	v_dual_mov_b32 v4, v2 :: v_dual_mov_b32 v3, v1
	s_waitcnt lgkmcnt(0)
	v_cmpx_gt_i32_e64 s10, v5
	s_cbranch_execz .LBB268_4
; %bb.1:
	s_clause 0x1
	s_load_b64 s[12:13], s[0:1], 0x8
	s_load_b128 s[4:7], s[0:1], 0x10
	s_lshl_b64 s[16:17], s[8:9], 3
	v_ashrrev_i32_e32 v1, 31, v5
	s_waitcnt lgkmcnt(0)
	s_add_u32 s12, s12, s16
	s_addc_u32 s13, s13, s17
	v_mul_lo_u32 v3, v5, s7
	s_load_b64 s[12:13], s[12:13], 0x0
	v_mul_lo_u32 v4, v1, s6
	v_mad_u64_u32 v[1:2], null, v5, s6, 0
	s_lshl_b64 s[4:5], s[4:5], 4
	s_delay_alu instid0(VALU_DEP_1) | instskip(NEXT) | instid1(VALU_DEP_1)
	v_add3_u32 v2, v2, v3, v4
	v_lshlrev_b64 v[1:2], 4, v[1:2]
	s_waitcnt lgkmcnt(0)
	s_add_u32 s4, s12, s4
	s_addc_u32 s5, s13, s5
	s_delay_alu instid0(VALU_DEP_1) | instskip(NEXT) | instid1(VALU_DEP_2)
	v_add_co_u32 v1, vcc_lo, s4, v1
	v_add_co_ci_u32_e32 v2, vcc_lo, s5, v2, vcc_lo
	s_add_i32 s11, s14, s3
	global_load_b128 v[1:4], v[1:2], off
	s_waitcnt vmcnt(0)
	v_mul_f64 v[5:6], v[1:2], v[3:4]
	v_mul_f64 v[7:8], v[3:4], v[3:4]
	s_delay_alu instid0(VALU_DEP_2) | instskip(NEXT) | instid1(VALU_DEP_2)
	v_fma_f64 v[3:4], v[1:2], v[3:4], -v[5:6]
	v_fma_f64 v[1:2], v[1:2], v[1:2], v[7:8]
	v_lshl_or_b32 v5, s11, 9, v0
	s_delay_alu instid0(VALU_DEP_1) | instskip(NEXT) | instid1(VALU_DEP_4)
	v_cmp_gt_i32_e32 vcc_lo, s10, v5
	v_add_f64 v[3:4], v[3:4], 0
	s_and_saveexec_b32 s10, vcc_lo
	s_cbranch_execz .LBB268_3
; %bb.2:
	v_ashrrev_i32_e32 v8, 31, v5
	v_mul_lo_u32 v9, v5, s7
	v_mad_u64_u32 v[6:7], null, v5, s6, 0
	s_delay_alu instid0(VALU_DEP_3) | instskip(NEXT) | instid1(VALU_DEP_1)
	v_mul_lo_u32 v5, v8, s6
	v_add3_u32 v7, v7, v9, v5
	s_delay_alu instid0(VALU_DEP_1) | instskip(NEXT) | instid1(VALU_DEP_1)
	v_lshlrev_b64 v[5:6], 4, v[6:7]
	v_add_co_u32 v5, vcc_lo, s4, v5
	s_delay_alu instid0(VALU_DEP_2) | instskip(SKIP_4) | instid1(VALU_DEP_2)
	v_add_co_ci_u32_e32 v6, vcc_lo, s5, v6, vcc_lo
	global_load_b128 v[5:8], v[5:6], off
	s_waitcnt vmcnt(0)
	v_mul_f64 v[9:10], v[5:6], v[7:8]
	v_mul_f64 v[11:12], v[7:8], v[7:8]
	v_fma_f64 v[7:8], v[5:6], v[7:8], -v[9:10]
	s_delay_alu instid0(VALU_DEP_2) | instskip(NEXT) | instid1(VALU_DEP_2)
	v_fma_f64 v[5:6], v[5:6], v[5:6], v[11:12]
	v_add_f64 v[3:4], v[3:4], v[7:8]
	s_delay_alu instid0(VALU_DEP_2)
	v_add_f64 v[1:2], v[1:2], v[5:6]
.LBB268_3:
	s_or_b32 exec_lo, exec_lo, s10
.LBB268_4:
	s_delay_alu instid0(SALU_CYCLE_1) | instskip(SKIP_2) | instid1(VALU_DEP_2)
	s_or_b32 exec_lo, exec_lo, s2
	v_and_b32_e32 v14, 31, v0
	v_cmp_gt_u32_e32 vcc_lo, 32, v0
	v_lshlrev_b32_e32 v9, 4, v14
	s_and_saveexec_b32 s2, vcc_lo
	s_cbranch_execz .LBB268_6
; %bb.5:
	v_mov_b32_e32 v5, 0
	s_delay_alu instid0(VALU_DEP_1)
	v_mov_b32_e32 v6, v5
	v_mov_b32_e32 v7, v5
	v_mov_b32_e32 v8, v5
	ds_store_b128 v9, v[5:8]
.LBB268_6:
	s_or_b32 exec_lo, exec_lo, s2
	v_mbcnt_lo_u32_b32 v13, -1, 0
	s_mov_b32 s4, exec_lo
	s_waitcnt lgkmcnt(0)
	s_barrier
	buffer_gl0_inv
	v_cmp_gt_u32_e64 s2, 16, v13
	s_delay_alu instid0(VALU_DEP_1) | instskip(SKIP_1) | instid1(VALU_DEP_2)
	v_cndmask_b32_e64 v5, 0, 1, s2
	v_cmp_gt_u32_e64 s2, 24, v13
	v_lshlrev_b32_e32 v5, 4, v5
	s_delay_alu instid0(VALU_DEP_1)
	v_add_lshl_u32 v8, v5, v13, 2
	ds_bpermute_b32 v5, v8, v1
	ds_bpermute_b32 v6, v8, v2
	;; [unrolled: 1-line block ×4, first 2 shown]
	s_waitcnt lgkmcnt(2)
	v_add_f64 v[1:2], v[1:2], v[5:6]
	v_cndmask_b32_e64 v5, 0, 1, s2
	s_waitcnt lgkmcnt(0)
	v_add_f64 v[3:4], v[3:4], v[7:8]
	v_cmp_gt_u32_e64 s2, 28, v13
	s_delay_alu instid0(VALU_DEP_3) | instskip(NEXT) | instid1(VALU_DEP_1)
	v_lshlrev_b32_e32 v5, 3, v5
	v_add_lshl_u32 v10, v5, v13, 2
	ds_bpermute_b32 v5, v10, v1
	ds_bpermute_b32 v6, v10, v2
	ds_bpermute_b32 v7, v10, v3
	ds_bpermute_b32 v8, v10, v4
	s_waitcnt lgkmcnt(2)
	v_add_f64 v[1:2], v[1:2], v[5:6]
	v_cndmask_b32_e64 v5, 0, 1, s2
	s_waitcnt lgkmcnt(0)
	v_add_f64 v[3:4], v[3:4], v[7:8]
	v_cmp_gt_u32_e64 s2, 30, v13
	s_delay_alu instid0(VALU_DEP_3) | instskip(NEXT) | instid1(VALU_DEP_1)
	v_lshlrev_b32_e32 v5, 2, v5
	v_add_lshl_u32 v11, v5, v13, 2
	ds_bpermute_b32 v5, v11, v1
	ds_bpermute_b32 v6, v11, v2
	;; [unrolled: 1-line block ×4, first 2 shown]
	s_waitcnt lgkmcnt(2)
	v_add_f64 v[1:2], v[1:2], v[5:6]
	v_cndmask_b32_e64 v5, 0, 1, s2
	s_waitcnt lgkmcnt(0)
	v_add_f64 v[3:4], v[3:4], v[7:8]
	v_cmp_ne_u32_e64 s2, 31, v13
	s_delay_alu instid0(VALU_DEP_3) | instskip(NEXT) | instid1(VALU_DEP_1)
	v_lshlrev_b32_e32 v5, 1, v5
	v_add_lshl_u32 v12, v5, v13, 2
	ds_bpermute_b32 v5, v12, v1
	ds_bpermute_b32 v6, v12, v2
	;; [unrolled: 1-line block ×4, first 2 shown]
	s_waitcnt lgkmcnt(2)
	v_add_f64 v[1:2], v[1:2], v[5:6]
	s_waitcnt lgkmcnt(0)
	v_add_f64 v[5:6], v[3:4], v[7:8]
	v_add_co_ci_u32_e64 v3, s2, 0, v13, s2
	s_delay_alu instid0(VALU_DEP_1)
	v_lshlrev_b32_e32 v13, 2, v3
	ds_bpermute_b32 v3, v13, v1
	ds_bpermute_b32 v4, v13, v2
	;; [unrolled: 1-line block ×4, first 2 shown]
	v_cmpx_eq_u32_e32 0, v14
	s_cbranch_execz .LBB268_8
; %bb.7:
	s_waitcnt lgkmcnt(0)
	v_add_f64 v[5:6], v[5:6], v[7:8]
	v_add_f64 v[3:4], v[1:2], v[3:4]
	v_lshrrev_b32_e32 v1, 1, v0
	s_delay_alu instid0(VALU_DEP_1)
	v_and_b32_e32 v1, 0xf0, v1
	ds_store_b128 v1, v[3:6]
.LBB268_8:
	s_or_b32 exec_lo, exec_lo, s4
	s_waitcnt lgkmcnt(2)
	v_mov_b32_e32 v3, 0
	v_mov_b32_e32 v4, 0
	s_delay_alu instid0(VALU_DEP_2)
	v_mov_b32_e32 v1, v3
	s_mov_b32 s4, exec_lo
	s_waitcnt lgkmcnt(0)
	s_barrier
	v_mov_b32_e32 v2, v4
	buffer_gl0_inv
	v_cmpx_gt_u32_e32 16, v0
	s_cbranch_execz .LBB268_10
; %bb.9:
	ds_load_b128 v[1:4], v9
.LBB268_10:
	s_or_b32 exec_lo, exec_lo, s4
	s_and_saveexec_b32 s2, vcc_lo
	s_cbranch_execz .LBB268_12
; %bb.11:
	s_waitcnt lgkmcnt(0)
	ds_bpermute_b32 v5, v10, v1
	ds_bpermute_b32 v6, v10, v2
	ds_bpermute_b32 v7, v10, v3
	ds_bpermute_b32 v8, v10, v4
	s_waitcnt lgkmcnt(2)
	v_add_f64 v[1:2], v[1:2], v[5:6]
	s_waitcnt lgkmcnt(0)
	v_add_f64 v[3:4], v[3:4], v[7:8]
	ds_bpermute_b32 v5, v11, v1
	ds_bpermute_b32 v6, v11, v2
	ds_bpermute_b32 v7, v11, v3
	ds_bpermute_b32 v8, v11, v4
	s_waitcnt lgkmcnt(2)
	v_add_f64 v[1:2], v[1:2], v[5:6]
	s_waitcnt lgkmcnt(0)
	v_add_f64 v[3:4], v[3:4], v[7:8]
	;; [unrolled: 8-line block ×4, first 2 shown]
.LBB268_12:
	s_or_b32 exec_lo, exec_lo, s2
	s_delay_alu instid0(SALU_CYCLE_1)
	s_mov_b32 s2, exec_lo
	v_cmpx_eq_u32_e32 0, v0
	s_cbranch_execz .LBB268_18
; %bb.13:
	s_cmp_lg_u32 s3, 1
	s_cbranch_scc0 .LBB268_15
; %bb.14:
	s_load_b64 s[4:5], s[0:1], 0x30
	s_mul_hi_u32 s7, s3, s8
	s_mul_i32 s6, s3, s8
	s_mov_b32 s15, 0
	s_lshl_b64 s[2:3], s[6:7], 4
	s_waitcnt lgkmcnt(0)
	s_add_u32 s4, s4, s2
	s_addc_u32 s5, s5, s3
	s_lshl_b64 s[2:3], s[14:15], 4
	s_delay_alu instid0(SALU_CYCLE_1)
	s_add_u32 s2, s4, s2
	s_addc_u32 s3, s5, s3
	s_cbranch_execz .LBB268_16
	s_branch .LBB268_17
.LBB268_15:
                                        ; implicit-def: $sgpr2_sgpr3
.LBB268_16:
	s_load_b64 s[0:1], s[0:1], 0x38
	s_lshl_b64 s[2:3], s[8:9], 4
	s_waitcnt lgkmcnt(0)
	s_add_u32 s2, s0, s2
	s_addc_u32 s3, s1, s3
.LBB268_17:
	v_mov_b32_e32 v0, 0
	s_waitcnt lgkmcnt(0)
	global_store_b128 v0, v[1:4], s[2:3]
.LBB268_18:
	s_nop 0
	s_sendmsg sendmsg(MSG_DEALLOC_VGPRS)
	s_endpgm
	.section	.rodata,"a",@progbits
	.p2align	6, 0x0
	.amdhsa_kernel _ZL24rocblas_dot_kernel_magsqIlLb0ELi512ELi2ELb1E19rocblas_complex_numIdEPKPKS1_S1_EviT5_lT_liPT6_PT4_
		.amdhsa_group_segment_fixed_size 512
		.amdhsa_private_segment_fixed_size 0
		.amdhsa_kernarg_size 320
		.amdhsa_user_sgpr_count 14
		.amdhsa_user_sgpr_dispatch_ptr 0
		.amdhsa_user_sgpr_queue_ptr 0
		.amdhsa_user_sgpr_kernarg_segment_ptr 1
		.amdhsa_user_sgpr_dispatch_id 0
		.amdhsa_user_sgpr_private_segment_size 0
		.amdhsa_wavefront_size32 1
		.amdhsa_uses_dynamic_stack 0
		.amdhsa_enable_private_segment 0
		.amdhsa_system_sgpr_workgroup_id_x 1
		.amdhsa_system_sgpr_workgroup_id_y 0
		.amdhsa_system_sgpr_workgroup_id_z 1
		.amdhsa_system_sgpr_workgroup_info 0
		.amdhsa_system_vgpr_workitem_id 0
		.amdhsa_next_free_vgpr 15
		.amdhsa_next_free_sgpr 18
		.amdhsa_reserve_vcc 1
		.amdhsa_float_round_mode_32 0
		.amdhsa_float_round_mode_16_64 0
		.amdhsa_float_denorm_mode_32 3
		.amdhsa_float_denorm_mode_16_64 3
		.amdhsa_dx10_clamp 1
		.amdhsa_ieee_mode 1
		.amdhsa_fp16_overflow 0
		.amdhsa_workgroup_processor_mode 1
		.amdhsa_memory_ordered 1
		.amdhsa_forward_progress 0
		.amdhsa_shared_vgpr_count 0
		.amdhsa_exception_fp_ieee_invalid_op 0
		.amdhsa_exception_fp_denorm_src 0
		.amdhsa_exception_fp_ieee_div_zero 0
		.amdhsa_exception_fp_ieee_overflow 0
		.amdhsa_exception_fp_ieee_underflow 0
		.amdhsa_exception_fp_ieee_inexact 0
		.amdhsa_exception_int_div_zero 0
	.end_amdhsa_kernel
	.section	.text._ZL24rocblas_dot_kernel_magsqIlLb0ELi512ELi2ELb1E19rocblas_complex_numIdEPKPKS1_S1_EviT5_lT_liPT6_PT4_,"axG",@progbits,_ZL24rocblas_dot_kernel_magsqIlLb0ELi512ELi2ELb1E19rocblas_complex_numIdEPKPKS1_S1_EviT5_lT_liPT6_PT4_,comdat
.Lfunc_end268:
	.size	_ZL24rocblas_dot_kernel_magsqIlLb0ELi512ELi2ELb1E19rocblas_complex_numIdEPKPKS1_S1_EviT5_lT_liPT6_PT4_, .Lfunc_end268-_ZL24rocblas_dot_kernel_magsqIlLb0ELi512ELi2ELb1E19rocblas_complex_numIdEPKPKS1_S1_EviT5_lT_liPT6_PT4_
                                        ; -- End function
	.section	.AMDGPU.csdata,"",@progbits
; Kernel info:
; codeLenInByte = 1416
; NumSgprs: 20
; NumVgprs: 15
; ScratchSize: 0
; MemoryBound: 0
; FloatMode: 240
; IeeeMode: 1
; LDSByteSize: 512 bytes/workgroup (compile time only)
; SGPRBlocks: 2
; VGPRBlocks: 1
; NumSGPRsForWavesPerEU: 20
; NumVGPRsForWavesPerEU: 15
; Occupancy: 16
; WaveLimiterHint : 1
; COMPUTE_PGM_RSRC2:SCRATCH_EN: 0
; COMPUTE_PGM_RSRC2:USER_SGPR: 14
; COMPUTE_PGM_RSRC2:TRAP_HANDLER: 0
; COMPUTE_PGM_RSRC2:TGID_X_EN: 1
; COMPUTE_PGM_RSRC2:TGID_Y_EN: 0
; COMPUTE_PGM_RSRC2:TGID_Z_EN: 1
; COMPUTE_PGM_RSRC2:TIDIG_COMP_CNT: 0
	.section	.text._ZL28rocblas_dot_batched_4_kernelIlLi32ELi4ELb1EffPKDF16_EviT5_lT_lS2_lS3_liPT4_,"axG",@progbits,_ZL28rocblas_dot_batched_4_kernelIlLi32ELi4ELb1EffPKDF16_EviT5_lT_lS2_lS3_liPT4_,comdat
	.globl	_ZL28rocblas_dot_batched_4_kernelIlLi32ELi4ELb1EffPKDF16_EviT5_lT_lS2_lS3_liPT4_ ; -- Begin function _ZL28rocblas_dot_batched_4_kernelIlLi32ELi4ELb1EffPKDF16_EviT5_lT_lS2_lS3_liPT4_
	.p2align	8
	.type	_ZL28rocblas_dot_batched_4_kernelIlLi32ELi4ELb1EffPKDF16_EviT5_lT_lS2_lS3_liPT4_,@function
_ZL28rocblas_dot_batched_4_kernelIlLi32ELi4ELb1EffPKDF16_EviT5_lT_lS2_lS3_liPT4_: ; @_ZL28rocblas_dot_batched_4_kernelIlLi32ELi4ELb1EffPKDF16_EviT5_lT_lS2_lS3_liPT4_
; %bb.0:
	s_load_b32 s2, s[0:1], 0x48
	v_bfe_u32 v1, v0, 10, 10
	s_delay_alu instid0(VALU_DEP_1) | instskip(SKIP_1) | instid1(VALU_DEP_1)
	v_lshl_add_u32 v1, s15, 2, v1
	s_waitcnt lgkmcnt(0)
	v_cmp_gt_u32_e32 vcc_lo, s2, v1
	s_and_saveexec_b32 s2, vcc_lo
	s_cbranch_execz .LBB269_7
; %bb.1:
	s_clause 0x1
	s_load_b32 s16, s[0:1], 0x0
	s_load_b64 s[2:3], s[0:1], 0x50
	v_mov_b32_e32 v2, 0
	v_and_b32_e32 v0, 0x3ff, v0
	s_mov_b32 s17, exec_lo
	s_delay_alu instid0(VALU_DEP_2) | instskip(SKIP_1) | instid1(VALU_DEP_2)
	v_mov_b32_e32 v7, v2
	s_waitcnt lgkmcnt(0)
	v_cmpx_gt_i32_e64 s16, v0
	s_cbranch_execz .LBB269_5
; %bb.2:
	s_clause 0x3
	s_load_b128 s[12:15], s[0:1], 0x10
	s_load_b256 s[4:11], s[0:1], 0x20
	s_load_b64 s[18:19], s[0:1], 0x40
	s_load_b64 s[0:1], s[0:1], 0x8
	s_waitcnt lgkmcnt(0)
	v_mad_u64_u32 v[3:4], null, s14, v0, 0
	v_mad_u64_u32 v[5:6], null, s4, v1, 0
	;; [unrolled: 1-line block ×4, first 2 shown]
	s_lshl_b64 s[12:13], s[12:13], 1
	s_delay_alu instid0(VALU_DEP_3) | instskip(SKIP_4) | instid1(VALU_DEP_2)
	v_mad_u64_u32 v[12:13], null, s15, v0, v[4:5]
	v_mov_b32_e32 v7, 0
	s_add_u32 s12, s0, s12
	s_addc_u32 s13, s1, s13
	s_lshl_b64 s[0:1], s[8:9], 1
	v_mov_b32_e32 v4, v12
	v_mad_u64_u32 v[13:14], null, s5, v1, v[6:7]
	v_mad_u64_u32 v[14:15], null, s11, v0, v[9:10]
	;; [unrolled: 1-line block ×3, first 2 shown]
	s_delay_alu instid0(VALU_DEP_4) | instskip(SKIP_1) | instid1(VALU_DEP_4)
	v_lshlrev_b64 v[3:4], 1, v[3:4]
	s_lshl_b64 s[4:5], s[14:15], 6
	v_mov_b32_e32 v6, v13
	s_add_u32 s0, s6, s0
	s_delay_alu instid0(VALU_DEP_4) | instskip(SKIP_1) | instid1(VALU_DEP_4)
	v_mov_b32_e32 v9, v14
	s_addc_u32 s1, s7, s1
	v_mov_b32_e32 v11, v15
	v_lshlrev_b64 v[5:6], 1, v[5:6]
	s_lshl_b64 s[6:7], s[10:11], 6
	v_lshlrev_b64 v[8:9], 1, v[8:9]
	s_delay_alu instid0(VALU_DEP_3) | instskip(NEXT) | instid1(VALU_DEP_3)
	v_lshlrev_b64 v[10:11], 1, v[10:11]
	v_add_co_u32 v3, vcc_lo, v3, v5
	s_delay_alu instid0(VALU_DEP_4) | instskip(NEXT) | instid1(VALU_DEP_3)
	v_add_co_ci_u32_e32 v4, vcc_lo, v4, v6, vcc_lo
	v_add_co_u32 v5, vcc_lo, v8, v10
	v_mov_b32_e32 v8, v0
	v_add_co_ci_u32_e32 v6, vcc_lo, v9, v11, vcc_lo
	v_add_co_u32 v3, vcc_lo, s12, v3
	v_add_co_ci_u32_e32 v4, vcc_lo, s13, v4, vcc_lo
	v_add_co_u32 v5, vcc_lo, s0, v5
	s_delay_alu instid0(VALU_DEP_4)
	v_add_co_ci_u32_e32 v6, vcc_lo, s1, v6, vcc_lo
	s_mov_b32 s1, 0
	.p2align	6
.LBB269_3:                              ; =>This Inner Loop Header: Depth=1
	global_load_u16 v9, v[3:4], off
	global_load_u16 v10, v[5:6], off
	v_add_nc_u32_e32 v8, 32, v8
	v_add_co_u32 v3, vcc_lo, v3, s4
	v_add_co_ci_u32_e32 v4, vcc_lo, s5, v4, vcc_lo
	v_add_co_u32 v5, vcc_lo, v5, s6
	s_delay_alu instid0(VALU_DEP_4) | instskip(SKIP_1) | instid1(VALU_DEP_2)
	v_cmp_le_i32_e64 s0, s16, v8
	v_add_co_ci_u32_e32 v6, vcc_lo, s7, v6, vcc_lo
	s_or_b32 s1, s0, s1
	s_waitcnt vmcnt(0)
	v_fma_mix_f32 v7, v9, v10, v7 op_sel_hi:[1,1,0]
	s_and_not1_b32 exec_lo, exec_lo, s1
	s_cbranch_execnz .LBB269_3
; %bb.4:
	s_or_b32 exec_lo, exec_lo, s1
.LBB269_5:
	s_delay_alu instid0(SALU_CYCLE_1)
	s_or_b32 exec_lo, exec_lo, s17
	v_mbcnt_lo_u32_b32 v3, -1, 0
	s_barrier
	buffer_gl0_inv
	v_cmp_gt_u32_e32 vcc_lo, 16, v3
	v_cndmask_b32_e64 v4, 0, 1, vcc_lo
	v_cmp_gt_u32_e32 vcc_lo, 24, v3
	s_delay_alu instid0(VALU_DEP_2) | instskip(SKIP_2) | instid1(VALU_DEP_3)
	v_lshlrev_b32_e32 v4, 4, v4
	v_cndmask_b32_e64 v5, 0, 1, vcc_lo
	v_cmp_gt_u32_e32 vcc_lo, 28, v3
	v_add_lshl_u32 v4, v4, v3, 2
	v_cndmask_b32_e64 v6, 0, 1, vcc_lo
	v_cmp_gt_u32_e32 vcc_lo, 30, v3
	ds_bpermute_b32 v4, v4, v7
	v_lshlrev_b32_e32 v5, 3, v5
	v_lshlrev_b32_e32 v6, 2, v6
	s_delay_alu instid0(VALU_DEP_1)
	v_add_lshl_u32 v6, v6, v3, 2
	s_waitcnt lgkmcnt(0)
	v_add_f32_e32 v4, v7, v4
	v_add_lshl_u32 v5, v5, v3, 2
	ds_bpermute_b32 v5, v5, v4
	s_waitcnt lgkmcnt(0)
	v_add_f32_e32 v4, v4, v5
	ds_bpermute_b32 v5, v6, v4
	v_cndmask_b32_e64 v6, 0, 1, vcc_lo
	v_cmp_ne_u32_e32 vcc_lo, 31, v3
	s_delay_alu instid0(VALU_DEP_2) | instskip(NEXT) | instid1(VALU_DEP_1)
	v_lshlrev_b32_e32 v6, 1, v6
	v_add_lshl_u32 v6, v6, v3, 2
	s_waitcnt lgkmcnt(0)
	v_add_f32_e32 v4, v4, v5
	ds_bpermute_b32 v5, v6, v4
	v_add_co_ci_u32_e32 v6, vcc_lo, 0, v3, vcc_lo
	v_cmp_eq_u32_e32 vcc_lo, 0, v0
	s_waitcnt lgkmcnt(0)
	s_delay_alu instid0(VALU_DEP_2)
	v_dual_add_f32 v3, v4, v5 :: v_dual_lshlrev_b32 v4, 2, v6
	ds_bpermute_b32 v4, v4, v3
	s_and_b32 exec_lo, exec_lo, vcc_lo
	s_cbranch_execz .LBB269_7
; %bb.6:
	v_lshlrev_b64 v[0:1], 2, v[1:2]
	s_waitcnt lgkmcnt(0)
	v_add_f32_e32 v2, v3, v4
	s_delay_alu instid0(VALU_DEP_2) | instskip(NEXT) | instid1(VALU_DEP_3)
	v_add_co_u32 v0, vcc_lo, s2, v0
	v_add_co_ci_u32_e32 v1, vcc_lo, s3, v1, vcc_lo
	global_store_b32 v[0:1], v2, off
.LBB269_7:
	s_nop 0
	s_sendmsg sendmsg(MSG_DEALLOC_VGPRS)
	s_endpgm
	.section	.rodata,"a",@progbits
	.p2align	6, 0x0
	.amdhsa_kernel _ZL28rocblas_dot_batched_4_kernelIlLi32ELi4ELb1EffPKDF16_EviT5_lT_lS2_lS3_liPT4_
		.amdhsa_group_segment_fixed_size 0
		.amdhsa_private_segment_fixed_size 0
		.amdhsa_kernarg_size 88
		.amdhsa_user_sgpr_count 15
		.amdhsa_user_sgpr_dispatch_ptr 0
		.amdhsa_user_sgpr_queue_ptr 0
		.amdhsa_user_sgpr_kernarg_segment_ptr 1
		.amdhsa_user_sgpr_dispatch_id 0
		.amdhsa_user_sgpr_private_segment_size 0
		.amdhsa_wavefront_size32 1
		.amdhsa_uses_dynamic_stack 0
		.amdhsa_enable_private_segment 0
		.amdhsa_system_sgpr_workgroup_id_x 1
		.amdhsa_system_sgpr_workgroup_id_y 0
		.amdhsa_system_sgpr_workgroup_id_z 0
		.amdhsa_system_sgpr_workgroup_info 0
		.amdhsa_system_vgpr_workitem_id 1
		.amdhsa_next_free_vgpr 17
		.amdhsa_next_free_sgpr 20
		.amdhsa_reserve_vcc 1
		.amdhsa_float_round_mode_32 0
		.amdhsa_float_round_mode_16_64 0
		.amdhsa_float_denorm_mode_32 3
		.amdhsa_float_denorm_mode_16_64 3
		.amdhsa_dx10_clamp 1
		.amdhsa_ieee_mode 1
		.amdhsa_fp16_overflow 0
		.amdhsa_workgroup_processor_mode 1
		.amdhsa_memory_ordered 1
		.amdhsa_forward_progress 0
		.amdhsa_shared_vgpr_count 0
		.amdhsa_exception_fp_ieee_invalid_op 0
		.amdhsa_exception_fp_denorm_src 0
		.amdhsa_exception_fp_ieee_div_zero 0
		.amdhsa_exception_fp_ieee_overflow 0
		.amdhsa_exception_fp_ieee_underflow 0
		.amdhsa_exception_fp_ieee_inexact 0
		.amdhsa_exception_int_div_zero 0
	.end_amdhsa_kernel
	.section	.text._ZL28rocblas_dot_batched_4_kernelIlLi32ELi4ELb1EffPKDF16_EviT5_lT_lS2_lS3_liPT4_,"axG",@progbits,_ZL28rocblas_dot_batched_4_kernelIlLi32ELi4ELb1EffPKDF16_EviT5_lT_lS2_lS3_liPT4_,comdat
.Lfunc_end269:
	.size	_ZL28rocblas_dot_batched_4_kernelIlLi32ELi4ELb1EffPKDF16_EviT5_lT_lS2_lS3_liPT4_, .Lfunc_end269-_ZL28rocblas_dot_batched_4_kernelIlLi32ELi4ELb1EffPKDF16_EviT5_lT_lS2_lS3_liPT4_
                                        ; -- End function
	.section	.AMDGPU.csdata,"",@progbits
; Kernel info:
; codeLenInByte = 744
; NumSgprs: 22
; NumVgprs: 17
; ScratchSize: 0
; MemoryBound: 0
; FloatMode: 240
; IeeeMode: 1
; LDSByteSize: 0 bytes/workgroup (compile time only)
; SGPRBlocks: 2
; VGPRBlocks: 2
; NumSGPRsForWavesPerEU: 22
; NumVGPRsForWavesPerEU: 17
; Occupancy: 16
; WaveLimiterHint : 0
; COMPUTE_PGM_RSRC2:SCRATCH_EN: 0
; COMPUTE_PGM_RSRC2:USER_SGPR: 15
; COMPUTE_PGM_RSRC2:TRAP_HANDLER: 0
; COMPUTE_PGM_RSRC2:TGID_X_EN: 1
; COMPUTE_PGM_RSRC2:TGID_Y_EN: 0
; COMPUTE_PGM_RSRC2:TGID_Z_EN: 0
; COMPUTE_PGM_RSRC2:TIDIG_COMP_CNT: 1
	.section	.text._ZL28rocblas_dot_batched_4_kernelIlLi64ELi4ELb1EffPKDF16_EviT5_lT_lS2_lS3_liPT4_,"axG",@progbits,_ZL28rocblas_dot_batched_4_kernelIlLi64ELi4ELb1EffPKDF16_EviT5_lT_lS2_lS3_liPT4_,comdat
	.globl	_ZL28rocblas_dot_batched_4_kernelIlLi64ELi4ELb1EffPKDF16_EviT5_lT_lS2_lS3_liPT4_ ; -- Begin function _ZL28rocblas_dot_batched_4_kernelIlLi64ELi4ELb1EffPKDF16_EviT5_lT_lS2_lS3_liPT4_
	.p2align	8
	.type	_ZL28rocblas_dot_batched_4_kernelIlLi64ELi4ELb1EffPKDF16_EviT5_lT_lS2_lS3_liPT4_,@function
_ZL28rocblas_dot_batched_4_kernelIlLi64ELi4ELb1EffPKDF16_EviT5_lT_lS2_lS3_liPT4_: ; @_ZL28rocblas_dot_batched_4_kernelIlLi64ELi4ELb1EffPKDF16_EviT5_lT_lS2_lS3_liPT4_
; %bb.0:
	s_load_b32 s2, s[0:1], 0x48
	v_bfe_u32 v1, v0, 10, 10
	s_delay_alu instid0(VALU_DEP_1) | instskip(SKIP_1) | instid1(VALU_DEP_1)
	v_lshl_add_u32 v1, s15, 2, v1
	s_waitcnt lgkmcnt(0)
	v_cmp_gt_u32_e32 vcc_lo, s2, v1
	s_and_saveexec_b32 s2, vcc_lo
	s_cbranch_execz .LBB270_7
; %bb.1:
	s_clause 0x1
	s_load_b32 s16, s[0:1], 0x0
	s_load_b64 s[2:3], s[0:1], 0x50
	v_mov_b32_e32 v2, 0
	v_and_b32_e32 v0, 0x3ff, v0
	s_mov_b32 s17, exec_lo
	s_delay_alu instid0(VALU_DEP_2) | instskip(SKIP_1) | instid1(VALU_DEP_2)
	v_mov_b32_e32 v7, v2
	s_waitcnt lgkmcnt(0)
	v_cmpx_gt_i32_e64 s16, v0
	s_cbranch_execz .LBB270_5
; %bb.2:
	s_clause 0x3
	s_load_b128 s[12:15], s[0:1], 0x10
	s_load_b256 s[4:11], s[0:1], 0x20
	s_load_b64 s[18:19], s[0:1], 0x40
	s_load_b64 s[0:1], s[0:1], 0x8
	s_waitcnt lgkmcnt(0)
	v_mad_u64_u32 v[3:4], null, s14, v0, 0
	v_mad_u64_u32 v[5:6], null, s4, v1, 0
	;; [unrolled: 1-line block ×4, first 2 shown]
	s_lshl_b64 s[12:13], s[12:13], 1
	s_delay_alu instid0(VALU_DEP_3) | instskip(SKIP_4) | instid1(VALU_DEP_2)
	v_mad_u64_u32 v[12:13], null, s15, v0, v[4:5]
	v_mov_b32_e32 v7, 0
	s_add_u32 s12, s0, s12
	s_addc_u32 s13, s1, s13
	s_lshl_b64 s[0:1], s[8:9], 1
	v_mov_b32_e32 v4, v12
	v_mad_u64_u32 v[13:14], null, s5, v1, v[6:7]
	v_mad_u64_u32 v[14:15], null, s11, v0, v[9:10]
	;; [unrolled: 1-line block ×3, first 2 shown]
	s_delay_alu instid0(VALU_DEP_4) | instskip(SKIP_1) | instid1(VALU_DEP_4)
	v_lshlrev_b64 v[3:4], 1, v[3:4]
	s_lshl_b64 s[4:5], s[14:15], 7
	v_mov_b32_e32 v6, v13
	s_add_u32 s0, s6, s0
	s_delay_alu instid0(VALU_DEP_4) | instskip(SKIP_1) | instid1(VALU_DEP_4)
	v_mov_b32_e32 v9, v14
	s_addc_u32 s1, s7, s1
	v_mov_b32_e32 v11, v15
	v_lshlrev_b64 v[5:6], 1, v[5:6]
	s_lshl_b64 s[6:7], s[10:11], 7
	v_lshlrev_b64 v[8:9], 1, v[8:9]
	s_delay_alu instid0(VALU_DEP_3) | instskip(NEXT) | instid1(VALU_DEP_3)
	v_lshlrev_b64 v[10:11], 1, v[10:11]
	v_add_co_u32 v3, vcc_lo, v3, v5
	s_delay_alu instid0(VALU_DEP_4) | instskip(NEXT) | instid1(VALU_DEP_3)
	v_add_co_ci_u32_e32 v4, vcc_lo, v4, v6, vcc_lo
	v_add_co_u32 v5, vcc_lo, v8, v10
	v_mov_b32_e32 v8, v0
	v_add_co_ci_u32_e32 v6, vcc_lo, v9, v11, vcc_lo
	v_add_co_u32 v3, vcc_lo, s12, v3
	v_add_co_ci_u32_e32 v4, vcc_lo, s13, v4, vcc_lo
	v_add_co_u32 v5, vcc_lo, s0, v5
	s_delay_alu instid0(VALU_DEP_4)
	v_add_co_ci_u32_e32 v6, vcc_lo, s1, v6, vcc_lo
	s_mov_b32 s1, 0
	.p2align	6
.LBB270_3:                              ; =>This Inner Loop Header: Depth=1
	global_load_u16 v9, v[3:4], off
	global_load_u16 v10, v[5:6], off
	v_add_nc_u32_e32 v8, 64, v8
	v_add_co_u32 v3, vcc_lo, v3, s4
	v_add_co_ci_u32_e32 v4, vcc_lo, s5, v4, vcc_lo
	v_add_co_u32 v5, vcc_lo, v5, s6
	s_delay_alu instid0(VALU_DEP_4) | instskip(SKIP_1) | instid1(VALU_DEP_2)
	v_cmp_le_i32_e64 s0, s16, v8
	v_add_co_ci_u32_e32 v6, vcc_lo, s7, v6, vcc_lo
	s_or_b32 s1, s0, s1
	s_waitcnt vmcnt(0)
	v_fma_mix_f32 v7, v9, v10, v7 op_sel_hi:[1,1,0]
	s_and_not1_b32 exec_lo, exec_lo, s1
	s_cbranch_execnz .LBB270_3
; %bb.4:
	s_or_b32 exec_lo, exec_lo, s1
.LBB270_5:
	s_delay_alu instid0(SALU_CYCLE_1)
	s_or_b32 exec_lo, exec_lo, s17
	v_mbcnt_lo_u32_b32 v3, -1, 0
	s_barrier
	buffer_gl0_inv
	v_lshlrev_b32_e32 v4, 2, v3
	v_cmp_gt_u32_e32 vcc_lo, 16, v3
	ds_bpermute_b32 v4, v4, v7
	v_cndmask_b32_e64 v5, 0, 1, vcc_lo
	v_cmp_gt_u32_e32 vcc_lo, 24, v3
	s_delay_alu instid0(VALU_DEP_2) | instskip(SKIP_2) | instid1(VALU_DEP_2)
	v_lshlrev_b32_e32 v5, 4, v5
	v_cndmask_b32_e64 v6, 0, 1, vcc_lo
	v_cmp_gt_u32_e32 vcc_lo, 28, v3
	v_lshlrev_b32_e32 v6, 3, v6
	s_delay_alu instid0(VALU_DEP_1)
	v_add_lshl_u32 v6, v6, v3, 2
	s_waitcnt lgkmcnt(0)
	v_add_f32_e32 v4, v7, v4
	v_add_lshl_u32 v5, v5, v3, 2
	ds_bpermute_b32 v5, v5, v4
	s_waitcnt lgkmcnt(0)
	v_add_f32_e32 v4, v4, v5
	ds_bpermute_b32 v5, v6, v4
	v_cndmask_b32_e64 v6, 0, 1, vcc_lo
	v_cmp_gt_u32_e32 vcc_lo, 30, v3
	s_delay_alu instid0(VALU_DEP_2) | instskip(NEXT) | instid1(VALU_DEP_1)
	v_lshlrev_b32_e32 v6, 2, v6
	v_add_lshl_u32 v6, v6, v3, 2
	s_waitcnt lgkmcnt(0)
	v_add_f32_e32 v4, v4, v5
	ds_bpermute_b32 v5, v6, v4
	v_cndmask_b32_e64 v6, 0, 1, vcc_lo
	v_cmp_ne_u32_e32 vcc_lo, 31, v3
	s_delay_alu instid0(VALU_DEP_2) | instskip(NEXT) | instid1(VALU_DEP_1)
	v_lshlrev_b32_e32 v6, 1, v6
	v_add_lshl_u32 v6, v6, v3, 2
	s_waitcnt lgkmcnt(0)
	v_add_f32_e32 v4, v4, v5
	ds_bpermute_b32 v5, v6, v4
	v_add_co_ci_u32_e32 v6, vcc_lo, 0, v3, vcc_lo
	v_cmp_eq_u32_e32 vcc_lo, 0, v0
	s_waitcnt lgkmcnt(0)
	s_delay_alu instid0(VALU_DEP_2)
	v_dual_add_f32 v3, v4, v5 :: v_dual_lshlrev_b32 v4, 2, v6
	ds_bpermute_b32 v4, v4, v3
	s_and_b32 exec_lo, exec_lo, vcc_lo
	s_cbranch_execz .LBB270_7
; %bb.6:
	v_lshlrev_b64 v[0:1], 2, v[1:2]
	s_waitcnt lgkmcnt(0)
	v_add_f32_e32 v2, v3, v4
	s_delay_alu instid0(VALU_DEP_2) | instskip(NEXT) | instid1(VALU_DEP_3)
	v_add_co_u32 v0, vcc_lo, s2, v0
	v_add_co_ci_u32_e32 v1, vcc_lo, s3, v1, vcc_lo
	global_store_b32 v[0:1], v2, off
.LBB270_7:
	s_nop 0
	s_sendmsg sendmsg(MSG_DEALLOC_VGPRS)
	s_endpgm
	.section	.rodata,"a",@progbits
	.p2align	6, 0x0
	.amdhsa_kernel _ZL28rocblas_dot_batched_4_kernelIlLi64ELi4ELb1EffPKDF16_EviT5_lT_lS2_lS3_liPT4_
		.amdhsa_group_segment_fixed_size 0
		.amdhsa_private_segment_fixed_size 0
		.amdhsa_kernarg_size 88
		.amdhsa_user_sgpr_count 15
		.amdhsa_user_sgpr_dispatch_ptr 0
		.amdhsa_user_sgpr_queue_ptr 0
		.amdhsa_user_sgpr_kernarg_segment_ptr 1
		.amdhsa_user_sgpr_dispatch_id 0
		.amdhsa_user_sgpr_private_segment_size 0
		.amdhsa_wavefront_size32 1
		.amdhsa_uses_dynamic_stack 0
		.amdhsa_enable_private_segment 0
		.amdhsa_system_sgpr_workgroup_id_x 1
		.amdhsa_system_sgpr_workgroup_id_y 0
		.amdhsa_system_sgpr_workgroup_id_z 0
		.amdhsa_system_sgpr_workgroup_info 0
		.amdhsa_system_vgpr_workitem_id 1
		.amdhsa_next_free_vgpr 17
		.amdhsa_next_free_sgpr 20
		.amdhsa_reserve_vcc 1
		.amdhsa_float_round_mode_32 0
		.amdhsa_float_round_mode_16_64 0
		.amdhsa_float_denorm_mode_32 3
		.amdhsa_float_denorm_mode_16_64 3
		.amdhsa_dx10_clamp 1
		.amdhsa_ieee_mode 1
		.amdhsa_fp16_overflow 0
		.amdhsa_workgroup_processor_mode 1
		.amdhsa_memory_ordered 1
		.amdhsa_forward_progress 0
		.amdhsa_shared_vgpr_count 0
		.amdhsa_exception_fp_ieee_invalid_op 0
		.amdhsa_exception_fp_denorm_src 0
		.amdhsa_exception_fp_ieee_div_zero 0
		.amdhsa_exception_fp_ieee_overflow 0
		.amdhsa_exception_fp_ieee_underflow 0
		.amdhsa_exception_fp_ieee_inexact 0
		.amdhsa_exception_int_div_zero 0
	.end_amdhsa_kernel
	.section	.text._ZL28rocblas_dot_batched_4_kernelIlLi64ELi4ELb1EffPKDF16_EviT5_lT_lS2_lS3_liPT4_,"axG",@progbits,_ZL28rocblas_dot_batched_4_kernelIlLi64ELi4ELb1EffPKDF16_EviT5_lT_lS2_lS3_liPT4_,comdat
.Lfunc_end270:
	.size	_ZL28rocblas_dot_batched_4_kernelIlLi64ELi4ELb1EffPKDF16_EviT5_lT_lS2_lS3_liPT4_, .Lfunc_end270-_ZL28rocblas_dot_batched_4_kernelIlLi64ELi4ELb1EffPKDF16_EviT5_lT_lS2_lS3_liPT4_
                                        ; -- End function
	.section	.AMDGPU.csdata,"",@progbits
; Kernel info:
; codeLenInByte = 768
; NumSgprs: 22
; NumVgprs: 17
; ScratchSize: 0
; MemoryBound: 0
; FloatMode: 240
; IeeeMode: 1
; LDSByteSize: 0 bytes/workgroup (compile time only)
; SGPRBlocks: 2
; VGPRBlocks: 2
; NumSGPRsForWavesPerEU: 22
; NumVGPRsForWavesPerEU: 17
; Occupancy: 16
; WaveLimiterHint : 0
; COMPUTE_PGM_RSRC2:SCRATCH_EN: 0
; COMPUTE_PGM_RSRC2:USER_SGPR: 15
; COMPUTE_PGM_RSRC2:TRAP_HANDLER: 0
; COMPUTE_PGM_RSRC2:TGID_X_EN: 1
; COMPUTE_PGM_RSRC2:TGID_Y_EN: 0
; COMPUTE_PGM_RSRC2:TGID_Z_EN: 0
; COMPUTE_PGM_RSRC2:TIDIG_COMP_CNT: 1
	.section	.text._ZL26rocblas_dot_kernel_inc1by2ILb1ELi1024ELi32ELb1EfPKDF16_fEviT4_llS2_lliPT5_PT3_,"axG",@progbits,_ZL26rocblas_dot_kernel_inc1by2ILb1ELi1024ELi32ELb1EfPKDF16_fEviT4_llS2_lliPT5_PT3_,comdat
	.globl	_ZL26rocblas_dot_kernel_inc1by2ILb1ELi1024ELi32ELb1EfPKDF16_fEviT4_llS2_lliPT5_PT3_ ; -- Begin function _ZL26rocblas_dot_kernel_inc1by2ILb1ELi1024ELi32ELb1EfPKDF16_fEviT4_llS2_lliPT5_PT3_
	.p2align	8
	.type	_ZL26rocblas_dot_kernel_inc1by2ILb1ELi1024ELi32ELb1EfPKDF16_fEviT4_llS2_lliPT5_PT3_,@function
_ZL26rocblas_dot_kernel_inc1by2ILb1ELi1024ELi32ELb1EfPKDF16_fEviT4_llS2_lliPT5_PT3_: ; @_ZL26rocblas_dot_kernel_inc1by2ILb1ELi1024ELi32ELb1EfPKDF16_fEviT4_llS2_lliPT5_PT3_
; %bb.0:
	s_mov_b32 s2, s15
	s_clause 0x5
	s_load_b128 s[8:11], s[0:1], 0x10
	s_load_b128 s[4:7], s[0:1], 0x28
	s_load_b32 s17, s[0:1], 0x0
	s_load_b64 s[12:13], s[0:1], 0x48
	s_load_b64 s[14:15], s[0:1], 0x8
	;; [unrolled: 1-line block ×3, first 2 shown]
	v_dual_mov_b32 v5, 0 :: v_dual_lshlrev_b32 v6, 1, v0
	s_mov_b32 s3, 0
	s_waitcnt lgkmcnt(0)
	s_mul_i32 s11, s2, s11
	s_mul_hi_u32 s18, s2, s10
	s_mul_i32 s7, s2, s7
	s_mul_hi_u32 s19, s2, s6
	s_add_i32 s16, s17, -1
	s_add_i32 s11, s18, s11
	s_mul_i32 s10, s2, s10
	s_add_i32 s7, s19, s7
	s_mul_i32 s6, s2, s6
	s_mov_b32 s18, exec_lo
	v_cmpx_gt_i32_e64 s16, v6
	s_cbranch_execz .LBB271_4
; %bb.1:
	s_lshl_b64 s[22:23], s[4:5], 1
	s_lshl_b64 s[20:21], s[6:7], 1
	v_lshlrev_b32_e32 v3, 2, v0
	s_add_u32 s19, s0, s22
	s_addc_u32 s22, s1, s23
	s_add_u32 s19, s19, s20
	s_addc_u32 s20, s22, s21
	v_add_co_u32 v1, s19, s19, v3
	s_delay_alu instid0(VALU_DEP_1)
	v_add_co_ci_u32_e64 v2, null, s20, 0, s19
	s_lshl_b64 s[20:21], s[8:9], 1
	s_lshl_b64 s[22:23], s[10:11], 1
	s_add_u32 s19, s14, s20
	s_addc_u32 s20, s15, s21
	s_add_u32 s19, s19, s22
	s_addc_u32 s20, s20, s23
	v_add_co_u32 v3, s19, s19, v3
	v_mov_b32_e32 v5, 0
	v_add_co_ci_u32_e64 v4, null, s20, 0, s19
	s_mov_b32 s19, s3
	s_mov_b32 s20, s3
	.p2align	6
.LBB271_2:                              ; =>This Inner Loop Header: Depth=1
	global_load_b32 v7, v[1:2], off
	global_load_b32 v8, v[3:4], off
	v_add_co_u32 v1, vcc_lo, 0x1000, v1
	v_add_nc_u32_e32 v6, 0x800, v6
	v_add_co_ci_u32_e32 v2, vcc_lo, 0, v2, vcc_lo
	v_add_co_u32 v3, vcc_lo, 0x1000, v3
	v_add_co_ci_u32_e32 v4, vcc_lo, 0, v4, vcc_lo
	s_add_i32 s21, s20, 1
	s_cmp_gt_u32 s20, 30
	s_cselect_b32 s20, -1, 0
	s_waitcnt vmcnt(0)
	v_dot2acc_f32_f16 v5, v7, v8
	v_cmp_le_i32_e32 vcc_lo, s16, v6
	s_or_b32 s20, s20, vcc_lo
	s_delay_alu instid0(SALU_CYCLE_1) | instskip(NEXT) | instid1(SALU_CYCLE_1)
	s_and_b32 s20, exec_lo, s20
	s_or_b32 s19, s20, s19
	s_mov_b32 s20, s21
	s_and_not1_b32 exec_lo, exec_lo, s19
	s_cbranch_execnz .LBB271_2
; %bb.3:
	s_or_b32 exec_lo, exec_lo, s19
.LBB271_4:
	s_delay_alu instid0(SALU_CYCLE_1) | instskip(SKIP_3) | instid1(SALU_CYCLE_1)
	s_or_b32 exec_lo, exec_lo, s18
	v_cmp_eq_u32_e32 vcc_lo, s16, v6
	s_bitcmp1_b32 s17, 0
	s_cselect_b32 s17, -1, 0
	s_and_b32 s17, s17, vcc_lo
	s_delay_alu instid0(SALU_CYCLE_1)
	s_and_saveexec_b32 s18, s17
	s_cbranch_execz .LBB271_6
; %bb.5:
	s_lshl_b64 s[10:11], s[10:11], 1
	s_mov_b32 s17, 0
	s_add_u32 s10, s14, s10
	s_addc_u32 s11, s15, s11
	s_lshl_b64 s[8:9], s[8:9], 1
	v_mov_b32_e32 v1, 0
	s_add_u32 s8, s10, s8
	s_addc_u32 s9, s11, s9
	s_lshl_b64 s[6:7], s[6:7], 1
	s_delay_alu instid0(SALU_CYCLE_1) | instskip(SKIP_2) | instid1(SALU_CYCLE_1)
	s_add_u32 s6, s0, s6
	s_addc_u32 s7, s1, s7
	s_lshl_b64 s[0:1], s[4:5], 1
	s_add_u32 s4, s6, s0
	s_addc_u32 s5, s7, s1
	s_lshl_b64 s[0:1], s[16:17], 1
	s_delay_alu instid0(SALU_CYCLE_1)
	s_add_u32 s4, s4, s0
	s_addc_u32 s5, s5, s1
	s_add_u32 s0, s8, s0
	s_addc_u32 s1, s9, s1
	s_clause 0x1
	global_load_u16 v2, v1, s[4:5]
	global_load_u16 v1, v1, s[0:1]
	s_waitcnt vmcnt(0)
	v_fma_mix_f32 v5, v2, v1, v5 op_sel_hi:[1,1,0]
.LBB271_6:
	s_or_b32 exec_lo, exec_lo, s18
	v_and_b32_e32 v7, 31, v0
	v_cmp_gt_u32_e32 vcc_lo, 32, v0
	s_delay_alu instid0(VALU_DEP_2)
	v_lshlrev_b32_e32 v1, 2, v7
	s_and_saveexec_b32 s0, vcc_lo
	s_cbranch_execz .LBB271_8
; %bb.7:
	v_mov_b32_e32 v2, 0
	ds_store_b32 v1, v2
.LBB271_8:
	s_or_b32 exec_lo, exec_lo, s0
	v_mbcnt_lo_u32_b32 v6, -1, 0
	s_mov_b32 s1, exec_lo
	s_waitcnt lgkmcnt(0)
	s_barrier
	buffer_gl0_inv
	v_cmp_gt_u32_e64 s0, 16, v6
	s_delay_alu instid0(VALU_DEP_1) | instskip(SKIP_1) | instid1(VALU_DEP_2)
	v_cndmask_b32_e64 v2, 0, 1, s0
	v_cmp_gt_u32_e64 s0, 24, v6
	v_lshlrev_b32_e32 v2, 4, v2
	s_delay_alu instid0(VALU_DEP_2) | instskip(SKIP_1) | instid1(VALU_DEP_3)
	v_cndmask_b32_e64 v3, 0, 1, s0
	v_cmp_gt_u32_e64 s0, 28, v6
	v_add_lshl_u32 v2, v2, v6, 2
	ds_bpermute_b32 v4, v2, v5
	s_waitcnt lgkmcnt(0)
	v_add_f32_e32 v5, v5, v4
	v_lshlrev_b32_e32 v3, 3, v3
	v_cndmask_b32_e64 v4, 0, 1, s0
	v_cmp_gt_u32_e64 s0, 30, v6
	s_delay_alu instid0(VALU_DEP_3) | instskip(NEXT) | instid1(VALU_DEP_3)
	v_add_lshl_u32 v3, v3, v6, 2
	v_lshlrev_b32_e32 v4, 2, v4
	ds_bpermute_b32 v8, v3, v5
	v_add_lshl_u32 v4, v4, v6, 2
	s_waitcnt lgkmcnt(0)
	v_add_f32_e32 v8, v5, v8
	v_cndmask_b32_e64 v5, 0, 1, s0
	v_cmp_ne_u32_e64 s0, 31, v6
	ds_bpermute_b32 v9, v4, v8
	v_lshlrev_b32_e32 v5, 1, v5
	s_delay_alu instid0(VALU_DEP_1) | instskip(SKIP_1) | instid1(VALU_DEP_1)
	v_add_lshl_u32 v5, v5, v6, 2
	v_add_co_ci_u32_e64 v6, s0, 0, v6, s0
	v_lshlrev_b32_e32 v6, 2, v6
	s_waitcnt lgkmcnt(0)
	v_add_f32_e32 v8, v8, v9
	ds_bpermute_b32 v9, v5, v8
	s_waitcnt lgkmcnt(0)
	v_add_f32_e32 v8, v8, v9
	ds_bpermute_b32 v9, v6, v8
	v_cmpx_eq_u32_e32 0, v7
	s_cbranch_execz .LBB271_10
; %bb.9:
	v_lshrrev_b32_e32 v7, 3, v0
	s_waitcnt lgkmcnt(0)
	s_delay_alu instid0(VALU_DEP_1)
	v_dual_add_f32 v8, v8, v9 :: v_dual_and_b32 v7, 0x7c, v7
	ds_store_b32 v7, v8
.LBB271_10:
	s_or_b32 exec_lo, exec_lo, s1
	v_mov_b32_e32 v7, 0
	s_waitcnt lgkmcnt(0)
	s_barrier
	buffer_gl0_inv
	s_and_saveexec_b32 s0, vcc_lo
	s_cbranch_execz .LBB271_12
; %bb.11:
	ds_load_b32 v7, v1
.LBB271_12:
	s_or_b32 exec_lo, exec_lo, s0
	s_and_saveexec_b32 s0, vcc_lo
	s_cbranch_execz .LBB271_14
; %bb.13:
	s_waitcnt lgkmcnt(0)
	ds_bpermute_b32 v1, v2, v7
	s_waitcnt lgkmcnt(0)
	v_add_f32_e32 v1, v7, v1
	ds_bpermute_b32 v2, v3, v1
	s_waitcnt lgkmcnt(0)
	v_add_f32_e32 v1, v1, v2
	;; [unrolled: 3-line block ×5, first 2 shown]
.LBB271_14:
	s_or_b32 exec_lo, exec_lo, s0
	s_delay_alu instid0(SALU_CYCLE_1)
	s_mov_b32 s0, exec_lo
	v_cmpx_eq_u32_e32 0, v0
	s_cbranch_execz .LBB271_16
; %bb.15:
	s_lshl_b64 s[0:1], s[2:3], 2
	v_mov_b32_e32 v0, 0
	s_add_u32 s0, s12, s0
	s_addc_u32 s1, s13, s1
	s_waitcnt lgkmcnt(0)
	global_store_b32 v0, v7, s[0:1]
.LBB271_16:
	s_nop 0
	s_sendmsg sendmsg(MSG_DEALLOC_VGPRS)
	s_endpgm
	.section	.rodata,"a",@progbits
	.p2align	6, 0x0
	.amdhsa_kernel _ZL26rocblas_dot_kernel_inc1by2ILb1ELi1024ELi32ELb1EfPKDF16_fEviT4_llS2_lliPT5_PT3_
		.amdhsa_group_segment_fixed_size 128
		.amdhsa_private_segment_fixed_size 0
		.amdhsa_kernarg_size 80
		.amdhsa_user_sgpr_count 14
		.amdhsa_user_sgpr_dispatch_ptr 0
		.amdhsa_user_sgpr_queue_ptr 0
		.amdhsa_user_sgpr_kernarg_segment_ptr 1
		.amdhsa_user_sgpr_dispatch_id 0
		.amdhsa_user_sgpr_private_segment_size 0
		.amdhsa_wavefront_size32 1
		.amdhsa_uses_dynamic_stack 0
		.amdhsa_enable_private_segment 0
		.amdhsa_system_sgpr_workgroup_id_x 1
		.amdhsa_system_sgpr_workgroup_id_y 0
		.amdhsa_system_sgpr_workgroup_id_z 1
		.amdhsa_system_sgpr_workgroup_info 0
		.amdhsa_system_vgpr_workitem_id 0
		.amdhsa_next_free_vgpr 10
		.amdhsa_next_free_sgpr 24
		.amdhsa_reserve_vcc 1
		.amdhsa_float_round_mode_32 0
		.amdhsa_float_round_mode_16_64 0
		.amdhsa_float_denorm_mode_32 3
		.amdhsa_float_denorm_mode_16_64 3
		.amdhsa_dx10_clamp 1
		.amdhsa_ieee_mode 1
		.amdhsa_fp16_overflow 0
		.amdhsa_workgroup_processor_mode 1
		.amdhsa_memory_ordered 1
		.amdhsa_forward_progress 0
		.amdhsa_shared_vgpr_count 0
		.amdhsa_exception_fp_ieee_invalid_op 0
		.amdhsa_exception_fp_denorm_src 0
		.amdhsa_exception_fp_ieee_div_zero 0
		.amdhsa_exception_fp_ieee_overflow 0
		.amdhsa_exception_fp_ieee_underflow 0
		.amdhsa_exception_fp_ieee_inexact 0
		.amdhsa_exception_int_div_zero 0
	.end_amdhsa_kernel
	.section	.text._ZL26rocblas_dot_kernel_inc1by2ILb1ELi1024ELi32ELb1EfPKDF16_fEviT4_llS2_lliPT5_PT3_,"axG",@progbits,_ZL26rocblas_dot_kernel_inc1by2ILb1ELi1024ELi32ELb1EfPKDF16_fEviT4_llS2_lliPT5_PT3_,comdat
.Lfunc_end271:
	.size	_ZL26rocblas_dot_kernel_inc1by2ILb1ELi1024ELi32ELb1EfPKDF16_fEviT4_llS2_lliPT5_PT3_, .Lfunc_end271-_ZL26rocblas_dot_kernel_inc1by2ILb1ELi1024ELi32ELb1EfPKDF16_fEviT4_llS2_lliPT5_PT3_
                                        ; -- End function
	.section	.AMDGPU.csdata,"",@progbits
; Kernel info:
; codeLenInByte = 1016
; NumSgprs: 26
; NumVgprs: 10
; ScratchSize: 0
; MemoryBound: 0
; FloatMode: 240
; IeeeMode: 1
; LDSByteSize: 128 bytes/workgroup (compile time only)
; SGPRBlocks: 3
; VGPRBlocks: 1
; NumSGPRsForWavesPerEU: 26
; NumVGPRsForWavesPerEU: 10
; Occupancy: 16
; WaveLimiterHint : 0
; COMPUTE_PGM_RSRC2:SCRATCH_EN: 0
; COMPUTE_PGM_RSRC2:USER_SGPR: 14
; COMPUTE_PGM_RSRC2:TRAP_HANDLER: 0
; COMPUTE_PGM_RSRC2:TGID_X_EN: 1
; COMPUTE_PGM_RSRC2:TGID_Y_EN: 0
; COMPUTE_PGM_RSRC2:TGID_Z_EN: 1
; COMPUTE_PGM_RSRC2:TIDIG_COMP_CNT: 0
	.section	.text._ZL18rocblas_dot_kernelIlLb1ELi1024ELi32ELb1EfPKDF16_fEviT5_lT_lS2_lS3_liPT6_PT4_,"axG",@progbits,_ZL18rocblas_dot_kernelIlLb1ELi1024ELi32ELb1EfPKDF16_fEviT5_lT_lS2_lS3_liPT6_PT4_,comdat
	.globl	_ZL18rocblas_dot_kernelIlLb1ELi1024ELi32ELb1EfPKDF16_fEviT5_lT_lS2_lS3_liPT6_PT4_ ; -- Begin function _ZL18rocblas_dot_kernelIlLb1ELi1024ELi32ELb1EfPKDF16_fEviT5_lT_lS2_lS3_liPT6_PT4_
	.p2align	8
	.type	_ZL18rocblas_dot_kernelIlLb1ELi1024ELi32ELb1EfPKDF16_fEviT5_lT_lS2_lS3_liPT6_PT4_,@function
_ZL18rocblas_dot_kernelIlLb1ELi1024ELi32ELb1EfPKDF16_fEviT5_lT_lS2_lS3_liPT6_PT4_: ; @_ZL18rocblas_dot_kernelIlLb1ELi1024ELi32ELb1EfPKDF16_fEviT5_lT_lS2_lS3_liPT6_PT4_
; %bb.0:
	s_clause 0x1
	s_load_b32 s18, s[0:1], 0x0
	s_load_b64 s[2:3], s[0:1], 0x58
	v_mov_b32_e32 v6, 0
	s_mov_b32 s16, s15
	s_mov_b32 s17, 0
	s_mov_b32 s19, exec_lo
	s_waitcnt lgkmcnt(0)
	v_cmpx_gt_i32_e64 s18, v0
	s_cbranch_execz .LBB272_4
; %bb.1:
	s_clause 0x4
	s_load_b32 s24, s[0:1], 0x60
	s_load_b256 s[4:11], s[0:1], 0x20
	s_load_b128 s[12:15], s[0:1], 0x10
	s_load_b64 s[20:21], s[0:1], 0x40
	s_load_b64 s[22:23], s[0:1], 0x8
	s_waitcnt lgkmcnt(0)
	s_lshl_b32 s1, s24, 10
	v_mad_u64_u32 v[3:4], null, s10, v0, 0
	v_mad_u64_u32 v[1:2], null, s14, v0, 0
	v_or_b32_e32 v5, s1, v0
	s_mul_i32 s0, s5, s16
	s_mul_hi_u32 s5, s4, s16
	s_mul_i32 s4, s4, s16
	s_add_i32 s5, s5, s0
	s_lshl_b64 s[12:13], s[12:13], 1
	s_delay_alu instid0(VALU_DEP_2)
	v_mad_u64_u32 v[6:7], null, s15, v0, v[2:3]
	v_mad_u64_u32 v[7:8], null, s11, v0, v[4:5]
	s_lshl_b64 s[4:5], s[4:5], 1
	s_add_u32 s12, s22, s12
	s_addc_u32 s13, s23, s13
	s_add_u32 s22, s12, s4
	s_delay_alu instid0(VALU_DEP_2)
	v_mov_b32_e32 v2, v6
	s_addc_u32 s23, s13, s5
	s_ashr_i32 s4, s1, 31
	s_mul_hi_u32 s0, s14, s1
	s_mul_i32 s5, s14, s4
	v_mov_b32_e32 v4, v7
	s_mul_i32 s21, s21, s16
	s_mul_hi_u32 s25, s20, s16
	s_mul_i32 s26, s15, s1
	s_add_i32 s0, s0, s5
	v_lshlrev_b64 v[1:2], 1, v[1:2]
	s_mul_i32 s20, s20, s16
	s_mul_i32 s24, s14, s1
	s_add_i32 s21, s25, s21
	s_add_i32 s25, s0, s26
	s_lshl_b64 s[8:9], s[8:9], 1
	v_lshlrev_b64 v[3:4], 1, v[3:4]
	s_lshl_b64 s[12:13], s[20:21], 1
	s_mul_i32 s0, s10, s4
	s_lshl_b64 s[4:5], s[24:25], 1
	s_add_u32 s6, s6, s8
	s_addc_u32 s7, s7, s9
	v_add_co_u32 v1, vcc_lo, s22, v1
	s_add_u32 s6, s6, s12
	v_add_co_ci_u32_e32 v2, vcc_lo, s23, v2, vcc_lo
	s_mul_hi_u32 s8, s10, s1
	s_addc_u32 s7, s7, s13
	v_add_co_u32 v3, vcc_lo, s6, v3
	s_add_i32 s0, s8, s0
	s_mul_i32 s8, s11, s1
	v_add_co_ci_u32_e32 v4, vcc_lo, s7, v4, vcc_lo
	v_mov_b32_e32 v6, 0
	s_add_i32 s7, s0, s8
	s_mul_i32 s6, s10, s1
	s_mov_b32 s8, s17
	s_lshl_b64 s[6:7], s[6:7], 1
	s_mov_b32 s9, s17
	.p2align	6
.LBB272_2:                              ; =>This Inner Loop Header: Depth=1
	global_load_u16 v7, v[3:4], off
	global_load_u16 v8, v[1:2], off
	v_add_co_u32 v1, s0, v1, s4
	s_delay_alu instid0(VALU_DEP_1)
	v_add_co_ci_u32_e64 v2, s0, s5, v2, s0
	s_add_i32 s10, s9, 1
	v_cmp_le_i32_e32 vcc_lo, s18, v5
	v_add_co_u32 v3, s0, v3, s6
	s_cmp_gt_u32 s9, 30
	v_add_co_ci_u32_e64 v4, s0, s7, v4, s0
	s_cselect_b32 s0, -1, 0
	v_add_nc_u32_e32 v5, s1, v5
	s_or_b32 s0, s0, vcc_lo
	s_mov_b32 s9, s10
	s_and_b32 s0, exec_lo, s0
	s_delay_alu instid0(SALU_CYCLE_1)
	s_or_b32 s8, s0, s8
	s_waitcnt vmcnt(0)
	v_fma_mix_f32 v6, v7, v8, v6 op_sel_hi:[1,1,0]
	s_and_not1_b32 exec_lo, exec_lo, s8
	s_cbranch_execnz .LBB272_2
; %bb.3:
	s_or_b32 exec_lo, exec_lo, s8
.LBB272_4:
	s_delay_alu instid0(SALU_CYCLE_1) | instskip(SKIP_2) | instid1(VALU_DEP_2)
	s_or_b32 exec_lo, exec_lo, s19
	v_and_b32_e32 v7, 31, v0
	v_cmp_gt_u32_e32 vcc_lo, 32, v0
	v_lshlrev_b32_e32 v1, 2, v7
	s_and_saveexec_b32 s0, vcc_lo
	s_cbranch_execz .LBB272_6
; %bb.5:
	v_mov_b32_e32 v2, 0
	ds_store_b32 v1, v2
.LBB272_6:
	s_or_b32 exec_lo, exec_lo, s0
	v_mbcnt_lo_u32_b32 v8, -1, 0
	s_mov_b32 s1, exec_lo
	s_waitcnt lgkmcnt(0)
	s_barrier
	buffer_gl0_inv
	v_cmp_gt_u32_e64 s0, 16, v8
	s_delay_alu instid0(VALU_DEP_1) | instskip(SKIP_1) | instid1(VALU_DEP_2)
	v_cndmask_b32_e64 v2, 0, 1, s0
	v_cmp_gt_u32_e64 s0, 24, v8
	v_lshlrev_b32_e32 v2, 4, v2
	s_delay_alu instid0(VALU_DEP_2) | instskip(SKIP_1) | instid1(VALU_DEP_3)
	v_cndmask_b32_e64 v3, 0, 1, s0
	v_cmp_gt_u32_e64 s0, 28, v8
	v_add_lshl_u32 v2, v2, v8, 2
	ds_bpermute_b32 v4, v2, v6
	s_waitcnt lgkmcnt(0)
	v_add_f32_e32 v5, v6, v4
	v_lshlrev_b32_e32 v3, 3, v3
	v_cndmask_b32_e64 v4, 0, 1, s0
	v_cmp_gt_u32_e64 s0, 30, v8
	s_delay_alu instid0(VALU_DEP_3) | instskip(NEXT) | instid1(VALU_DEP_3)
	v_add_lshl_u32 v3, v3, v8, 2
	v_lshlrev_b32_e32 v4, 2, v4
	ds_bpermute_b32 v6, v3, v5
	v_add_lshl_u32 v4, v4, v8, 2
	s_waitcnt lgkmcnt(0)
	v_add_f32_e32 v6, v5, v6
	v_cndmask_b32_e64 v5, 0, 1, s0
	v_cmp_ne_u32_e64 s0, 31, v8
	ds_bpermute_b32 v9, v4, v6
	v_lshlrev_b32_e32 v5, 1, v5
	v_add_co_ci_u32_e64 v10, s0, 0, v8, s0
	s_delay_alu instid0(VALU_DEP_2)
	v_add_lshl_u32 v5, v5, v8, 2
	s_waitcnt lgkmcnt(0)
	v_add_f32_e32 v6, v6, v9
	ds_bpermute_b32 v9, v5, v6
	s_waitcnt lgkmcnt(0)
	v_add_f32_e32 v8, v6, v9
	v_lshlrev_b32_e32 v6, 2, v10
	ds_bpermute_b32 v9, v6, v8
	v_cmpx_eq_u32_e32 0, v7
	s_cbranch_execz .LBB272_8
; %bb.7:
	v_lshrrev_b32_e32 v7, 3, v0
	s_waitcnt lgkmcnt(0)
	s_delay_alu instid0(VALU_DEP_1)
	v_dual_add_f32 v8, v8, v9 :: v_dual_and_b32 v7, 0x7c, v7
	ds_store_b32 v7, v8
.LBB272_8:
	s_or_b32 exec_lo, exec_lo, s1
	v_mov_b32_e32 v7, 0
	s_waitcnt lgkmcnt(0)
	s_barrier
	buffer_gl0_inv
	s_and_saveexec_b32 s0, vcc_lo
	s_cbranch_execz .LBB272_10
; %bb.9:
	ds_load_b32 v7, v1
.LBB272_10:
	s_or_b32 exec_lo, exec_lo, s0
	s_and_saveexec_b32 s0, vcc_lo
	s_cbranch_execz .LBB272_12
; %bb.11:
	s_waitcnt lgkmcnt(0)
	ds_bpermute_b32 v1, v2, v7
	s_waitcnt lgkmcnt(0)
	v_add_f32_e32 v1, v7, v1
	ds_bpermute_b32 v2, v3, v1
	s_waitcnt lgkmcnt(0)
	v_add_f32_e32 v1, v1, v2
	;; [unrolled: 3-line block ×5, first 2 shown]
.LBB272_12:
	s_or_b32 exec_lo, exec_lo, s0
	s_delay_alu instid0(SALU_CYCLE_1)
	s_mov_b32 s0, exec_lo
	v_cmpx_eq_u32_e32 0, v0
	s_cbranch_execz .LBB272_14
; %bb.13:
	s_lshl_b64 s[0:1], s[16:17], 2
	v_mov_b32_e32 v0, 0
	s_add_u32 s0, s2, s0
	s_addc_u32 s1, s3, s1
	s_waitcnt lgkmcnt(0)
	global_store_b32 v0, v7, s[0:1]
.LBB272_14:
	s_nop 0
	s_sendmsg sendmsg(MSG_DEALLOC_VGPRS)
	s_endpgm
	.section	.rodata,"a",@progbits
	.p2align	6, 0x0
	.amdhsa_kernel _ZL18rocblas_dot_kernelIlLb1ELi1024ELi32ELb1EfPKDF16_fEviT5_lT_lS2_lS3_liPT6_PT4_
		.amdhsa_group_segment_fixed_size 128
		.amdhsa_private_segment_fixed_size 0
		.amdhsa_kernarg_size 352
		.amdhsa_user_sgpr_count 14
		.amdhsa_user_sgpr_dispatch_ptr 0
		.amdhsa_user_sgpr_queue_ptr 0
		.amdhsa_user_sgpr_kernarg_segment_ptr 1
		.amdhsa_user_sgpr_dispatch_id 0
		.amdhsa_user_sgpr_private_segment_size 0
		.amdhsa_wavefront_size32 1
		.amdhsa_uses_dynamic_stack 0
		.amdhsa_enable_private_segment 0
		.amdhsa_system_sgpr_workgroup_id_x 1
		.amdhsa_system_sgpr_workgroup_id_y 0
		.amdhsa_system_sgpr_workgroup_id_z 1
		.amdhsa_system_sgpr_workgroup_info 0
		.amdhsa_system_vgpr_workitem_id 0
		.amdhsa_next_free_vgpr 11
		.amdhsa_next_free_sgpr 27
		.amdhsa_reserve_vcc 1
		.amdhsa_float_round_mode_32 0
		.amdhsa_float_round_mode_16_64 0
		.amdhsa_float_denorm_mode_32 3
		.amdhsa_float_denorm_mode_16_64 3
		.amdhsa_dx10_clamp 1
		.amdhsa_ieee_mode 1
		.amdhsa_fp16_overflow 0
		.amdhsa_workgroup_processor_mode 1
		.amdhsa_memory_ordered 1
		.amdhsa_forward_progress 0
		.amdhsa_shared_vgpr_count 0
		.amdhsa_exception_fp_ieee_invalid_op 0
		.amdhsa_exception_fp_denorm_src 0
		.amdhsa_exception_fp_ieee_div_zero 0
		.amdhsa_exception_fp_ieee_overflow 0
		.amdhsa_exception_fp_ieee_underflow 0
		.amdhsa_exception_fp_ieee_inexact 0
		.amdhsa_exception_int_div_zero 0
	.end_amdhsa_kernel
	.section	.text._ZL18rocblas_dot_kernelIlLb1ELi1024ELi32ELb1EfPKDF16_fEviT5_lT_lS2_lS3_liPT6_PT4_,"axG",@progbits,_ZL18rocblas_dot_kernelIlLb1ELi1024ELi32ELb1EfPKDF16_fEviT5_lT_lS2_lS3_liPT6_PT4_,comdat
.Lfunc_end272:
	.size	_ZL18rocblas_dot_kernelIlLb1ELi1024ELi32ELb1EfPKDF16_fEviT5_lT_lS2_lS3_liPT6_PT4_, .Lfunc_end272-_ZL18rocblas_dot_kernelIlLb1ELi1024ELi32ELb1EfPKDF16_fEviT5_lT_lS2_lS3_liPT6_PT4_
                                        ; -- End function
	.section	.AMDGPU.csdata,"",@progbits
; Kernel info:
; codeLenInByte = 992
; NumSgprs: 29
; NumVgprs: 11
; ScratchSize: 0
; MemoryBound: 0
; FloatMode: 240
; IeeeMode: 1
; LDSByteSize: 128 bytes/workgroup (compile time only)
; SGPRBlocks: 3
; VGPRBlocks: 1
; NumSGPRsForWavesPerEU: 29
; NumVGPRsForWavesPerEU: 11
; Occupancy: 16
; WaveLimiterHint : 0
; COMPUTE_PGM_RSRC2:SCRATCH_EN: 0
; COMPUTE_PGM_RSRC2:USER_SGPR: 14
; COMPUTE_PGM_RSRC2:TRAP_HANDLER: 0
; COMPUTE_PGM_RSRC2:TGID_X_EN: 1
; COMPUTE_PGM_RSRC2:TGID_Y_EN: 0
; COMPUTE_PGM_RSRC2:TGID_Z_EN: 1
; COMPUTE_PGM_RSRC2:TIDIG_COMP_CNT: 0
	.section	.text._ZL24rocblas_dot_kernel_magsqIlLb1ELi1024ELi32ELb1EfPKDF16_fEviT5_lT_liPT6_PT4_,"axG",@progbits,_ZL24rocblas_dot_kernel_magsqIlLb1ELi1024ELi32ELb1EfPKDF16_fEviT5_lT_liPT6_PT4_,comdat
	.globl	_ZL24rocblas_dot_kernel_magsqIlLb1ELi1024ELi32ELb1EfPKDF16_fEviT5_lT_liPT6_PT4_ ; -- Begin function _ZL24rocblas_dot_kernel_magsqIlLb1ELi1024ELi32ELb1EfPKDF16_fEviT5_lT_liPT6_PT4_
	.p2align	8
	.type	_ZL24rocblas_dot_kernel_magsqIlLb1ELi1024ELi32ELb1EfPKDF16_fEviT5_lT_liPT6_PT4_,@function
_ZL24rocblas_dot_kernel_magsqIlLb1ELi1024ELi32ELb1EfPKDF16_fEviT5_lT_liPT6_PT4_: ; @_ZL24rocblas_dot_kernel_magsqIlLb1ELi1024ELi32ELb1EfPKDF16_fEviT5_lT_liPT6_PT4_
; %bb.0:
	s_clause 0x1
	s_load_b32 s8, s[0:1], 0x0
	s_load_b64 s[2:3], s[0:1], 0x38
	v_mov_b32_e32 v3, 0
	s_mov_b32 s4, s15
	s_mov_b32 s5, 0
	s_mov_b32 s9, exec_lo
	s_waitcnt lgkmcnt(0)
	v_cmpx_gt_i32_e64 s8, v0
	s_cbranch_execz .LBB273_4
; %bb.1:
	s_clause 0x3
	s_load_b128 s[12:15], s[0:1], 0x10
	s_load_b32 s16, s[0:1], 0x40
	s_load_b64 s[6:7], s[0:1], 0x20
	s_load_b64 s[10:11], s[0:1], 0x8
	s_waitcnt lgkmcnt(0)
	v_mad_u64_u32 v[1:2], null, s14, v0, 0
	s_mul_i32 s0, s7, s4
	s_mul_hi_u32 s7, s6, s4
	s_mul_i32 s6, s6, s4
	s_add_i32 s7, s7, s0
	s_lshl_b64 s[12:13], s[12:13], 1
	s_lshl_b32 s1, s16, 10
	s_delay_alu instid0(VALU_DEP_1)
	v_mad_u64_u32 v[3:4], null, s15, v0, v[2:3]
	s_lshl_b64 s[6:7], s[6:7], 1
	s_add_u32 s0, s10, s12
	s_addc_u32 s10, s11, s13
	s_add_u32 s0, s0, s6
	s_addc_u32 s10, s10, s7
	s_ashr_i32 s6, s1, 31
	s_delay_alu instid0(VALU_DEP_1) | instskip(SKIP_3) | instid1(VALU_DEP_1)
	v_dual_mov_b32 v2, v3 :: v_dual_mov_b32 v3, 0
	s_mul_hi_u32 s7, s14, s1
	s_mul_i32 s6, s14, s6
	s_mul_i32 s11, s15, s1
	v_lshlrev_b64 v[1:2], 1, v[1:2]
	s_add_i32 s7, s7, s6
	v_or_b32_e32 v4, s1, v0
	s_mul_i32 s6, s14, s1
	s_add_i32 s7, s7, s11
	s_mov_b32 s11, s5
	v_add_co_u32 v1, vcc_lo, s0, v1
	v_add_co_ci_u32_e32 v2, vcc_lo, s10, v2, vcc_lo
	s_lshl_b64 s[6:7], s[6:7], 1
	s_mov_b32 s10, s5
	.p2align	6
.LBB273_2:                              ; =>This Inner Loop Header: Depth=1
	global_load_u16 v5, v[1:2], off
	s_add_i32 s12, s11, 1
	v_cmp_le_i32_e32 vcc_lo, s8, v4
	v_add_co_u32 v1, s0, v1, s6
	s_cmp_gt_u32 s11, 30
	v_add_co_ci_u32_e64 v2, s0, s7, v2, s0
	s_cselect_b32 s0, -1, 0
	v_add_nc_u32_e32 v4, s1, v4
	s_or_b32 s0, s0, vcc_lo
	s_mov_b32 s11, s12
	s_and_b32 s0, exec_lo, s0
	s_delay_alu instid0(SALU_CYCLE_1)
	s_or_b32 s10, s0, s10
	s_waitcnt vmcnt(0)
	v_fma_mix_f32 v3, v5, v5, v3 op_sel_hi:[1,1,0]
	s_and_not1_b32 exec_lo, exec_lo, s10
	s_cbranch_execnz .LBB273_2
; %bb.3:
	s_or_b32 exec_lo, exec_lo, s10
.LBB273_4:
	s_delay_alu instid0(SALU_CYCLE_1) | instskip(SKIP_2) | instid1(VALU_DEP_2)
	s_or_b32 exec_lo, exec_lo, s9
	v_and_b32_e32 v7, 31, v0
	v_cmp_gt_u32_e32 vcc_lo, 32, v0
	v_lshlrev_b32_e32 v1, 2, v7
	s_and_saveexec_b32 s0, vcc_lo
	s_cbranch_execz .LBB273_6
; %bb.5:
	v_mov_b32_e32 v2, 0
	ds_store_b32 v1, v2
.LBB273_6:
	s_or_b32 exec_lo, exec_lo, s0
	v_mbcnt_lo_u32_b32 v6, -1, 0
	s_mov_b32 s1, exec_lo
	s_waitcnt lgkmcnt(0)
	s_barrier
	buffer_gl0_inv
	v_cmp_gt_u32_e64 s0, 16, v6
	s_delay_alu instid0(VALU_DEP_1) | instskip(SKIP_1) | instid1(VALU_DEP_2)
	v_cndmask_b32_e64 v2, 0, 1, s0
	v_cmp_gt_u32_e64 s0, 24, v6
	v_lshlrev_b32_e32 v2, 4, v2
	s_delay_alu instid0(VALU_DEP_2) | instskip(SKIP_1) | instid1(VALU_DEP_3)
	v_cndmask_b32_e64 v4, 0, 1, s0
	v_cmp_gt_u32_e64 s0, 28, v6
	v_add_lshl_u32 v2, v2, v6, 2
	s_delay_alu instid0(VALU_DEP_3)
	v_lshlrev_b32_e32 v4, 3, v4
	ds_bpermute_b32 v5, v2, v3
	v_add_lshl_u32 v4, v4, v6, 2
	s_waitcnt lgkmcnt(0)
	v_add_f32_e32 v5, v3, v5
	v_cndmask_b32_e64 v3, 0, 1, s0
	v_cmp_gt_u32_e64 s0, 30, v6
	ds_bpermute_b32 v8, v4, v5
	s_waitcnt lgkmcnt(0)
	v_dual_add_f32 v8, v5, v8 :: v_dual_lshlrev_b32 v3, 2, v3
	s_delay_alu instid0(VALU_DEP_1) | instskip(SKIP_4) | instid1(VALU_DEP_1)
	v_add_lshl_u32 v3, v3, v6, 2
	v_cndmask_b32_e64 v5, 0, 1, s0
	v_cmp_ne_u32_e64 s0, 31, v6
	ds_bpermute_b32 v9, v3, v8
	v_lshlrev_b32_e32 v5, 1, v5
	v_add_lshl_u32 v5, v5, v6, 2
	v_add_co_ci_u32_e64 v6, s0, 0, v6, s0
	s_delay_alu instid0(VALU_DEP_1)
	v_lshlrev_b32_e32 v6, 2, v6
	s_waitcnt lgkmcnt(0)
	v_add_f32_e32 v8, v8, v9
	ds_bpermute_b32 v9, v5, v8
	s_waitcnt lgkmcnt(0)
	v_add_f32_e32 v8, v8, v9
	ds_bpermute_b32 v9, v6, v8
	v_cmpx_eq_u32_e32 0, v7
	s_cbranch_execz .LBB273_8
; %bb.7:
	v_lshrrev_b32_e32 v7, 3, v0
	s_waitcnt lgkmcnt(0)
	s_delay_alu instid0(VALU_DEP_1)
	v_dual_add_f32 v8, v8, v9 :: v_dual_and_b32 v7, 0x7c, v7
	ds_store_b32 v7, v8
.LBB273_8:
	s_or_b32 exec_lo, exec_lo, s1
	v_mov_b32_e32 v7, 0
	s_waitcnt lgkmcnt(0)
	s_barrier
	buffer_gl0_inv
	s_and_saveexec_b32 s0, vcc_lo
	s_cbranch_execz .LBB273_10
; %bb.9:
	ds_load_b32 v7, v1
.LBB273_10:
	s_or_b32 exec_lo, exec_lo, s0
	s_and_saveexec_b32 s0, vcc_lo
	s_cbranch_execz .LBB273_12
; %bb.11:
	s_waitcnt lgkmcnt(0)
	ds_bpermute_b32 v1, v2, v7
	s_waitcnt lgkmcnt(0)
	v_add_f32_e32 v1, v7, v1
	ds_bpermute_b32 v2, v4, v1
	s_waitcnt lgkmcnt(0)
	v_add_f32_e32 v1, v1, v2
	;; [unrolled: 3-line block ×5, first 2 shown]
.LBB273_12:
	s_or_b32 exec_lo, exec_lo, s0
	s_delay_alu instid0(SALU_CYCLE_1)
	s_mov_b32 s0, exec_lo
	v_cmpx_eq_u32_e32 0, v0
	s_cbranch_execz .LBB273_14
; %bb.13:
	s_lshl_b64 s[0:1], s[4:5], 2
	v_mov_b32_e32 v0, 0
	s_add_u32 s0, s2, s0
	s_addc_u32 s1, s3, s1
	s_waitcnt lgkmcnt(0)
	global_store_b32 v0, v7, s[0:1]
.LBB273_14:
	s_nop 0
	s_sendmsg sendmsg(MSG_DEALLOC_VGPRS)
	s_endpgm
	.section	.rodata,"a",@progbits
	.p2align	6, 0x0
	.amdhsa_kernel _ZL24rocblas_dot_kernel_magsqIlLb1ELi1024ELi32ELb1EfPKDF16_fEviT5_lT_liPT6_PT4_
		.amdhsa_group_segment_fixed_size 128
		.amdhsa_private_segment_fixed_size 0
		.amdhsa_kernarg_size 320
		.amdhsa_user_sgpr_count 14
		.amdhsa_user_sgpr_dispatch_ptr 0
		.amdhsa_user_sgpr_queue_ptr 0
		.amdhsa_user_sgpr_kernarg_segment_ptr 1
		.amdhsa_user_sgpr_dispatch_id 0
		.amdhsa_user_sgpr_private_segment_size 0
		.amdhsa_wavefront_size32 1
		.amdhsa_uses_dynamic_stack 0
		.amdhsa_enable_private_segment 0
		.amdhsa_system_sgpr_workgroup_id_x 1
		.amdhsa_system_sgpr_workgroup_id_y 0
		.amdhsa_system_sgpr_workgroup_id_z 1
		.amdhsa_system_sgpr_workgroup_info 0
		.amdhsa_system_vgpr_workitem_id 0
		.amdhsa_next_free_vgpr 10
		.amdhsa_next_free_sgpr 17
		.amdhsa_reserve_vcc 1
		.amdhsa_float_round_mode_32 0
		.amdhsa_float_round_mode_16_64 0
		.amdhsa_float_denorm_mode_32 3
		.amdhsa_float_denorm_mode_16_64 3
		.amdhsa_dx10_clamp 1
		.amdhsa_ieee_mode 1
		.amdhsa_fp16_overflow 0
		.amdhsa_workgroup_processor_mode 1
		.amdhsa_memory_ordered 1
		.amdhsa_forward_progress 0
		.amdhsa_shared_vgpr_count 0
		.amdhsa_exception_fp_ieee_invalid_op 0
		.amdhsa_exception_fp_denorm_src 0
		.amdhsa_exception_fp_ieee_div_zero 0
		.amdhsa_exception_fp_ieee_overflow 0
		.amdhsa_exception_fp_ieee_underflow 0
		.amdhsa_exception_fp_ieee_inexact 0
		.amdhsa_exception_int_div_zero 0
	.end_amdhsa_kernel
	.section	.text._ZL24rocblas_dot_kernel_magsqIlLb1ELi1024ELi32ELb1EfPKDF16_fEviT5_lT_liPT6_PT4_,"axG",@progbits,_ZL24rocblas_dot_kernel_magsqIlLb1ELi1024ELi32ELb1EfPKDF16_fEviT5_lT_liPT6_PT4_,comdat
.Lfunc_end273:
	.size	_ZL24rocblas_dot_kernel_magsqIlLb1ELi1024ELi32ELb1EfPKDF16_fEviT5_lT_liPT6_PT4_, .Lfunc_end273-_ZL24rocblas_dot_kernel_magsqIlLb1ELi1024ELi32ELb1EfPKDF16_fEviT5_lT_liPT6_PT4_
                                        ; -- End function
	.section	.AMDGPU.csdata,"",@progbits
; Kernel info:
; codeLenInByte = 852
; NumSgprs: 19
; NumVgprs: 10
; ScratchSize: 0
; MemoryBound: 0
; FloatMode: 240
; IeeeMode: 1
; LDSByteSize: 128 bytes/workgroup (compile time only)
; SGPRBlocks: 2
; VGPRBlocks: 1
; NumSGPRsForWavesPerEU: 19
; NumVGPRsForWavesPerEU: 10
; Occupancy: 16
; WaveLimiterHint : 0
; COMPUTE_PGM_RSRC2:SCRATCH_EN: 0
; COMPUTE_PGM_RSRC2:USER_SGPR: 14
; COMPUTE_PGM_RSRC2:TRAP_HANDLER: 0
; COMPUTE_PGM_RSRC2:TGID_X_EN: 1
; COMPUTE_PGM_RSRC2:TGID_Y_EN: 0
; COMPUTE_PGM_RSRC2:TGID_Z_EN: 1
; COMPUTE_PGM_RSRC2:TIDIG_COMP_CNT: 0
	.section	.text._ZL38rocblas_dot_kernel_gfx942_float_doubleIlLi1024EfPKDF16_fEviT2_lT_lS2_lS3_lPT3_PT1_,"axG",@progbits,_ZL38rocblas_dot_kernel_gfx942_float_doubleIlLi1024EfPKDF16_fEviT2_lT_lS2_lS3_lPT3_PT1_,comdat
	.globl	_ZL38rocblas_dot_kernel_gfx942_float_doubleIlLi1024EfPKDF16_fEviT2_lT_lS2_lS3_lPT3_PT1_ ; -- Begin function _ZL38rocblas_dot_kernel_gfx942_float_doubleIlLi1024EfPKDF16_fEviT2_lT_lS2_lS3_lPT3_PT1_
	.p2align	8
	.type	_ZL38rocblas_dot_kernel_gfx942_float_doubleIlLi1024EfPKDF16_fEviT2_lT_lS2_lS3_lPT3_PT1_,@function
_ZL38rocblas_dot_kernel_gfx942_float_doubleIlLi1024EfPKDF16_fEviT2_lT_lS2_lS3_lPT3_PT1_: ; @_ZL38rocblas_dot_kernel_gfx942_float_doubleIlLi1024EfPKDF16_fEviT2_lT_lS2_lS3_lPT3_PT1_
; %bb.0:
	s_endpgm
	.section	.rodata,"a",@progbits
	.p2align	6, 0x0
	.amdhsa_kernel _ZL38rocblas_dot_kernel_gfx942_float_doubleIlLi1024EfPKDF16_fEviT2_lT_lS2_lS3_lPT3_PT1_
		.amdhsa_group_segment_fixed_size 0
		.amdhsa_private_segment_fixed_size 0
		.amdhsa_kernarg_size 88
		.amdhsa_user_sgpr_count 15
		.amdhsa_user_sgpr_dispatch_ptr 0
		.amdhsa_user_sgpr_queue_ptr 0
		.amdhsa_user_sgpr_kernarg_segment_ptr 1
		.amdhsa_user_sgpr_dispatch_id 0
		.amdhsa_user_sgpr_private_segment_size 0
		.amdhsa_wavefront_size32 1
		.amdhsa_uses_dynamic_stack 0
		.amdhsa_enable_private_segment 0
		.amdhsa_system_sgpr_workgroup_id_x 1
		.amdhsa_system_sgpr_workgroup_id_y 0
		.amdhsa_system_sgpr_workgroup_id_z 0
		.amdhsa_system_sgpr_workgroup_info 0
		.amdhsa_system_vgpr_workitem_id 0
		.amdhsa_next_free_vgpr 1
		.amdhsa_next_free_sgpr 1
		.amdhsa_reserve_vcc 0
		.amdhsa_float_round_mode_32 0
		.amdhsa_float_round_mode_16_64 0
		.amdhsa_float_denorm_mode_32 3
		.amdhsa_float_denorm_mode_16_64 3
		.amdhsa_dx10_clamp 1
		.amdhsa_ieee_mode 1
		.amdhsa_fp16_overflow 0
		.amdhsa_workgroup_processor_mode 1
		.amdhsa_memory_ordered 1
		.amdhsa_forward_progress 0
		.amdhsa_shared_vgpr_count 0
		.amdhsa_exception_fp_ieee_invalid_op 0
		.amdhsa_exception_fp_denorm_src 0
		.amdhsa_exception_fp_ieee_div_zero 0
		.amdhsa_exception_fp_ieee_overflow 0
		.amdhsa_exception_fp_ieee_underflow 0
		.amdhsa_exception_fp_ieee_inexact 0
		.amdhsa_exception_int_div_zero 0
	.end_amdhsa_kernel
	.section	.text._ZL38rocblas_dot_kernel_gfx942_float_doubleIlLi1024EfPKDF16_fEviT2_lT_lS2_lS3_lPT3_PT1_,"axG",@progbits,_ZL38rocblas_dot_kernel_gfx942_float_doubleIlLi1024EfPKDF16_fEviT2_lT_lS2_lS3_lPT3_PT1_,comdat
.Lfunc_end274:
	.size	_ZL38rocblas_dot_kernel_gfx942_float_doubleIlLi1024EfPKDF16_fEviT2_lT_lS2_lS3_lPT3_PT1_, .Lfunc_end274-_ZL38rocblas_dot_kernel_gfx942_float_doubleIlLi1024EfPKDF16_fEviT2_lT_lS2_lS3_lPT3_PT1_
                                        ; -- End function
	.section	.AMDGPU.csdata,"",@progbits
; Kernel info:
; codeLenInByte = 4
; NumSgprs: 0
; NumVgprs: 0
; ScratchSize: 0
; MemoryBound: 0
; FloatMode: 240
; IeeeMode: 1
; LDSByteSize: 0 bytes/workgroup (compile time only)
; SGPRBlocks: 0
; VGPRBlocks: 0
; NumSGPRsForWavesPerEU: 1
; NumVGPRsForWavesPerEU: 1
; Occupancy: 16
; WaveLimiterHint : 0
; COMPUTE_PGM_RSRC2:SCRATCH_EN: 0
; COMPUTE_PGM_RSRC2:USER_SGPR: 15
; COMPUTE_PGM_RSRC2:TRAP_HANDLER: 0
; COMPUTE_PGM_RSRC2:TGID_X_EN: 1
; COMPUTE_PGM_RSRC2:TGID_Y_EN: 0
; COMPUTE_PGM_RSRC2:TGID_Z_EN: 0
; COMPUTE_PGM_RSRC2:TIDIG_COMP_CNT: 0
	.section	.text._ZL30rocblas_reduction_kernel_part2ILi1024ELi4E25rocblas_finalize_identityffEviPT2_PT3_,"axG",@progbits,_ZL30rocblas_reduction_kernel_part2ILi1024ELi4E25rocblas_finalize_identityffEviPT2_PT3_,comdat
	.globl	_ZL30rocblas_reduction_kernel_part2ILi1024ELi4E25rocblas_finalize_identityffEviPT2_PT3_ ; -- Begin function _ZL30rocblas_reduction_kernel_part2ILi1024ELi4E25rocblas_finalize_identityffEviPT2_PT3_
	.p2align	8
	.type	_ZL30rocblas_reduction_kernel_part2ILi1024ELi4E25rocblas_finalize_identityffEviPT2_PT3_,@function
_ZL30rocblas_reduction_kernel_part2ILi1024ELi4E25rocblas_finalize_identityffEviPT2_PT3_: ; @_ZL30rocblas_reduction_kernel_part2ILi1024ELi4E25rocblas_finalize_identityffEviPT2_PT3_
; %bb.0:
	s_clause 0x1
	s_load_b32 s10, s[0:1], 0x0
	s_load_b128 s[4:7], s[0:1], 0x8
	v_dual_mov_b32 v3, 0 :: v_dual_lshlrev_b32 v4, 2, v0
	s_mov_b32 s2, s15
	s_mov_b32 s3, 0
	s_mov_b32 s11, exec_lo
	s_waitcnt lgkmcnt(0)
	s_ashr_i32 s0, s10, 31
	s_mul_hi_u32 s8, s10, s15
	s_lshr_b32 s1, s0, 30
	s_mul_i32 s0, s0, s15
	s_add_i32 s1, s10, s1
	s_add_i32 s9, s8, s0
	s_and_b32 s1, s1, -4
	s_mul_i32 s8, s10, s15
	v_cmpx_gt_i32_e64 s1, v4
	s_cbranch_execz .LBB275_4
; %bb.1:
	v_lshlrev_b32_e32 v1, 4, v0
	s_lshl_b64 s[12:13], s[8:9], 2
	v_mov_b32_e32 v3, 0
	s_add_u32 s0, s4, s12
	s_addc_u32 s12, s5, s13
	v_add_co_u32 v1, s0, s0, v1
	s_delay_alu instid0(VALU_DEP_1) | instskip(SKIP_1) | instid1(VALU_DEP_2)
	v_add_co_ci_u32_e64 v2, null, s12, 0, s0
	s_mov_b32 s12, s3
	v_add_co_u32 v1, vcc_lo, v1, 8
	s_delay_alu instid0(VALU_DEP_2)
	v_add_co_ci_u32_e32 v2, vcc_lo, 0, v2, vcc_lo
	.p2align	6
.LBB275_2:                              ; =>This Inner Loop Header: Depth=1
	global_load_b128 v[5:8], v[1:2], off offset:-8
	v_add_co_u32 v1, vcc_lo, 0x4000, v1
	v_add_co_ci_u32_e32 v2, vcc_lo, 0, v2, vcc_lo
	v_add_nc_u32_e32 v4, 0x1000, v4
	s_delay_alu instid0(VALU_DEP_1) | instskip(NEXT) | instid1(VALU_DEP_1)
	v_cmp_le_i32_e64 s0, s1, v4
	s_or_b32 s12, s0, s12
	s_waitcnt vmcnt(0)
	v_add_f32_e32 v3, v3, v5
	s_delay_alu instid0(VALU_DEP_1) | instskip(NEXT) | instid1(VALU_DEP_1)
	v_add_f32_e32 v3, v3, v6
	v_add_f32_e32 v3, v3, v7
	s_delay_alu instid0(VALU_DEP_1)
	v_add_f32_e32 v3, v3, v8
	s_and_not1_b32 exec_lo, exec_lo, s12
	s_cbranch_execnz .LBB275_2
; %bb.3:
	s_or_b32 exec_lo, exec_lo, s12
.LBB275_4:
	s_delay_alu instid0(SALU_CYCLE_1) | instskip(SKIP_1) | instid1(SALU_CYCLE_1)
	s_or_b32 exec_lo, exec_lo, s11
	s_sub_i32 s0, s10, s1
	v_cmp_gt_u32_e32 vcc_lo, s0, v0
	s_and_saveexec_b32 s0, vcc_lo
	s_cbranch_execz .LBB275_6
; %bb.5:
	v_xad_u32 v1, v0, -1, s10
	v_mov_b32_e32 v2, 0
	s_lshl_b64 s[8:9], s[8:9], 2
	s_delay_alu instid0(SALU_CYCLE_1) | instskip(SKIP_1) | instid1(VALU_DEP_1)
	s_add_u32 s1, s4, s8
	s_addc_u32 s4, s5, s9
	v_lshlrev_b64 v[1:2], 2, v[1:2]
	s_delay_alu instid0(VALU_DEP_1) | instskip(NEXT) | instid1(VALU_DEP_2)
	v_add_co_u32 v1, vcc_lo, s1, v1
	v_add_co_ci_u32_e32 v2, vcc_lo, s4, v2, vcc_lo
	global_load_b32 v1, v[1:2], off
	s_waitcnt vmcnt(0)
	v_add_f32_e32 v3, v3, v1
.LBB275_6:
	s_or_b32 exec_lo, exec_lo, s0
	v_and_b32_e32 v7, 31, v0
	v_cmp_gt_u32_e32 vcc_lo, 32, v0
	s_delay_alu instid0(VALU_DEP_2)
	v_lshlrev_b32_e32 v1, 2, v7
	s_and_saveexec_b32 s0, vcc_lo
	s_cbranch_execz .LBB275_8
; %bb.7:
	v_mov_b32_e32 v2, 0
	ds_store_b32 v1, v2
.LBB275_8:
	s_or_b32 exec_lo, exec_lo, s0
	v_mbcnt_lo_u32_b32 v6, -1, 0
	s_mov_b32 s1, exec_lo
	s_waitcnt lgkmcnt(0)
	s_barrier
	buffer_gl0_inv
	v_cmp_gt_u32_e64 s0, 16, v6
	s_delay_alu instid0(VALU_DEP_1) | instskip(SKIP_1) | instid1(VALU_DEP_2)
	v_cndmask_b32_e64 v2, 0, 1, s0
	v_cmp_gt_u32_e64 s0, 24, v6
	v_lshlrev_b32_e32 v2, 4, v2
	s_delay_alu instid0(VALU_DEP_2) | instskip(SKIP_1) | instid1(VALU_DEP_3)
	v_cndmask_b32_e64 v4, 0, 1, s0
	v_cmp_gt_u32_e64 s0, 28, v6
	v_add_lshl_u32 v2, v2, v6, 2
	s_delay_alu instid0(VALU_DEP_3)
	v_lshlrev_b32_e32 v4, 3, v4
	ds_bpermute_b32 v5, v2, v3
	v_add_lshl_u32 v4, v4, v6, 2
	s_waitcnt lgkmcnt(0)
	v_add_f32_e32 v5, v3, v5
	v_cndmask_b32_e64 v3, 0, 1, s0
	v_cmp_gt_u32_e64 s0, 30, v6
	ds_bpermute_b32 v8, v4, v5
	s_waitcnt lgkmcnt(0)
	v_dual_add_f32 v8, v5, v8 :: v_dual_lshlrev_b32 v3, 2, v3
	s_delay_alu instid0(VALU_DEP_1) | instskip(SKIP_4) | instid1(VALU_DEP_1)
	v_add_lshl_u32 v3, v3, v6, 2
	v_cndmask_b32_e64 v5, 0, 1, s0
	v_cmp_ne_u32_e64 s0, 31, v6
	ds_bpermute_b32 v9, v3, v8
	v_lshlrev_b32_e32 v5, 1, v5
	v_add_lshl_u32 v5, v5, v6, 2
	v_add_co_ci_u32_e64 v6, s0, 0, v6, s0
	s_delay_alu instid0(VALU_DEP_1)
	v_lshlrev_b32_e32 v6, 2, v6
	s_waitcnt lgkmcnt(0)
	v_add_f32_e32 v8, v8, v9
	ds_bpermute_b32 v9, v5, v8
	s_waitcnt lgkmcnt(0)
	v_add_f32_e32 v8, v8, v9
	ds_bpermute_b32 v9, v6, v8
	v_cmpx_eq_u32_e32 0, v7
	s_cbranch_execz .LBB275_10
; %bb.9:
	v_lshrrev_b32_e32 v7, 3, v0
	s_waitcnt lgkmcnt(0)
	s_delay_alu instid0(VALU_DEP_1)
	v_dual_add_f32 v8, v8, v9 :: v_dual_and_b32 v7, 0x7c, v7
	ds_store_b32 v7, v8
.LBB275_10:
	s_or_b32 exec_lo, exec_lo, s1
	v_mov_b32_e32 v7, 0
	s_waitcnt lgkmcnt(0)
	s_barrier
	buffer_gl0_inv
	s_and_saveexec_b32 s0, vcc_lo
	s_cbranch_execz .LBB275_12
; %bb.11:
	ds_load_b32 v7, v1
.LBB275_12:
	s_or_b32 exec_lo, exec_lo, s0
	s_and_saveexec_b32 s0, vcc_lo
	s_cbranch_execz .LBB275_14
; %bb.13:
	s_waitcnt lgkmcnt(0)
	ds_bpermute_b32 v1, v2, v7
	s_waitcnt lgkmcnt(0)
	v_add_f32_e32 v1, v7, v1
	ds_bpermute_b32 v2, v4, v1
	s_waitcnt lgkmcnt(0)
	v_add_f32_e32 v1, v1, v2
	;; [unrolled: 3-line block ×5, first 2 shown]
.LBB275_14:
	s_or_b32 exec_lo, exec_lo, s0
	s_delay_alu instid0(SALU_CYCLE_1)
	s_mov_b32 s0, exec_lo
	v_cmpx_eq_u32_e32 0, v0
	s_cbranch_execz .LBB275_16
; %bb.15:
	s_lshl_b64 s[0:1], s[2:3], 2
	v_mov_b32_e32 v0, 0
	s_add_u32 s0, s6, s0
	s_addc_u32 s1, s7, s1
	s_waitcnt lgkmcnt(0)
	global_store_b32 v0, v7, s[0:1]
.LBB275_16:
	s_nop 0
	s_sendmsg sendmsg(MSG_DEALLOC_VGPRS)
	s_endpgm
	.section	.rodata,"a",@progbits
	.p2align	6, 0x0
	.amdhsa_kernel _ZL30rocblas_reduction_kernel_part2ILi1024ELi4E25rocblas_finalize_identityffEviPT2_PT3_
		.amdhsa_group_segment_fixed_size 128
		.amdhsa_private_segment_fixed_size 0
		.amdhsa_kernarg_size 24
		.amdhsa_user_sgpr_count 15
		.amdhsa_user_sgpr_dispatch_ptr 0
		.amdhsa_user_sgpr_queue_ptr 0
		.amdhsa_user_sgpr_kernarg_segment_ptr 1
		.amdhsa_user_sgpr_dispatch_id 0
		.amdhsa_user_sgpr_private_segment_size 0
		.amdhsa_wavefront_size32 1
		.amdhsa_uses_dynamic_stack 0
		.amdhsa_enable_private_segment 0
		.amdhsa_system_sgpr_workgroup_id_x 1
		.amdhsa_system_sgpr_workgroup_id_y 0
		.amdhsa_system_sgpr_workgroup_id_z 0
		.amdhsa_system_sgpr_workgroup_info 0
		.amdhsa_system_vgpr_workitem_id 0
		.amdhsa_next_free_vgpr 10
		.amdhsa_next_free_sgpr 16
		.amdhsa_reserve_vcc 1
		.amdhsa_float_round_mode_32 0
		.amdhsa_float_round_mode_16_64 0
		.amdhsa_float_denorm_mode_32 3
		.amdhsa_float_denorm_mode_16_64 3
		.amdhsa_dx10_clamp 1
		.amdhsa_ieee_mode 1
		.amdhsa_fp16_overflow 0
		.amdhsa_workgroup_processor_mode 1
		.amdhsa_memory_ordered 1
		.amdhsa_forward_progress 0
		.amdhsa_shared_vgpr_count 0
		.amdhsa_exception_fp_ieee_invalid_op 0
		.amdhsa_exception_fp_denorm_src 0
		.amdhsa_exception_fp_ieee_div_zero 0
		.amdhsa_exception_fp_ieee_overflow 0
		.amdhsa_exception_fp_ieee_underflow 0
		.amdhsa_exception_fp_ieee_inexact 0
		.amdhsa_exception_int_div_zero 0
	.end_amdhsa_kernel
	.section	.text._ZL30rocblas_reduction_kernel_part2ILi1024ELi4E25rocblas_finalize_identityffEviPT2_PT3_,"axG",@progbits,_ZL30rocblas_reduction_kernel_part2ILi1024ELi4E25rocblas_finalize_identityffEviPT2_PT3_,comdat
.Lfunc_end275:
	.size	_ZL30rocblas_reduction_kernel_part2ILi1024ELi4E25rocblas_finalize_identityffEviPT2_PT3_, .Lfunc_end275-_ZL30rocblas_reduction_kernel_part2ILi1024ELi4E25rocblas_finalize_identityffEviPT2_PT3_
                                        ; -- End function
	.section	.AMDGPU.csdata,"",@progbits
; Kernel info:
; codeLenInByte = 860
; NumSgprs: 18
; NumVgprs: 10
; ScratchSize: 0
; MemoryBound: 0
; FloatMode: 240
; IeeeMode: 1
; LDSByteSize: 128 bytes/workgroup (compile time only)
; SGPRBlocks: 2
; VGPRBlocks: 1
; NumSGPRsForWavesPerEU: 18
; NumVGPRsForWavesPerEU: 10
; Occupancy: 16
; WaveLimiterHint : 0
; COMPUTE_PGM_RSRC2:SCRATCH_EN: 0
; COMPUTE_PGM_RSRC2:USER_SGPR: 15
; COMPUTE_PGM_RSRC2:TRAP_HANDLER: 0
; COMPUTE_PGM_RSRC2:TGID_X_EN: 1
; COMPUTE_PGM_RSRC2:TGID_Y_EN: 0
; COMPUTE_PGM_RSRC2:TGID_Z_EN: 0
; COMPUTE_PGM_RSRC2:TIDIG_COMP_CNT: 0
	.section	.text._ZL23rocblas_dot_kernel_inc1ILb0ELi512ELi4ELb1EfPKDF16_fEviT4_llS2_lliPT5_PT3_,"axG",@progbits,_ZL23rocblas_dot_kernel_inc1ILb0ELi512ELi4ELb1EfPKDF16_fEviT4_llS2_lliPT5_PT3_,comdat
	.globl	_ZL23rocblas_dot_kernel_inc1ILb0ELi512ELi4ELb1EfPKDF16_fEviT4_llS2_lliPT5_PT3_ ; -- Begin function _ZL23rocblas_dot_kernel_inc1ILb0ELi512ELi4ELb1EfPKDF16_fEviT4_llS2_lliPT5_PT3_
	.p2align	8
	.type	_ZL23rocblas_dot_kernel_inc1ILb0ELi512ELi4ELb1EfPKDF16_fEviT4_llS2_lliPT5_PT3_,@function
_ZL23rocblas_dot_kernel_inc1ILb0ELi512ELi4ELb1EfPKDF16_fEviT4_llS2_lliPT5_PT3_: ; @_ZL23rocblas_dot_kernel_inc1ILb0ELi512ELi4ELb1EfPKDF16_fEviT4_llS2_lliPT5_PT3_
; %bb.0:
	s_clause 0x2
	s_load_b32 s12, s[0:1], 0x50
	s_load_b32 s13, s[0:1], 0x0
	s_load_b128 s[4:7], s[0:1], 0x40
	v_lshl_or_b32 v1, s14, 9, v0
	v_mov_b32_e32 v4, 0
	s_mov_b32 s2, s15
	s_mov_b32 s3, 0
	s_mov_b32 s15, exec_lo
	s_waitcnt lgkmcnt(0)
	v_cmpx_gt_i32_e64 s13, v1
	s_cbranch_execz .LBB276_4
; %bb.1:
	s_clause 0x3
	s_load_b128 s[8:11], s[0:1], 0x10
	s_load_b128 s[20:23], s[0:1], 0x28
	s_load_b64 s[16:17], s[0:1], 0x8
	s_load_b64 s[18:19], s[0:1], 0x20
	v_ashrrev_i32_e32 v2, 31, v1
	s_delay_alu instid0(VALU_DEP_1)
	v_lshlrev_b64 v[2:3], 1, v[1:2]
	s_waitcnt lgkmcnt(0)
	s_mul_i32 s1, s2, s11
	s_mul_hi_u32 s11, s2, s10
	s_mul_i32 s0, s2, s10
	s_add_i32 s1, s11, s1
	s_mul_i32 s11, s2, s23
	s_lshl_b64 s[0:1], s[0:1], 1
	s_mul_hi_u32 s23, s2, s22
	s_add_u32 s0, s16, s0
	s_addc_u32 s16, s17, s1
	s_lshl_b64 s[8:9], s[8:9], 1
	s_mul_i32 s10, s2, s22
	s_add_u32 s1, s0, s8
	s_addc_u32 s16, s16, s9
	s_add_i32 s11, s23, s11
	s_delay_alu instid0(SALU_CYCLE_1) | instskip(NEXT) | instid1(SALU_CYCLE_1)
	s_lshl_b64 s[8:9], s[10:11], 1
	s_add_u32 s0, s18, s8
	s_addc_u32 s10, s19, s9
	s_lshl_b64 s[8:9], s[20:21], 1
	s_mov_b32 s19, s3
	s_add_u32 s17, s0, s8
	s_addc_u32 s18, s10, s9
	s_lshl_b32 s8, s12, 9
	s_delay_alu instid0(SALU_CYCLE_1) | instskip(SKIP_1) | instid1(SALU_CYCLE_1)
	v_dual_mov_b32 v4, 0 :: v_dual_add_nc_u32 v1, s8, v1
	s_ashr_i32 s9, s8, 31
	s_lshl_b64 s[10:11], s[8:9], 1
	s_mov_b32 s9, s3
	.p2align	6
.LBB276_2:                              ; =>This Inner Loop Header: Depth=1
	v_add_co_u32 v5, vcc_lo, s17, v2
	v_add_co_ci_u32_e32 v6, vcc_lo, s18, v3, vcc_lo
	v_add_co_u32 v7, vcc_lo, s1, v2
	v_add_co_ci_u32_e32 v8, vcc_lo, s16, v3, vcc_lo
	s_add_i32 s20, s19, 1
	global_load_u16 v5, v[5:6], off
	global_load_u16 v6, v[7:8], off
	v_cmp_le_i32_e32 vcc_lo, s13, v1
	v_add_co_u32 v2, s0, v2, s10
	s_cmp_gt_u32 s19, 2
	v_add_co_ci_u32_e64 v3, s0, s11, v3, s0
	s_cselect_b32 s0, -1, 0
	v_add_nc_u32_e32 v1, s8, v1
	s_or_b32 s0, s0, vcc_lo
	s_mov_b32 s19, s20
	s_and_b32 s0, exec_lo, s0
	s_delay_alu instid0(SALU_CYCLE_1)
	s_or_b32 s9, s0, s9
	s_waitcnt vmcnt(0)
	v_fma_mix_f32 v4, v5, v6, v4 op_sel_hi:[1,1,0]
	s_and_not1_b32 exec_lo, exec_lo, s9
	s_cbranch_execnz .LBB276_2
; %bb.3:
	s_or_b32 exec_lo, exec_lo, s9
.LBB276_4:
	s_delay_alu instid0(SALU_CYCLE_1) | instskip(SKIP_2) | instid1(VALU_DEP_2)
	s_or_b32 exec_lo, exec_lo, s15
	v_and_b32_e32 v2, 31, v0
	v_cmp_gt_u32_e32 vcc_lo, 32, v0
	v_lshlrev_b32_e32 v1, 2, v2
	s_and_saveexec_b32 s0, vcc_lo
	s_cbranch_execz .LBB276_6
; %bb.5:
	v_mov_b32_e32 v3, 0
	ds_store_b32 v1, v3
.LBB276_6:
	s_or_b32 exec_lo, exec_lo, s0
	v_mbcnt_lo_u32_b32 v6, -1, 0
	s_mov_b32 s1, exec_lo
	s_waitcnt lgkmcnt(0)
	s_barrier
	buffer_gl0_inv
	v_cmp_gt_u32_e64 s0, 16, v6
	s_delay_alu instid0(VALU_DEP_1) | instskip(SKIP_1) | instid1(VALU_DEP_2)
	v_cndmask_b32_e64 v3, 0, 1, s0
	v_cmp_gt_u32_e64 s0, 24, v6
	v_lshlrev_b32_e32 v3, 4, v3
	s_delay_alu instid0(VALU_DEP_1) | instskip(SKIP_3) | instid1(VALU_DEP_2)
	v_add_lshl_u32 v3, v3, v6, 2
	ds_bpermute_b32 v5, v3, v4
	v_cndmask_b32_e64 v3, 0, 1, s0
	v_cmp_gt_u32_e64 s0, 28, v6
	v_lshlrev_b32_e32 v3, 3, v3
	s_delay_alu instid0(VALU_DEP_1) | instskip(SKIP_4) | instid1(VALU_DEP_2)
	v_add_lshl_u32 v3, v3, v6, 2
	s_waitcnt lgkmcnt(0)
	v_add_f32_e32 v5, v4, v5
	v_cndmask_b32_e64 v4, 0, 1, s0
	v_cmp_gt_u32_e64 s0, 30, v6
	v_lshlrev_b32_e32 v4, 2, v4
	ds_bpermute_b32 v7, v3, v5
	v_add_lshl_u32 v4, v4, v6, 2
	s_waitcnt lgkmcnt(0)
	v_add_f32_e32 v7, v5, v7
	v_cndmask_b32_e64 v5, 0, 1, s0
	v_cmp_ne_u32_e64 s0, 31, v6
	s_delay_alu instid0(VALU_DEP_2) | instskip(NEXT) | instid1(VALU_DEP_1)
	v_lshlrev_b32_e32 v5, 1, v5
	v_add_lshl_u32 v5, v5, v6, 2
	s_delay_alu instid0(VALU_DEP_3) | instskip(NEXT) | instid1(VALU_DEP_1)
	v_add_co_ci_u32_e64 v6, s0, 0, v6, s0
	v_lshlrev_b32_e32 v6, 2, v6
	ds_bpermute_b32 v8, v4, v7
	s_waitcnt lgkmcnt(0)
	v_add_f32_e32 v7, v7, v8
	ds_bpermute_b32 v8, v5, v7
	s_waitcnt lgkmcnt(0)
	v_add_f32_e32 v7, v7, v8
	ds_bpermute_b32 v8, v6, v7
	v_cmpx_eq_u32_e32 0, v2
	s_cbranch_execz .LBB276_8
; %bb.7:
	v_lshrrev_b32_e32 v2, 3, v0
	s_waitcnt lgkmcnt(0)
	s_delay_alu instid0(VALU_DEP_1)
	v_dual_add_f32 v7, v7, v8 :: v_dual_and_b32 v2, 60, v2
	ds_store_b32 v2, v7
.LBB276_8:
	s_or_b32 exec_lo, exec_lo, s1
	v_mov_b32_e32 v2, 0
	s_mov_b32 s1, exec_lo
	s_waitcnt lgkmcnt(0)
	s_barrier
	buffer_gl0_inv
	v_cmpx_gt_u32_e32 16, v0
	s_cbranch_execz .LBB276_10
; %bb.9:
	ds_load_b32 v2, v1
.LBB276_10:
	s_or_b32 exec_lo, exec_lo, s1
	s_and_saveexec_b32 s0, vcc_lo
	s_cbranch_execz .LBB276_12
; %bb.11:
	s_waitcnt lgkmcnt(0)
	ds_bpermute_b32 v1, v3, v2
	s_waitcnt lgkmcnt(0)
	v_add_f32_e32 v1, v2, v1
	ds_bpermute_b32 v2, v4, v1
	s_waitcnt lgkmcnt(0)
	v_add_f32_e32 v1, v1, v2
	;; [unrolled: 3-line block ×4, first 2 shown]
.LBB276_12:
	s_or_b32 exec_lo, exec_lo, s0
	s_delay_alu instid0(SALU_CYCLE_1)
	s_mov_b32 s0, exec_lo
	v_cmpx_eq_u32_e32 0, v0
	s_cbranch_execz .LBB276_18
; %bb.13:
	s_cmp_lg_u32 s12, 1
	s_cbranch_scc0 .LBB276_15
; %bb.14:
	s_mul_hi_u32 s1, s12, s2
	s_mul_i32 s0, s12, s2
	s_mov_b32 s15, 0
	s_lshl_b64 s[0:1], s[0:1], 2
	s_delay_alu instid0(SALU_CYCLE_1) | instskip(SKIP_2) | instid1(SALU_CYCLE_1)
	s_add_u32 s4, s4, s0
	s_addc_u32 s5, s5, s1
	s_lshl_b64 s[0:1], s[14:15], 2
	s_add_u32 s0, s4, s0
	s_addc_u32 s1, s5, s1
	s_cbranch_execz .LBB276_16
	s_branch .LBB276_17
.LBB276_15:
                                        ; implicit-def: $sgpr0_sgpr1
.LBB276_16:
	s_lshl_b64 s[0:1], s[2:3], 2
	s_delay_alu instid0(SALU_CYCLE_1)
	s_add_u32 s0, s6, s0
	s_addc_u32 s1, s7, s1
.LBB276_17:
	v_mov_b32_e32 v0, 0
	s_waitcnt lgkmcnt(0)
	global_store_b32 v0, v2, s[0:1]
.LBB276_18:
	s_nop 0
	s_sendmsg sendmsg(MSG_DEALLOC_VGPRS)
	s_endpgm
	.section	.rodata,"a",@progbits
	.p2align	6, 0x0
	.amdhsa_kernel _ZL23rocblas_dot_kernel_inc1ILb0ELi512ELi4ELb1EfPKDF16_fEviT4_llS2_lliPT5_PT3_
		.amdhsa_group_segment_fixed_size 128
		.amdhsa_private_segment_fixed_size 0
		.amdhsa_kernarg_size 336
		.amdhsa_user_sgpr_count 14
		.amdhsa_user_sgpr_dispatch_ptr 0
		.amdhsa_user_sgpr_queue_ptr 0
		.amdhsa_user_sgpr_kernarg_segment_ptr 1
		.amdhsa_user_sgpr_dispatch_id 0
		.amdhsa_user_sgpr_private_segment_size 0
		.amdhsa_wavefront_size32 1
		.amdhsa_uses_dynamic_stack 0
		.amdhsa_enable_private_segment 0
		.amdhsa_system_sgpr_workgroup_id_x 1
		.amdhsa_system_sgpr_workgroup_id_y 0
		.amdhsa_system_sgpr_workgroup_id_z 1
		.amdhsa_system_sgpr_workgroup_info 0
		.amdhsa_system_vgpr_workitem_id 0
		.amdhsa_next_free_vgpr 9
		.amdhsa_next_free_sgpr 24
		.amdhsa_reserve_vcc 1
		.amdhsa_float_round_mode_32 0
		.amdhsa_float_round_mode_16_64 0
		.amdhsa_float_denorm_mode_32 3
		.amdhsa_float_denorm_mode_16_64 3
		.amdhsa_dx10_clamp 1
		.amdhsa_ieee_mode 1
		.amdhsa_fp16_overflow 0
		.amdhsa_workgroup_processor_mode 1
		.amdhsa_memory_ordered 1
		.amdhsa_forward_progress 0
		.amdhsa_shared_vgpr_count 0
		.amdhsa_exception_fp_ieee_invalid_op 0
		.amdhsa_exception_fp_denorm_src 0
		.amdhsa_exception_fp_ieee_div_zero 0
		.amdhsa_exception_fp_ieee_overflow 0
		.amdhsa_exception_fp_ieee_underflow 0
		.amdhsa_exception_fp_ieee_inexact 0
		.amdhsa_exception_int_div_zero 0
	.end_amdhsa_kernel
	.section	.text._ZL23rocblas_dot_kernel_inc1ILb0ELi512ELi4ELb1EfPKDF16_fEviT4_llS2_lliPT5_PT3_,"axG",@progbits,_ZL23rocblas_dot_kernel_inc1ILb0ELi512ELi4ELb1EfPKDF16_fEviT4_llS2_lliPT5_PT3_,comdat
.Lfunc_end276:
	.size	_ZL23rocblas_dot_kernel_inc1ILb0ELi512ELi4ELb1EfPKDF16_fEviT4_llS2_lliPT5_PT3_, .Lfunc_end276-_ZL23rocblas_dot_kernel_inc1ILb0ELi512ELi4ELb1EfPKDF16_fEviT4_llS2_lliPT5_PT3_
                                        ; -- End function
	.section	.AMDGPU.csdata,"",@progbits
; Kernel info:
; codeLenInByte = 936
; NumSgprs: 26
; NumVgprs: 9
; ScratchSize: 0
; MemoryBound: 0
; FloatMode: 240
; IeeeMode: 1
; LDSByteSize: 128 bytes/workgroup (compile time only)
; SGPRBlocks: 3
; VGPRBlocks: 1
; NumSGPRsForWavesPerEU: 26
; NumVGPRsForWavesPerEU: 9
; Occupancy: 16
; WaveLimiterHint : 0
; COMPUTE_PGM_RSRC2:SCRATCH_EN: 0
; COMPUTE_PGM_RSRC2:USER_SGPR: 14
; COMPUTE_PGM_RSRC2:TRAP_HANDLER: 0
; COMPUTE_PGM_RSRC2:TGID_X_EN: 1
; COMPUTE_PGM_RSRC2:TGID_Y_EN: 0
; COMPUTE_PGM_RSRC2:TGID_Z_EN: 1
; COMPUTE_PGM_RSRC2:TIDIG_COMP_CNT: 0
	.section	.text._ZL18rocblas_dot_kernelIlLb0ELi512ELi4ELb1EfPKDF16_fEviT5_lT_lS2_lS3_liPT6_PT4_,"axG",@progbits,_ZL18rocblas_dot_kernelIlLb0ELi512ELi4ELb1EfPKDF16_fEviT5_lT_lS2_lS3_liPT6_PT4_,comdat
	.globl	_ZL18rocblas_dot_kernelIlLb0ELi512ELi4ELb1EfPKDF16_fEviT5_lT_lS2_lS3_liPT6_PT4_ ; -- Begin function _ZL18rocblas_dot_kernelIlLb0ELi512ELi4ELb1EfPKDF16_fEviT5_lT_lS2_lS3_liPT6_PT4_
	.p2align	8
	.type	_ZL18rocblas_dot_kernelIlLb0ELi512ELi4ELb1EfPKDF16_fEviT5_lT_lS2_lS3_liPT6_PT4_,@function
_ZL18rocblas_dot_kernelIlLb0ELi512ELi4ELb1EfPKDF16_fEviT5_lT_lS2_lS3_liPT6_PT4_: ; @_ZL18rocblas_dot_kernelIlLb0ELi512ELi4ELb1EfPKDF16_fEviT5_lT_lS2_lS3_liPT6_PT4_
; %bb.0:
	s_clause 0x2
	s_load_b32 s12, s[0:1], 0x60
	s_load_b32 s13, s[0:1], 0x0
	s_load_b128 s[16:19], s[0:1], 0x50
	v_lshl_or_b32 v1, s14, 9, v0
	v_mov_b32_e32 v6, 0
	s_mov_b32 s2, s15
	s_mov_b32 s3, 0
	s_mov_b32 s15, exec_lo
	s_waitcnt lgkmcnt(0)
	v_cmpx_gt_i32_e64 s13, v1
	s_cbranch_execz .LBB277_4
; %bb.1:
	s_clause 0x2
	s_load_b128 s[20:23], s[0:1], 0x10
	s_load_b256 s[4:11], s[0:1], 0x20
	s_load_b64 s[26:27], s[0:1], 0x8
	v_ashrrev_i32_e32 v4, 31, v1
	s_load_b64 s[0:1], s[0:1], 0x40
	s_lshl_b32 s24, s12, 9
	s_delay_alu instid0(SALU_CYCLE_1)
	v_add_nc_u32_e32 v5, s24, v1
	s_waitcnt lgkmcnt(0)
	v_mul_lo_u32 v8, s23, v1
	v_mul_lo_u32 v9, s22, v4
	v_mad_u64_u32 v[2:3], null, s22, v1, 0
	s_mul_i32 s5, s5, s2
	s_mul_hi_u32 s25, s4, s2
	s_mul_i32 s4, s4, s2
	v_mul_lo_u32 v10, s11, v1
	v_mul_lo_u32 v4, s10, v4
	s_add_i32 s5, s25, s5
	s_delay_alu instid0(VALU_DEP_3)
	v_add3_u32 v3, v3, v9, v8
	v_mad_u64_u32 v[6:7], null, s10, v1, 0
	s_lshl_b64 s[20:21], s[20:21], 1
	s_lshl_b64 s[4:5], s[4:5], 1
	s_add_u32 s20, s26, s20
	s_addc_u32 s21, s27, s21
	v_lshlrev_b64 v[1:2], 1, v[2:3]
	s_add_u32 s20, s20, s4
	s_addc_u32 s21, s21, s5
	s_ashr_i32 s25, s24, 31
	s_mul_hi_u32 s4, s22, s24
	s_mul_i32 s5, s22, s25
	v_add3_u32 v7, v7, v4, v10
	s_mul_i32 s23, s23, s24
	s_add_i32 s5, s4, s5
	v_add_co_u32 v1, vcc_lo, s20, v1
	s_mul_i32 s1, s1, s2
	s_mul_hi_u32 s20, s0, s2
	s_mul_i32 s4, s22, s24
	s_add_i32 s5, s5, s23
	s_add_i32 s1, s20, s1
	s_mul_i32 s0, s0, s2
	v_lshlrev_b64 v[3:4], 1, v[6:7]
	v_mov_b32_e32 v6, 0
	s_lshl_b64 s[8:9], s[8:9], 1
	s_lshl_b64 s[4:5], s[4:5], 1
	;; [unrolled: 1-line block ×3, first 2 shown]
	s_add_u32 s6, s6, s8
	s_addc_u32 s7, s7, s9
	s_add_u32 s0, s6, s0
	v_add_co_ci_u32_e32 v2, vcc_lo, s21, v2, vcc_lo
	s_mul_i32 s6, s10, s25
	s_mul_hi_u32 s8, s10, s24
	s_addc_u32 s1, s7, s1
	v_add_co_u32 v3, vcc_lo, s0, v3
	s_add_i32 s6, s8, s6
	s_mul_i32 s7, s11, s24
	v_add_co_ci_u32_e32 v4, vcc_lo, s1, v4, vcc_lo
	s_add_i32 s1, s6, s7
	s_mul_i32 s0, s10, s24
	s_mov_b32 s8, s3
	s_lshl_b64 s[6:7], s[0:1], 1
	s_mov_b32 s1, s3
	.p2align	6
.LBB277_2:                              ; =>This Inner Loop Header: Depth=1
	global_load_u16 v7, v[3:4], off
	global_load_u16 v8, v[1:2], off
	v_add_co_u32 v1, s0, v1, s4
	s_delay_alu instid0(VALU_DEP_1)
	v_add_co_ci_u32_e64 v2, s0, s5, v2, s0
	s_add_i32 s9, s8, 1
	v_cmp_le_i32_e32 vcc_lo, s13, v5
	v_add_co_u32 v3, s0, v3, s6
	s_cmp_gt_u32 s8, 2
	v_add_co_ci_u32_e64 v4, s0, s7, v4, s0
	s_cselect_b32 s0, -1, 0
	v_add_nc_u32_e32 v5, s24, v5
	s_or_b32 s0, s0, vcc_lo
	s_mov_b32 s8, s9
	s_and_b32 s0, exec_lo, s0
	s_delay_alu instid0(SALU_CYCLE_1)
	s_or_b32 s1, s0, s1
	s_waitcnt vmcnt(0)
	v_fma_mix_f32 v6, v7, v8, v6 op_sel_hi:[1,1,0]
	s_and_not1_b32 exec_lo, exec_lo, s1
	s_cbranch_execnz .LBB277_2
; %bb.3:
	s_or_b32 exec_lo, exec_lo, s1
.LBB277_4:
	s_delay_alu instid0(SALU_CYCLE_1) | instskip(SKIP_2) | instid1(VALU_DEP_2)
	s_or_b32 exec_lo, exec_lo, s15
	v_and_b32_e32 v2, 31, v0
	v_cmp_gt_u32_e32 vcc_lo, 32, v0
	v_lshlrev_b32_e32 v1, 2, v2
	s_and_saveexec_b32 s0, vcc_lo
	s_cbranch_execz .LBB277_6
; %bb.5:
	v_mov_b32_e32 v3, 0
	ds_store_b32 v1, v3
.LBB277_6:
	s_or_b32 exec_lo, exec_lo, s0
	v_mbcnt_lo_u32_b32 v7, -1, 0
	s_mov_b32 s1, exec_lo
	s_waitcnt lgkmcnt(0)
	s_barrier
	buffer_gl0_inv
	v_cmp_gt_u32_e64 s0, 16, v7
	s_delay_alu instid0(VALU_DEP_1) | instskip(SKIP_1) | instid1(VALU_DEP_2)
	v_cndmask_b32_e64 v3, 0, 1, s0
	v_cmp_gt_u32_e64 s0, 24, v7
	v_lshlrev_b32_e32 v3, 4, v3
	s_delay_alu instid0(VALU_DEP_1) | instskip(SKIP_3) | instid1(VALU_DEP_2)
	v_add_lshl_u32 v3, v3, v7, 2
	ds_bpermute_b32 v4, v3, v6
	v_cndmask_b32_e64 v3, 0, 1, s0
	v_cmp_gt_u32_e64 s0, 28, v7
	v_lshlrev_b32_e32 v3, 3, v3
	s_delay_alu instid0(VALU_DEP_1)
	v_add_lshl_u32 v3, v3, v7, 2
	s_waitcnt lgkmcnt(0)
	v_add_f32_e32 v5, v6, v4
	v_cndmask_b32_e64 v4, 0, 1, s0
	v_cmp_gt_u32_e64 s0, 30, v7
	ds_bpermute_b32 v6, v3, v5
	v_lshlrev_b32_e32 v4, 2, v4
	s_delay_alu instid0(VALU_DEP_1)
	v_add_lshl_u32 v4, v4, v7, 2
	s_waitcnt lgkmcnt(0)
	v_add_f32_e32 v6, v5, v6
	v_cndmask_b32_e64 v5, 0, 1, s0
	v_cmp_ne_u32_e64 s0, 31, v7
	ds_bpermute_b32 v8, v4, v6
	v_lshlrev_b32_e32 v5, 1, v5
	v_add_co_ci_u32_e64 v9, s0, 0, v7, s0
	s_delay_alu instid0(VALU_DEP_2)
	v_add_lshl_u32 v5, v5, v7, 2
	s_waitcnt lgkmcnt(0)
	v_add_f32_e32 v6, v6, v8
	ds_bpermute_b32 v8, v5, v6
	s_waitcnt lgkmcnt(0)
	v_dual_add_f32 v7, v6, v8 :: v_dual_lshlrev_b32 v6, 2, v9
	ds_bpermute_b32 v8, v6, v7
	v_cmpx_eq_u32_e32 0, v2
	s_cbranch_execz .LBB277_8
; %bb.7:
	v_lshrrev_b32_e32 v2, 3, v0
	s_waitcnt lgkmcnt(0)
	s_delay_alu instid0(VALU_DEP_1)
	v_dual_add_f32 v7, v7, v8 :: v_dual_and_b32 v2, 60, v2
	ds_store_b32 v2, v7
.LBB277_8:
	s_or_b32 exec_lo, exec_lo, s1
	v_mov_b32_e32 v2, 0
	s_mov_b32 s1, exec_lo
	s_waitcnt lgkmcnt(0)
	s_barrier
	buffer_gl0_inv
	v_cmpx_gt_u32_e32 16, v0
	s_cbranch_execz .LBB277_10
; %bb.9:
	ds_load_b32 v2, v1
.LBB277_10:
	s_or_b32 exec_lo, exec_lo, s1
	s_and_saveexec_b32 s0, vcc_lo
	s_cbranch_execz .LBB277_12
; %bb.11:
	s_waitcnt lgkmcnt(0)
	ds_bpermute_b32 v1, v3, v2
	s_waitcnt lgkmcnt(0)
	v_add_f32_e32 v1, v2, v1
	ds_bpermute_b32 v2, v4, v1
	s_waitcnt lgkmcnt(0)
	v_add_f32_e32 v1, v1, v2
	ds_bpermute_b32 v2, v5, v1
	s_waitcnt lgkmcnt(0)
	v_add_f32_e32 v1, v1, v2
	ds_bpermute_b32 v2, v6, v1
	s_waitcnt lgkmcnt(0)
	v_add_f32_e32 v2, v1, v2
.LBB277_12:
	s_or_b32 exec_lo, exec_lo, s0
	s_delay_alu instid0(SALU_CYCLE_1)
	s_mov_b32 s0, exec_lo
	v_cmpx_eq_u32_e32 0, v0
	s_cbranch_execz .LBB277_18
; %bb.13:
	s_cmp_lg_u32 s12, 1
	s_cbranch_scc0 .LBB277_15
; %bb.14:
	s_mul_hi_u32 s1, s12, s2
	s_mul_i32 s0, s12, s2
	s_mov_b32 s15, 0
	s_lshl_b64 s[0:1], s[0:1], 2
	s_delay_alu instid0(SALU_CYCLE_1) | instskip(SKIP_2) | instid1(SALU_CYCLE_1)
	s_add_u32 s4, s16, s0
	s_addc_u32 s5, s17, s1
	s_lshl_b64 s[0:1], s[14:15], 2
	s_add_u32 s0, s4, s0
	s_addc_u32 s1, s5, s1
	s_cbranch_execz .LBB277_16
	s_branch .LBB277_17
.LBB277_15:
                                        ; implicit-def: $sgpr0_sgpr1
.LBB277_16:
	s_lshl_b64 s[0:1], s[2:3], 2
	s_delay_alu instid0(SALU_CYCLE_1)
	s_add_u32 s0, s18, s0
	s_addc_u32 s1, s19, s1
.LBB277_17:
	v_mov_b32_e32 v0, 0
	s_waitcnt lgkmcnt(0)
	global_store_b32 v0, v2, s[0:1]
.LBB277_18:
	s_nop 0
	s_sendmsg sendmsg(MSG_DEALLOC_VGPRS)
	s_endpgm
	.section	.rodata,"a",@progbits
	.p2align	6, 0x0
	.amdhsa_kernel _ZL18rocblas_dot_kernelIlLb0ELi512ELi4ELb1EfPKDF16_fEviT5_lT_lS2_lS3_liPT6_PT4_
		.amdhsa_group_segment_fixed_size 128
		.amdhsa_private_segment_fixed_size 0
		.amdhsa_kernarg_size 352
		.amdhsa_user_sgpr_count 14
		.amdhsa_user_sgpr_dispatch_ptr 0
		.amdhsa_user_sgpr_queue_ptr 0
		.amdhsa_user_sgpr_kernarg_segment_ptr 1
		.amdhsa_user_sgpr_dispatch_id 0
		.amdhsa_user_sgpr_private_segment_size 0
		.amdhsa_wavefront_size32 1
		.amdhsa_uses_dynamic_stack 0
		.amdhsa_enable_private_segment 0
		.amdhsa_system_sgpr_workgroup_id_x 1
		.amdhsa_system_sgpr_workgroup_id_y 0
		.amdhsa_system_sgpr_workgroup_id_z 1
		.amdhsa_system_sgpr_workgroup_info 0
		.amdhsa_system_vgpr_workitem_id 0
		.amdhsa_next_free_vgpr 11
		.amdhsa_next_free_sgpr 28
		.amdhsa_reserve_vcc 1
		.amdhsa_float_round_mode_32 0
		.amdhsa_float_round_mode_16_64 0
		.amdhsa_float_denorm_mode_32 3
		.amdhsa_float_denorm_mode_16_64 3
		.amdhsa_dx10_clamp 1
		.amdhsa_ieee_mode 1
		.amdhsa_fp16_overflow 0
		.amdhsa_workgroup_processor_mode 1
		.amdhsa_memory_ordered 1
		.amdhsa_forward_progress 0
		.amdhsa_shared_vgpr_count 0
		.amdhsa_exception_fp_ieee_invalid_op 0
		.amdhsa_exception_fp_denorm_src 0
		.amdhsa_exception_fp_ieee_div_zero 0
		.amdhsa_exception_fp_ieee_overflow 0
		.amdhsa_exception_fp_ieee_underflow 0
		.amdhsa_exception_fp_ieee_inexact 0
		.amdhsa_exception_int_div_zero 0
	.end_amdhsa_kernel
	.section	.text._ZL18rocblas_dot_kernelIlLb0ELi512ELi4ELb1EfPKDF16_fEviT5_lT_lS2_lS3_liPT6_PT4_,"axG",@progbits,_ZL18rocblas_dot_kernelIlLb0ELi512ELi4ELb1EfPKDF16_fEviT5_lT_lS2_lS3_liPT6_PT4_,comdat
.Lfunc_end277:
	.size	_ZL18rocblas_dot_kernelIlLb0ELi512ELi4ELb1EfPKDF16_fEviT5_lT_lS2_lS3_liPT6_PT4_, .Lfunc_end277-_ZL18rocblas_dot_kernelIlLb0ELi512ELi4ELb1EfPKDF16_fEviT5_lT_lS2_lS3_liPT6_PT4_
                                        ; -- End function
	.section	.AMDGPU.csdata,"",@progbits
; Kernel info:
; codeLenInByte = 1076
; NumSgprs: 30
; NumVgprs: 11
; ScratchSize: 0
; MemoryBound: 0
; FloatMode: 240
; IeeeMode: 1
; LDSByteSize: 128 bytes/workgroup (compile time only)
; SGPRBlocks: 3
; VGPRBlocks: 1
; NumSGPRsForWavesPerEU: 30
; NumVGPRsForWavesPerEU: 11
; Occupancy: 16
; WaveLimiterHint : 0
; COMPUTE_PGM_RSRC2:SCRATCH_EN: 0
; COMPUTE_PGM_RSRC2:USER_SGPR: 14
; COMPUTE_PGM_RSRC2:TRAP_HANDLER: 0
; COMPUTE_PGM_RSRC2:TGID_X_EN: 1
; COMPUTE_PGM_RSRC2:TGID_Y_EN: 0
; COMPUTE_PGM_RSRC2:TGID_Z_EN: 1
; COMPUTE_PGM_RSRC2:TIDIG_COMP_CNT: 0
	.section	.text._ZL24rocblas_dot_kernel_magsqIlLb0ELi512ELi4ELb1EfPKDF16_fEviT5_lT_liPT6_PT4_,"axG",@progbits,_ZL24rocblas_dot_kernel_magsqIlLb0ELi512ELi4ELb1EfPKDF16_fEviT5_lT_liPT6_PT4_,comdat
	.globl	_ZL24rocblas_dot_kernel_magsqIlLb0ELi512ELi4ELb1EfPKDF16_fEviT5_lT_liPT6_PT4_ ; -- Begin function _ZL24rocblas_dot_kernel_magsqIlLb0ELi512ELi4ELb1EfPKDF16_fEviT5_lT_liPT6_PT4_
	.p2align	8
	.type	_ZL24rocblas_dot_kernel_magsqIlLb0ELi512ELi4ELb1EfPKDF16_fEviT5_lT_liPT6_PT4_,@function
_ZL24rocblas_dot_kernel_magsqIlLb0ELi512ELi4ELb1EfPKDF16_fEviT5_lT_liPT6_PT4_: ; @_ZL24rocblas_dot_kernel_magsqIlLb0ELi512ELi4ELb1EfPKDF16_fEviT5_lT_liPT6_PT4_
; %bb.0:
	s_clause 0x2
	s_load_b32 s11, s[0:1], 0x0
	s_load_b128 s[4:7], s[0:1], 0x30
	s_load_b32 s10, s[0:1], 0x40
	v_lshl_or_b32 v1, s14, 9, v0
	v_mov_b32_e32 v3, 0
	s_mov_b32 s2, s15
	s_mov_b32 s3, 0
	s_mov_b32 s12, exec_lo
	s_waitcnt lgkmcnt(0)
	v_cmpx_gt_i32_e64 s11, v1
	s_cbranch_execz .LBB278_4
; %bb.1:
	s_clause 0x2
	s_load_b128 s[16:19], s[0:1], 0x10
	s_load_b64 s[8:9], s[0:1], 0x20
	s_load_b64 s[20:21], s[0:1], 0x8
	v_ashrrev_i32_e32 v2, 31, v1
	s_lshl_b32 s1, s10, 9
	s_delay_alu instid0(SALU_CYCLE_1)
	v_add_nc_u32_e32 v4, s1, v1
	s_waitcnt lgkmcnt(0)
	v_mul_lo_u32 v5, s19, v1
	v_mul_lo_u32 v6, s18, v2
	v_mad_u64_u32 v[2:3], null, s18, v1, 0
	s_mul_i32 s0, s9, s2
	s_mul_hi_u32 s9, s8, s2
	s_mul_i32 s8, s8, s2
	s_add_i32 s9, s9, s0
	s_lshl_b64 s[16:17], s[16:17], 1
	s_lshl_b64 s[8:9], s[8:9], 1
	s_delay_alu instid0(VALU_DEP_1)
	v_add3_u32 v3, v3, v6, v5
	s_add_u32 s0, s20, s16
	s_addc_u32 s13, s21, s17
	s_add_u32 s0, s0, s8
	s_addc_u32 s13, s13, s9
	v_lshlrev_b64 v[1:2], 1, v[2:3]
	v_mov_b32_e32 v3, 0
	s_ashr_i32 s8, s1, 31
	s_mul_hi_u32 s9, s18, s1
	s_mul_i32 s8, s18, s8
	s_mul_i32 s15, s19, s1
	v_add_co_u32 v1, vcc_lo, s0, v1
	s_add_i32 s9, s9, s8
	v_add_co_ci_u32_e32 v2, vcc_lo, s13, v2, vcc_lo
	s_mul_i32 s8, s18, s1
	s_add_i32 s9, s9, s15
	s_mov_b32 s13, s3
	s_lshl_b64 s[8:9], s[8:9], 1
	s_mov_b32 s15, s3
	.p2align	6
.LBB278_2:                              ; =>This Inner Loop Header: Depth=1
	global_load_u16 v5, v[1:2], off
	s_add_i32 s16, s15, 1
	v_cmp_le_i32_e32 vcc_lo, s11, v4
	v_add_co_u32 v1, s0, v1, s8
	s_cmp_gt_u32 s15, 2
	v_add_co_ci_u32_e64 v2, s0, s9, v2, s0
	s_cselect_b32 s0, -1, 0
	v_add_nc_u32_e32 v4, s1, v4
	s_or_b32 s0, s0, vcc_lo
	s_mov_b32 s15, s16
	s_and_b32 s0, exec_lo, s0
	s_delay_alu instid0(SALU_CYCLE_1)
	s_or_b32 s13, s0, s13
	s_waitcnt vmcnt(0)
	v_fma_mix_f32 v3, v5, v5, v3 op_sel_hi:[1,1,0]
	s_and_not1_b32 exec_lo, exec_lo, s13
	s_cbranch_execnz .LBB278_2
; %bb.3:
	s_or_b32 exec_lo, exec_lo, s13
.LBB278_4:
	s_delay_alu instid0(SALU_CYCLE_1) | instskip(SKIP_2) | instid1(VALU_DEP_2)
	s_or_b32 exec_lo, exec_lo, s12
	v_and_b32_e32 v2, 31, v0
	v_cmp_gt_u32_e32 vcc_lo, 32, v0
	v_lshlrev_b32_e32 v1, 2, v2
	s_and_saveexec_b32 s0, vcc_lo
	s_cbranch_execz .LBB278_6
; %bb.5:
	v_mov_b32_e32 v4, 0
	ds_store_b32 v1, v4
.LBB278_6:
	s_or_b32 exec_lo, exec_lo, s0
	v_mbcnt_lo_u32_b32 v6, -1, 0
	s_mov_b32 s1, exec_lo
	s_waitcnt lgkmcnt(0)
	s_barrier
	buffer_gl0_inv
	v_cmp_gt_u32_e64 s0, 16, v6
	s_delay_alu instid0(VALU_DEP_1) | instskip(SKIP_1) | instid1(VALU_DEP_2)
	v_cndmask_b32_e64 v4, 0, 1, s0
	v_cmp_gt_u32_e64 s0, 24, v6
	v_lshlrev_b32_e32 v4, 4, v4
	s_delay_alu instid0(VALU_DEP_1) | instskip(SKIP_4) | instid1(VALU_DEP_2)
	v_add_lshl_u32 v4, v4, v6, 2
	ds_bpermute_b32 v5, v4, v3
	v_cndmask_b32_e64 v4, 0, 1, s0
	v_cmp_gt_u32_e64 s0, 28, v6
	s_waitcnt lgkmcnt(0)
	v_dual_add_f32 v5, v3, v5 :: v_dual_lshlrev_b32 v4, 3, v4
	s_delay_alu instid0(VALU_DEP_2) | instskip(SKIP_1) | instid1(VALU_DEP_3)
	v_cndmask_b32_e64 v3, 0, 1, s0
	v_cmp_gt_u32_e64 s0, 30, v6
	v_add_lshl_u32 v4, v4, v6, 2
	s_delay_alu instid0(VALU_DEP_3)
	v_lshlrev_b32_e32 v3, 2, v3
	ds_bpermute_b32 v7, v4, v5
	v_add_lshl_u32 v3, v3, v6, 2
	s_waitcnt lgkmcnt(0)
	v_add_f32_e32 v7, v5, v7
	v_cndmask_b32_e64 v5, 0, 1, s0
	v_cmp_ne_u32_e64 s0, 31, v6
	ds_bpermute_b32 v8, v3, v7
	v_lshlrev_b32_e32 v5, 1, v5
	s_delay_alu instid0(VALU_DEP_1) | instskip(SKIP_2) | instid1(VALU_DEP_1)
	v_add_lshl_u32 v5, v5, v6, 2
	v_add_co_ci_u32_e64 v6, s0, 0, v6, s0
	s_waitcnt lgkmcnt(0)
	v_dual_add_f32 v7, v7, v8 :: v_dual_lshlrev_b32 v6, 2, v6
	ds_bpermute_b32 v8, v5, v7
	s_waitcnt lgkmcnt(0)
	v_add_f32_e32 v7, v7, v8
	ds_bpermute_b32 v8, v6, v7
	v_cmpx_eq_u32_e32 0, v2
	s_cbranch_execz .LBB278_8
; %bb.7:
	v_lshrrev_b32_e32 v2, 3, v0
	s_waitcnt lgkmcnt(0)
	s_delay_alu instid0(VALU_DEP_1)
	v_dual_add_f32 v7, v7, v8 :: v_dual_and_b32 v2, 60, v2
	ds_store_b32 v2, v7
.LBB278_8:
	s_or_b32 exec_lo, exec_lo, s1
	v_mov_b32_e32 v2, 0
	s_mov_b32 s1, exec_lo
	s_waitcnt lgkmcnt(0)
	s_barrier
	buffer_gl0_inv
	v_cmpx_gt_u32_e32 16, v0
	s_cbranch_execz .LBB278_10
; %bb.9:
	ds_load_b32 v2, v1
.LBB278_10:
	s_or_b32 exec_lo, exec_lo, s1
	s_and_saveexec_b32 s0, vcc_lo
	s_cbranch_execz .LBB278_12
; %bb.11:
	s_waitcnt lgkmcnt(0)
	ds_bpermute_b32 v1, v4, v2
	s_waitcnt lgkmcnt(0)
	v_add_f32_e32 v1, v2, v1
	ds_bpermute_b32 v2, v3, v1
	s_waitcnt lgkmcnt(0)
	v_add_f32_e32 v1, v1, v2
	;; [unrolled: 3-line block ×4, first 2 shown]
.LBB278_12:
	s_or_b32 exec_lo, exec_lo, s0
	s_delay_alu instid0(SALU_CYCLE_1)
	s_mov_b32 s0, exec_lo
	v_cmpx_eq_u32_e32 0, v0
	s_cbranch_execz .LBB278_18
; %bb.13:
	s_cmp_lg_u32 s10, 1
	s_cbranch_scc0 .LBB278_15
; %bb.14:
	s_mul_hi_u32 s1, s10, s2
	s_mul_i32 s0, s10, s2
	s_mov_b32 s15, 0
	s_lshl_b64 s[0:1], s[0:1], 2
	s_delay_alu instid0(SALU_CYCLE_1) | instskip(SKIP_2) | instid1(SALU_CYCLE_1)
	s_add_u32 s4, s4, s0
	s_addc_u32 s5, s5, s1
	s_lshl_b64 s[0:1], s[14:15], 2
	s_add_u32 s0, s4, s0
	s_addc_u32 s1, s5, s1
	s_cbranch_execz .LBB278_16
	s_branch .LBB278_17
.LBB278_15:
                                        ; implicit-def: $sgpr0_sgpr1
.LBB278_16:
	s_lshl_b64 s[0:1], s[2:3], 2
	s_delay_alu instid0(SALU_CYCLE_1)
	s_add_u32 s0, s6, s0
	s_addc_u32 s1, s7, s1
.LBB278_17:
	v_mov_b32_e32 v0, 0
	s_waitcnt lgkmcnt(0)
	global_store_b32 v0, v2, s[0:1]
.LBB278_18:
	s_nop 0
	s_sendmsg sendmsg(MSG_DEALLOC_VGPRS)
	s_endpgm
	.section	.rodata,"a",@progbits
	.p2align	6, 0x0
	.amdhsa_kernel _ZL24rocblas_dot_kernel_magsqIlLb0ELi512ELi4ELb1EfPKDF16_fEviT5_lT_liPT6_PT4_
		.amdhsa_group_segment_fixed_size 128
		.amdhsa_private_segment_fixed_size 0
		.amdhsa_kernarg_size 320
		.amdhsa_user_sgpr_count 14
		.amdhsa_user_sgpr_dispatch_ptr 0
		.amdhsa_user_sgpr_queue_ptr 0
		.amdhsa_user_sgpr_kernarg_segment_ptr 1
		.amdhsa_user_sgpr_dispatch_id 0
		.amdhsa_user_sgpr_private_segment_size 0
		.amdhsa_wavefront_size32 1
		.amdhsa_uses_dynamic_stack 0
		.amdhsa_enable_private_segment 0
		.amdhsa_system_sgpr_workgroup_id_x 1
		.amdhsa_system_sgpr_workgroup_id_y 0
		.amdhsa_system_sgpr_workgroup_id_z 1
		.amdhsa_system_sgpr_workgroup_info 0
		.amdhsa_system_vgpr_workitem_id 0
		.amdhsa_next_free_vgpr 9
		.amdhsa_next_free_sgpr 22
		.amdhsa_reserve_vcc 1
		.amdhsa_float_round_mode_32 0
		.amdhsa_float_round_mode_16_64 0
		.amdhsa_float_denorm_mode_32 3
		.amdhsa_float_denorm_mode_16_64 3
		.amdhsa_dx10_clamp 1
		.amdhsa_ieee_mode 1
		.amdhsa_fp16_overflow 0
		.amdhsa_workgroup_processor_mode 1
		.amdhsa_memory_ordered 1
		.amdhsa_forward_progress 0
		.amdhsa_shared_vgpr_count 0
		.amdhsa_exception_fp_ieee_invalid_op 0
		.amdhsa_exception_fp_denorm_src 0
		.amdhsa_exception_fp_ieee_div_zero 0
		.amdhsa_exception_fp_ieee_overflow 0
		.amdhsa_exception_fp_ieee_underflow 0
		.amdhsa_exception_fp_ieee_inexact 0
		.amdhsa_exception_int_div_zero 0
	.end_amdhsa_kernel
	.section	.text._ZL24rocblas_dot_kernel_magsqIlLb0ELi512ELi4ELb1EfPKDF16_fEviT5_lT_liPT6_PT4_,"axG",@progbits,_ZL24rocblas_dot_kernel_magsqIlLb0ELi512ELi4ELb1EfPKDF16_fEviT5_lT_liPT6_PT4_,comdat
.Lfunc_end278:
	.size	_ZL24rocblas_dot_kernel_magsqIlLb0ELi512ELi4ELb1EfPKDF16_fEviT5_lT_liPT6_PT4_, .Lfunc_end278-_ZL24rocblas_dot_kernel_magsqIlLb0ELi512ELi4ELb1EfPKDF16_fEviT5_lT_liPT6_PT4_
                                        ; -- End function
	.section	.AMDGPU.csdata,"",@progbits
; Kernel info:
; codeLenInByte = 920
; NumSgprs: 24
; NumVgprs: 9
; ScratchSize: 0
; MemoryBound: 0
; FloatMode: 240
; IeeeMode: 1
; LDSByteSize: 128 bytes/workgroup (compile time only)
; SGPRBlocks: 2
; VGPRBlocks: 1
; NumSGPRsForWavesPerEU: 24
; NumVGPRsForWavesPerEU: 9
; Occupancy: 16
; WaveLimiterHint : 0
; COMPUTE_PGM_RSRC2:SCRATCH_EN: 0
; COMPUTE_PGM_RSRC2:USER_SGPR: 14
; COMPUTE_PGM_RSRC2:TRAP_HANDLER: 0
; COMPUTE_PGM_RSRC2:TGID_X_EN: 1
; COMPUTE_PGM_RSRC2:TGID_Y_EN: 0
; COMPUTE_PGM_RSRC2:TGID_Z_EN: 1
; COMPUTE_PGM_RSRC2:TIDIG_COMP_CNT: 0
	.section	.text._ZL30rocblas_reduction_kernel_part2ILi512ELi4E25rocblas_finalize_identityffEviPT2_PT3_,"axG",@progbits,_ZL30rocblas_reduction_kernel_part2ILi512ELi4E25rocblas_finalize_identityffEviPT2_PT3_,comdat
	.globl	_ZL30rocblas_reduction_kernel_part2ILi512ELi4E25rocblas_finalize_identityffEviPT2_PT3_ ; -- Begin function _ZL30rocblas_reduction_kernel_part2ILi512ELi4E25rocblas_finalize_identityffEviPT2_PT3_
	.p2align	8
	.type	_ZL30rocblas_reduction_kernel_part2ILi512ELi4E25rocblas_finalize_identityffEviPT2_PT3_,@function
_ZL30rocblas_reduction_kernel_part2ILi512ELi4E25rocblas_finalize_identityffEviPT2_PT3_: ; @_ZL30rocblas_reduction_kernel_part2ILi512ELi4E25rocblas_finalize_identityffEviPT2_PT3_
; %bb.0:
	s_clause 0x1
	s_load_b32 s10, s[0:1], 0x0
	s_load_b128 s[4:7], s[0:1], 0x8
	v_dual_mov_b32 v3, 0 :: v_dual_lshlrev_b32 v4, 2, v0
	s_mov_b32 s2, s15
	s_mov_b32 s3, 0
	s_mov_b32 s11, exec_lo
	s_waitcnt lgkmcnt(0)
	s_ashr_i32 s0, s10, 31
	s_mul_hi_u32 s8, s10, s15
	s_lshr_b32 s1, s0, 30
	s_mul_i32 s0, s0, s15
	s_add_i32 s1, s10, s1
	s_add_i32 s9, s8, s0
	s_and_b32 s1, s1, -4
	s_mul_i32 s8, s10, s15
	v_cmpx_gt_i32_e64 s1, v4
	s_cbranch_execz .LBB279_4
; %bb.1:
	v_lshlrev_b32_e32 v1, 4, v0
	s_lshl_b64 s[12:13], s[8:9], 2
	v_mov_b32_e32 v3, 0
	s_add_u32 s0, s4, s12
	s_addc_u32 s12, s5, s13
	v_add_co_u32 v1, s0, s0, v1
	s_delay_alu instid0(VALU_DEP_1) | instskip(SKIP_1) | instid1(VALU_DEP_2)
	v_add_co_ci_u32_e64 v2, null, s12, 0, s0
	s_mov_b32 s12, s3
	v_add_co_u32 v1, vcc_lo, v1, 8
	s_delay_alu instid0(VALU_DEP_2)
	v_add_co_ci_u32_e32 v2, vcc_lo, 0, v2, vcc_lo
	.p2align	6
.LBB279_2:                              ; =>This Inner Loop Header: Depth=1
	global_load_b128 v[5:8], v[1:2], off offset:-8
	v_add_co_u32 v1, vcc_lo, 0x2000, v1
	v_add_co_ci_u32_e32 v2, vcc_lo, 0, v2, vcc_lo
	v_add_nc_u32_e32 v4, 0x800, v4
	s_delay_alu instid0(VALU_DEP_1) | instskip(NEXT) | instid1(VALU_DEP_1)
	v_cmp_le_i32_e64 s0, s1, v4
	s_or_b32 s12, s0, s12
	s_waitcnt vmcnt(0)
	v_add_f32_e32 v3, v3, v5
	s_delay_alu instid0(VALU_DEP_1) | instskip(NEXT) | instid1(VALU_DEP_1)
	v_add_f32_e32 v3, v3, v6
	v_add_f32_e32 v3, v3, v7
	s_delay_alu instid0(VALU_DEP_1)
	v_add_f32_e32 v3, v3, v8
	s_and_not1_b32 exec_lo, exec_lo, s12
	s_cbranch_execnz .LBB279_2
; %bb.3:
	s_or_b32 exec_lo, exec_lo, s12
.LBB279_4:
	s_delay_alu instid0(SALU_CYCLE_1) | instskip(SKIP_1) | instid1(SALU_CYCLE_1)
	s_or_b32 exec_lo, exec_lo, s11
	s_sub_i32 s0, s10, s1
	v_cmp_gt_u32_e32 vcc_lo, s0, v0
	s_and_saveexec_b32 s0, vcc_lo
	s_cbranch_execz .LBB279_6
; %bb.5:
	v_xad_u32 v1, v0, -1, s10
	v_mov_b32_e32 v2, 0
	s_lshl_b64 s[8:9], s[8:9], 2
	s_delay_alu instid0(SALU_CYCLE_1) | instskip(SKIP_1) | instid1(VALU_DEP_1)
	s_add_u32 s1, s4, s8
	s_addc_u32 s4, s5, s9
	v_lshlrev_b64 v[1:2], 2, v[1:2]
	s_delay_alu instid0(VALU_DEP_1) | instskip(NEXT) | instid1(VALU_DEP_2)
	v_add_co_u32 v1, vcc_lo, s1, v1
	v_add_co_ci_u32_e32 v2, vcc_lo, s4, v2, vcc_lo
	global_load_b32 v1, v[1:2], off
	s_waitcnt vmcnt(0)
	v_add_f32_e32 v3, v3, v1
.LBB279_6:
	s_or_b32 exec_lo, exec_lo, s0
	v_and_b32_e32 v5, 31, v0
	v_cmp_gt_u32_e32 vcc_lo, 32, v0
	s_delay_alu instid0(VALU_DEP_2)
	v_lshlrev_b32_e32 v1, 2, v5
	s_and_saveexec_b32 s0, vcc_lo
	s_cbranch_execz .LBB279_8
; %bb.7:
	v_mov_b32_e32 v2, 0
	ds_store_b32 v1, v2
.LBB279_8:
	s_or_b32 exec_lo, exec_lo, s0
	v_mbcnt_lo_u32_b32 v6, -1, 0
	s_mov_b32 s1, exec_lo
	s_waitcnt lgkmcnt(0)
	s_barrier
	buffer_gl0_inv
	v_cmp_gt_u32_e64 s0, 16, v6
	s_delay_alu instid0(VALU_DEP_1) | instskip(SKIP_1) | instid1(VALU_DEP_2)
	v_cndmask_b32_e64 v2, 0, 1, s0
	v_cmp_gt_u32_e64 s0, 24, v6
	v_lshlrev_b32_e32 v2, 4, v2
	s_delay_alu instid0(VALU_DEP_1) | instskip(SKIP_3) | instid1(VALU_DEP_2)
	v_add_lshl_u32 v2, v2, v6, 2
	ds_bpermute_b32 v4, v2, v3
	v_cndmask_b32_e64 v2, 0, 1, s0
	v_cmp_gt_u32_e64 s0, 28, v6
	v_lshlrev_b32_e32 v2, 3, v2
	s_delay_alu instid0(VALU_DEP_1) | instskip(SKIP_4) | instid1(VALU_DEP_2)
	v_add_lshl_u32 v2, v2, v6, 2
	s_waitcnt lgkmcnt(0)
	v_add_f32_e32 v4, v3, v4
	v_cndmask_b32_e64 v3, 0, 1, s0
	v_cmp_gt_u32_e64 s0, 30, v6
	v_lshlrev_b32_e32 v3, 2, v3
	ds_bpermute_b32 v7, v2, v4
	v_add_lshl_u32 v3, v3, v6, 2
	s_waitcnt lgkmcnt(0)
	v_add_f32_e32 v7, v4, v7
	v_cndmask_b32_e64 v4, 0, 1, s0
	v_cmp_ne_u32_e64 s0, 31, v6
	ds_bpermute_b32 v8, v3, v7
	v_lshlrev_b32_e32 v4, 1, v4
	s_delay_alu instid0(VALU_DEP_1) | instskip(SKIP_2) | instid1(VALU_DEP_1)
	v_add_lshl_u32 v4, v4, v6, 2
	v_add_co_ci_u32_e64 v6, s0, 0, v6, s0
	s_waitcnt lgkmcnt(0)
	v_dual_add_f32 v7, v7, v8 :: v_dual_lshlrev_b32 v6, 2, v6
	ds_bpermute_b32 v8, v4, v7
	s_waitcnt lgkmcnt(0)
	v_add_f32_e32 v7, v7, v8
	ds_bpermute_b32 v8, v6, v7
	v_cmpx_eq_u32_e32 0, v5
	s_cbranch_execz .LBB279_10
; %bb.9:
	v_lshrrev_b32_e32 v5, 3, v0
	s_waitcnt lgkmcnt(0)
	v_add_f32_e32 v7, v7, v8
	s_delay_alu instid0(VALU_DEP_2)
	v_and_b32_e32 v5, 60, v5
	ds_store_b32 v5, v7
.LBB279_10:
	s_or_b32 exec_lo, exec_lo, s1
	v_mov_b32_e32 v5, 0
	s_mov_b32 s1, exec_lo
	s_waitcnt lgkmcnt(0)
	s_barrier
	buffer_gl0_inv
	v_cmpx_gt_u32_e32 16, v0
	s_cbranch_execz .LBB279_12
; %bb.11:
	ds_load_b32 v5, v1
.LBB279_12:
	s_or_b32 exec_lo, exec_lo, s1
	s_and_saveexec_b32 s0, vcc_lo
	s_cbranch_execz .LBB279_14
; %bb.13:
	s_waitcnt lgkmcnt(0)
	ds_bpermute_b32 v1, v2, v5
	s_waitcnt lgkmcnt(0)
	v_add_f32_e32 v1, v5, v1
	ds_bpermute_b32 v2, v3, v1
	s_waitcnt lgkmcnt(0)
	v_add_f32_e32 v1, v1, v2
	;; [unrolled: 3-line block ×4, first 2 shown]
.LBB279_14:
	s_or_b32 exec_lo, exec_lo, s0
	s_delay_alu instid0(SALU_CYCLE_1)
	s_mov_b32 s0, exec_lo
	v_cmpx_eq_u32_e32 0, v0
	s_cbranch_execz .LBB279_16
; %bb.15:
	s_lshl_b64 s[0:1], s[2:3], 2
	v_mov_b32_e32 v0, 0
	s_add_u32 s0, s6, s0
	s_addc_u32 s1, s7, s1
	s_waitcnt lgkmcnt(0)
	global_store_b32 v0, v5, s[0:1]
.LBB279_16:
	s_nop 0
	s_sendmsg sendmsg(MSG_DEALLOC_VGPRS)
	s_endpgm
	.section	.rodata,"a",@progbits
	.p2align	6, 0x0
	.amdhsa_kernel _ZL30rocblas_reduction_kernel_part2ILi512ELi4E25rocblas_finalize_identityffEviPT2_PT3_
		.amdhsa_group_segment_fixed_size 128
		.amdhsa_private_segment_fixed_size 0
		.amdhsa_kernarg_size 24
		.amdhsa_user_sgpr_count 15
		.amdhsa_user_sgpr_dispatch_ptr 0
		.amdhsa_user_sgpr_queue_ptr 0
		.amdhsa_user_sgpr_kernarg_segment_ptr 1
		.amdhsa_user_sgpr_dispatch_id 0
		.amdhsa_user_sgpr_private_segment_size 0
		.amdhsa_wavefront_size32 1
		.amdhsa_uses_dynamic_stack 0
		.amdhsa_enable_private_segment 0
		.amdhsa_system_sgpr_workgroup_id_x 1
		.amdhsa_system_sgpr_workgroup_id_y 0
		.amdhsa_system_sgpr_workgroup_id_z 0
		.amdhsa_system_sgpr_workgroup_info 0
		.amdhsa_system_vgpr_workitem_id 0
		.amdhsa_next_free_vgpr 9
		.amdhsa_next_free_sgpr 16
		.amdhsa_reserve_vcc 1
		.amdhsa_float_round_mode_32 0
		.amdhsa_float_round_mode_16_64 0
		.amdhsa_float_denorm_mode_32 3
		.amdhsa_float_denorm_mode_16_64 3
		.amdhsa_dx10_clamp 1
		.amdhsa_ieee_mode 1
		.amdhsa_fp16_overflow 0
		.amdhsa_workgroup_processor_mode 1
		.amdhsa_memory_ordered 1
		.amdhsa_forward_progress 0
		.amdhsa_shared_vgpr_count 0
		.amdhsa_exception_fp_ieee_invalid_op 0
		.amdhsa_exception_fp_denorm_src 0
		.amdhsa_exception_fp_ieee_div_zero 0
		.amdhsa_exception_fp_ieee_overflow 0
		.amdhsa_exception_fp_ieee_underflow 0
		.amdhsa_exception_fp_ieee_inexact 0
		.amdhsa_exception_int_div_zero 0
	.end_amdhsa_kernel
	.section	.text._ZL30rocblas_reduction_kernel_part2ILi512ELi4E25rocblas_finalize_identityffEviPT2_PT3_,"axG",@progbits,_ZL30rocblas_reduction_kernel_part2ILi512ELi4E25rocblas_finalize_identityffEviPT2_PT3_,comdat
.Lfunc_end279:
	.size	_ZL30rocblas_reduction_kernel_part2ILi512ELi4E25rocblas_finalize_identityffEviPT2_PT3_, .Lfunc_end279-_ZL30rocblas_reduction_kernel_part2ILi512ELi4E25rocblas_finalize_identityffEviPT2_PT3_
                                        ; -- End function
	.section	.AMDGPU.csdata,"",@progbits
; Kernel info:
; codeLenInByte = 840
; NumSgprs: 18
; NumVgprs: 9
; ScratchSize: 0
; MemoryBound: 0
; FloatMode: 240
; IeeeMode: 1
; LDSByteSize: 128 bytes/workgroup (compile time only)
; SGPRBlocks: 2
; VGPRBlocks: 1
; NumSGPRsForWavesPerEU: 18
; NumVGPRsForWavesPerEU: 9
; Occupancy: 16
; WaveLimiterHint : 0
; COMPUTE_PGM_RSRC2:SCRATCH_EN: 0
; COMPUTE_PGM_RSRC2:USER_SGPR: 15
; COMPUTE_PGM_RSRC2:TRAP_HANDLER: 0
; COMPUTE_PGM_RSRC2:TGID_X_EN: 1
; COMPUTE_PGM_RSRC2:TGID_Y_EN: 0
; COMPUTE_PGM_RSRC2:TGID_Z_EN: 0
; COMPUTE_PGM_RSRC2:TIDIG_COMP_CNT: 0
	.section	.text._ZL28rocblas_dot_batched_4_kernelIlLi32ELi4ELb1EffPKPKDF16_EviT5_lT_lS4_lS5_liPT4_,"axG",@progbits,_ZL28rocblas_dot_batched_4_kernelIlLi32ELi4ELb1EffPKPKDF16_EviT5_lT_lS4_lS5_liPT4_,comdat
	.globl	_ZL28rocblas_dot_batched_4_kernelIlLi32ELi4ELb1EffPKPKDF16_EviT5_lT_lS4_lS5_liPT4_ ; -- Begin function _ZL28rocblas_dot_batched_4_kernelIlLi32ELi4ELb1EffPKPKDF16_EviT5_lT_lS4_lS5_liPT4_
	.p2align	8
	.type	_ZL28rocblas_dot_batched_4_kernelIlLi32ELi4ELb1EffPKPKDF16_EviT5_lT_lS4_lS5_liPT4_,@function
_ZL28rocblas_dot_batched_4_kernelIlLi32ELi4ELb1EffPKPKDF16_EviT5_lT_lS4_lS5_liPT4_: ; @_ZL28rocblas_dot_batched_4_kernelIlLi32ELi4ELb1EffPKPKDF16_EviT5_lT_lS4_lS5_liPT4_
; %bb.0:
	s_load_b32 s2, s[0:1], 0x48
	v_bfe_u32 v1, v0, 10, 10
	s_delay_alu instid0(VALU_DEP_1) | instskip(SKIP_1) | instid1(VALU_DEP_1)
	v_lshl_add_u32 v1, s15, 2, v1
	s_waitcnt lgkmcnt(0)
	v_cmp_gt_u32_e32 vcc_lo, s2, v1
	s_and_saveexec_b32 s2, vcc_lo
	s_cbranch_execz .LBB280_7
; %bb.1:
	s_clause 0x1
	s_load_b32 s10, s[0:1], 0x0
	s_load_b64 s[8:9], s[0:1], 0x50
	v_mov_b32_e32 v2, 0
	v_and_b32_e32 v0, 0x3ff, v0
	s_mov_b32 s11, exec_lo
	s_delay_alu instid0(VALU_DEP_2) | instskip(SKIP_1) | instid1(VALU_DEP_2)
	v_mov_b32_e32 v7, v2
	s_waitcnt lgkmcnt(0)
	v_cmpx_gt_i32_e64 s10, v0
	s_cbranch_execz .LBB280_5
; %bb.2:
	s_clause 0x1
	s_load_b64 s[12:13], s[0:1], 0x8
	s_load_b64 s[14:15], s[0:1], 0x28
	v_lshlrev_b64 v[3:4], 3, v[1:2]
	s_clause 0x1
	s_load_b128 s[4:7], s[0:1], 0x10
	s_load_b128 s[0:3], s[0:1], 0x30
	s_waitcnt lgkmcnt(0)
	s_delay_alu instid0(VALU_DEP_1)
	v_add_co_u32 v5, vcc_lo, s12, v3
	v_add_co_ci_u32_e32 v6, vcc_lo, s13, v4, vcc_lo
	v_add_co_u32 v3, vcc_lo, s14, v3
	v_add_co_ci_u32_e32 v4, vcc_lo, s15, v4, vcc_lo
	v_mad_u64_u32 v[10:11], null, s2, v0, 0
	global_load_b64 v[5:6], v[5:6], off
	global_load_b64 v[8:9], v[3:4], off
	v_mad_u64_u32 v[3:4], null, s6, v0, 0
	s_lshl_b64 s[4:5], s[4:5], 1
	s_lshl_b64 s[0:1], s[0:1], 1
	v_mov_b32_e32 v7, v11
	s_waitcnt vmcnt(1)
	s_delay_alu instid0(VALU_DEP_2) | instskip(SKIP_1) | instid1(VALU_DEP_2)
	v_mad_u64_u32 v[11:12], null, s7, v0, v[4:5]
	s_waitcnt vmcnt(0)
	v_mad_u64_u32 v[12:13], null, s3, v0, v[7:8]
	v_mov_b32_e32 v7, 0
	s_lshl_b64 s[2:3], s[2:3], 6
	s_delay_alu instid0(VALU_DEP_2) | instskip(NEXT) | instid1(VALU_DEP_1)
	v_dual_mov_b32 v4, v11 :: v_dual_mov_b32 v11, v12
	v_lshlrev_b64 v[3:4], 1, v[3:4]
	s_delay_alu instid0(VALU_DEP_2) | instskip(NEXT) | instid1(VALU_DEP_2)
	v_lshlrev_b64 v[10:11], 1, v[10:11]
	v_add_co_u32 v3, vcc_lo, v3, s4
	s_delay_alu instid0(VALU_DEP_3) | instskip(NEXT) | instid1(VALU_DEP_3)
	v_add_co_ci_u32_e32 v4, vcc_lo, s5, v4, vcc_lo
	v_add_co_u32 v10, vcc_lo, v10, s0
	s_delay_alu instid0(VALU_DEP_4) | instskip(NEXT) | instid1(VALU_DEP_4)
	v_add_co_ci_u32_e32 v11, vcc_lo, s1, v11, vcc_lo
	v_add_co_u32 v3, vcc_lo, v5, v3
	s_delay_alu instid0(VALU_DEP_4) | instskip(NEXT) | instid1(VALU_DEP_4)
	v_add_co_ci_u32_e32 v4, vcc_lo, v6, v4, vcc_lo
	v_add_co_u32 v5, vcc_lo, v8, v10
	s_delay_alu instid0(VALU_DEP_4)
	v_add_co_ci_u32_e32 v6, vcc_lo, v9, v11, vcc_lo
	v_mov_b32_e32 v8, v0
	s_lshl_b64 s[4:5], s[6:7], 6
	s_mov_b32 s1, 0
	.p2align	6
.LBB280_3:                              ; =>This Inner Loop Header: Depth=1
	global_load_u16 v9, v[3:4], off
	global_load_u16 v10, v[5:6], off
	v_add_nc_u32_e32 v8, 32, v8
	v_add_co_u32 v3, vcc_lo, v3, s4
	v_add_co_ci_u32_e32 v4, vcc_lo, s5, v4, vcc_lo
	v_add_co_u32 v5, vcc_lo, v5, s2
	s_delay_alu instid0(VALU_DEP_4) | instskip(SKIP_1) | instid1(VALU_DEP_2)
	v_cmp_le_i32_e64 s0, s10, v8
	v_add_co_ci_u32_e32 v6, vcc_lo, s3, v6, vcc_lo
	s_or_b32 s1, s0, s1
	s_waitcnt vmcnt(0)
	v_fma_mix_f32 v7, v9, v10, v7 op_sel_hi:[1,1,0]
	s_and_not1_b32 exec_lo, exec_lo, s1
	s_cbranch_execnz .LBB280_3
; %bb.4:
	s_or_b32 exec_lo, exec_lo, s1
.LBB280_5:
	s_delay_alu instid0(SALU_CYCLE_1)
	s_or_b32 exec_lo, exec_lo, s11
	v_mbcnt_lo_u32_b32 v3, -1, 0
	s_barrier
	buffer_gl0_inv
	v_cmp_gt_u32_e32 vcc_lo, 16, v3
	v_cndmask_b32_e64 v4, 0, 1, vcc_lo
	v_cmp_gt_u32_e32 vcc_lo, 24, v3
	s_delay_alu instid0(VALU_DEP_2) | instskip(SKIP_2) | instid1(VALU_DEP_3)
	v_lshlrev_b32_e32 v4, 4, v4
	v_cndmask_b32_e64 v5, 0, 1, vcc_lo
	v_cmp_gt_u32_e32 vcc_lo, 28, v3
	v_add_lshl_u32 v4, v4, v3, 2
	v_cndmask_b32_e64 v6, 0, 1, vcc_lo
	v_cmp_gt_u32_e32 vcc_lo, 30, v3
	ds_bpermute_b32 v4, v4, v7
	v_lshlrev_b32_e32 v5, 3, v5
	v_lshlrev_b32_e32 v6, 2, v6
	s_delay_alu instid0(VALU_DEP_1)
	v_add_lshl_u32 v6, v6, v3, 2
	s_waitcnt lgkmcnt(0)
	v_add_f32_e32 v4, v7, v4
	v_add_lshl_u32 v5, v5, v3, 2
	ds_bpermute_b32 v5, v5, v4
	s_waitcnt lgkmcnt(0)
	v_add_f32_e32 v4, v4, v5
	ds_bpermute_b32 v5, v6, v4
	v_cndmask_b32_e64 v6, 0, 1, vcc_lo
	v_cmp_ne_u32_e32 vcc_lo, 31, v3
	s_delay_alu instid0(VALU_DEP_2) | instskip(NEXT) | instid1(VALU_DEP_1)
	v_lshlrev_b32_e32 v6, 1, v6
	v_add_lshl_u32 v6, v6, v3, 2
	s_waitcnt lgkmcnt(0)
	v_add_f32_e32 v4, v4, v5
	ds_bpermute_b32 v5, v6, v4
	v_add_co_ci_u32_e32 v6, vcc_lo, 0, v3, vcc_lo
	v_cmp_eq_u32_e32 vcc_lo, 0, v0
	s_waitcnt lgkmcnt(0)
	s_delay_alu instid0(VALU_DEP_2)
	v_dual_add_f32 v3, v4, v5 :: v_dual_lshlrev_b32 v4, 2, v6
	ds_bpermute_b32 v4, v4, v3
	s_and_b32 exec_lo, exec_lo, vcc_lo
	s_cbranch_execz .LBB280_7
; %bb.6:
	v_lshlrev_b64 v[0:1], 2, v[1:2]
	s_waitcnt lgkmcnt(0)
	v_add_f32_e32 v2, v3, v4
	s_delay_alu instid0(VALU_DEP_2) | instskip(NEXT) | instid1(VALU_DEP_3)
	v_add_co_u32 v0, vcc_lo, s8, v0
	v_add_co_ci_u32_e32 v1, vcc_lo, s9, v1, vcc_lo
	global_store_b32 v[0:1], v2, off
.LBB280_7:
	s_nop 0
	s_sendmsg sendmsg(MSG_DEALLOC_VGPRS)
	s_endpgm
	.section	.rodata,"a",@progbits
	.p2align	6, 0x0
	.amdhsa_kernel _ZL28rocblas_dot_batched_4_kernelIlLi32ELi4ELb1EffPKPKDF16_EviT5_lT_lS4_lS5_liPT4_
		.amdhsa_group_segment_fixed_size 0
		.amdhsa_private_segment_fixed_size 0
		.amdhsa_kernarg_size 88
		.amdhsa_user_sgpr_count 15
		.amdhsa_user_sgpr_dispatch_ptr 0
		.amdhsa_user_sgpr_queue_ptr 0
		.amdhsa_user_sgpr_kernarg_segment_ptr 1
		.amdhsa_user_sgpr_dispatch_id 0
		.amdhsa_user_sgpr_private_segment_size 0
		.amdhsa_wavefront_size32 1
		.amdhsa_uses_dynamic_stack 0
		.amdhsa_enable_private_segment 0
		.amdhsa_system_sgpr_workgroup_id_x 1
		.amdhsa_system_sgpr_workgroup_id_y 0
		.amdhsa_system_sgpr_workgroup_id_z 0
		.amdhsa_system_sgpr_workgroup_info 0
		.amdhsa_system_vgpr_workitem_id 1
		.amdhsa_next_free_vgpr 14
		.amdhsa_next_free_sgpr 16
		.amdhsa_reserve_vcc 1
		.amdhsa_float_round_mode_32 0
		.amdhsa_float_round_mode_16_64 0
		.amdhsa_float_denorm_mode_32 3
		.amdhsa_float_denorm_mode_16_64 3
		.amdhsa_dx10_clamp 1
		.amdhsa_ieee_mode 1
		.amdhsa_fp16_overflow 0
		.amdhsa_workgroup_processor_mode 1
		.amdhsa_memory_ordered 1
		.amdhsa_forward_progress 0
		.amdhsa_shared_vgpr_count 0
		.amdhsa_exception_fp_ieee_invalid_op 0
		.amdhsa_exception_fp_denorm_src 0
		.amdhsa_exception_fp_ieee_div_zero 0
		.amdhsa_exception_fp_ieee_overflow 0
		.amdhsa_exception_fp_ieee_underflow 0
		.amdhsa_exception_fp_ieee_inexact 0
		.amdhsa_exception_int_div_zero 0
	.end_amdhsa_kernel
	.section	.text._ZL28rocblas_dot_batched_4_kernelIlLi32ELi4ELb1EffPKPKDF16_EviT5_lT_lS4_lS5_liPT4_,"axG",@progbits,_ZL28rocblas_dot_batched_4_kernelIlLi32ELi4ELb1EffPKPKDF16_EviT5_lT_lS4_lS5_liPT4_,comdat
.Lfunc_end280:
	.size	_ZL28rocblas_dot_batched_4_kernelIlLi32ELi4ELb1EffPKPKDF16_EviT5_lT_lS4_lS5_liPT4_, .Lfunc_end280-_ZL28rocblas_dot_batched_4_kernelIlLi32ELi4ELb1EffPKPKDF16_EviT5_lT_lS4_lS5_liPT4_
                                        ; -- End function
	.section	.AMDGPU.csdata,"",@progbits
; Kernel info:
; codeLenInByte = 744
; NumSgprs: 18
; NumVgprs: 14
; ScratchSize: 0
; MemoryBound: 0
; FloatMode: 240
; IeeeMode: 1
; LDSByteSize: 0 bytes/workgroup (compile time only)
; SGPRBlocks: 2
; VGPRBlocks: 1
; NumSGPRsForWavesPerEU: 18
; NumVGPRsForWavesPerEU: 14
; Occupancy: 16
; WaveLimiterHint : 0
; COMPUTE_PGM_RSRC2:SCRATCH_EN: 0
; COMPUTE_PGM_RSRC2:USER_SGPR: 15
; COMPUTE_PGM_RSRC2:TRAP_HANDLER: 0
; COMPUTE_PGM_RSRC2:TGID_X_EN: 1
; COMPUTE_PGM_RSRC2:TGID_Y_EN: 0
; COMPUTE_PGM_RSRC2:TGID_Z_EN: 0
; COMPUTE_PGM_RSRC2:TIDIG_COMP_CNT: 1
	.section	.text._ZL28rocblas_dot_batched_4_kernelIlLi64ELi4ELb1EffPKPKDF16_EviT5_lT_lS4_lS5_liPT4_,"axG",@progbits,_ZL28rocblas_dot_batched_4_kernelIlLi64ELi4ELb1EffPKPKDF16_EviT5_lT_lS4_lS5_liPT4_,comdat
	.globl	_ZL28rocblas_dot_batched_4_kernelIlLi64ELi4ELb1EffPKPKDF16_EviT5_lT_lS4_lS5_liPT4_ ; -- Begin function _ZL28rocblas_dot_batched_4_kernelIlLi64ELi4ELb1EffPKPKDF16_EviT5_lT_lS4_lS5_liPT4_
	.p2align	8
	.type	_ZL28rocblas_dot_batched_4_kernelIlLi64ELi4ELb1EffPKPKDF16_EviT5_lT_lS4_lS5_liPT4_,@function
_ZL28rocblas_dot_batched_4_kernelIlLi64ELi4ELb1EffPKPKDF16_EviT5_lT_lS4_lS5_liPT4_: ; @_ZL28rocblas_dot_batched_4_kernelIlLi64ELi4ELb1EffPKPKDF16_EviT5_lT_lS4_lS5_liPT4_
; %bb.0:
	s_load_b32 s2, s[0:1], 0x48
	v_bfe_u32 v1, v0, 10, 10
	s_delay_alu instid0(VALU_DEP_1) | instskip(SKIP_1) | instid1(VALU_DEP_1)
	v_lshl_add_u32 v1, s15, 2, v1
	s_waitcnt lgkmcnt(0)
	v_cmp_gt_u32_e32 vcc_lo, s2, v1
	s_and_saveexec_b32 s2, vcc_lo
	s_cbranch_execz .LBB281_7
; %bb.1:
	s_clause 0x1
	s_load_b32 s10, s[0:1], 0x0
	s_load_b64 s[8:9], s[0:1], 0x50
	v_mov_b32_e32 v2, 0
	v_and_b32_e32 v0, 0x3ff, v0
	s_mov_b32 s11, exec_lo
	s_delay_alu instid0(VALU_DEP_2) | instskip(SKIP_1) | instid1(VALU_DEP_2)
	v_mov_b32_e32 v7, v2
	s_waitcnt lgkmcnt(0)
	v_cmpx_gt_i32_e64 s10, v0
	s_cbranch_execz .LBB281_5
; %bb.2:
	s_clause 0x1
	s_load_b64 s[12:13], s[0:1], 0x8
	s_load_b64 s[14:15], s[0:1], 0x28
	v_lshlrev_b64 v[3:4], 3, v[1:2]
	s_clause 0x1
	s_load_b128 s[4:7], s[0:1], 0x10
	s_load_b128 s[0:3], s[0:1], 0x30
	s_waitcnt lgkmcnt(0)
	s_delay_alu instid0(VALU_DEP_1)
	v_add_co_u32 v5, vcc_lo, s12, v3
	v_add_co_ci_u32_e32 v6, vcc_lo, s13, v4, vcc_lo
	v_add_co_u32 v3, vcc_lo, s14, v3
	v_add_co_ci_u32_e32 v4, vcc_lo, s15, v4, vcc_lo
	v_mad_u64_u32 v[10:11], null, s2, v0, 0
	global_load_b64 v[5:6], v[5:6], off
	global_load_b64 v[8:9], v[3:4], off
	v_mad_u64_u32 v[3:4], null, s6, v0, 0
	s_lshl_b64 s[4:5], s[4:5], 1
	s_lshl_b64 s[0:1], s[0:1], 1
	v_mov_b32_e32 v7, v11
	s_waitcnt vmcnt(1)
	s_delay_alu instid0(VALU_DEP_2) | instskip(SKIP_1) | instid1(VALU_DEP_2)
	v_mad_u64_u32 v[11:12], null, s7, v0, v[4:5]
	s_waitcnt vmcnt(0)
	v_mad_u64_u32 v[12:13], null, s3, v0, v[7:8]
	v_mov_b32_e32 v7, 0
	s_lshl_b64 s[2:3], s[2:3], 7
	s_delay_alu instid0(VALU_DEP_2) | instskip(NEXT) | instid1(VALU_DEP_1)
	v_dual_mov_b32 v4, v11 :: v_dual_mov_b32 v11, v12
	v_lshlrev_b64 v[3:4], 1, v[3:4]
	s_delay_alu instid0(VALU_DEP_2) | instskip(NEXT) | instid1(VALU_DEP_2)
	v_lshlrev_b64 v[10:11], 1, v[10:11]
	v_add_co_u32 v3, vcc_lo, v3, s4
	s_delay_alu instid0(VALU_DEP_3) | instskip(NEXT) | instid1(VALU_DEP_3)
	v_add_co_ci_u32_e32 v4, vcc_lo, s5, v4, vcc_lo
	v_add_co_u32 v10, vcc_lo, v10, s0
	s_delay_alu instid0(VALU_DEP_4) | instskip(NEXT) | instid1(VALU_DEP_4)
	v_add_co_ci_u32_e32 v11, vcc_lo, s1, v11, vcc_lo
	v_add_co_u32 v3, vcc_lo, v5, v3
	s_delay_alu instid0(VALU_DEP_4) | instskip(NEXT) | instid1(VALU_DEP_4)
	v_add_co_ci_u32_e32 v4, vcc_lo, v6, v4, vcc_lo
	v_add_co_u32 v5, vcc_lo, v8, v10
	s_delay_alu instid0(VALU_DEP_4)
	v_add_co_ci_u32_e32 v6, vcc_lo, v9, v11, vcc_lo
	v_mov_b32_e32 v8, v0
	s_lshl_b64 s[4:5], s[6:7], 7
	s_mov_b32 s1, 0
	.p2align	6
.LBB281_3:                              ; =>This Inner Loop Header: Depth=1
	global_load_u16 v9, v[3:4], off
	global_load_u16 v10, v[5:6], off
	v_add_nc_u32_e32 v8, 64, v8
	v_add_co_u32 v3, vcc_lo, v3, s4
	v_add_co_ci_u32_e32 v4, vcc_lo, s5, v4, vcc_lo
	v_add_co_u32 v5, vcc_lo, v5, s2
	s_delay_alu instid0(VALU_DEP_4) | instskip(SKIP_1) | instid1(VALU_DEP_2)
	v_cmp_le_i32_e64 s0, s10, v8
	v_add_co_ci_u32_e32 v6, vcc_lo, s3, v6, vcc_lo
	s_or_b32 s1, s0, s1
	s_waitcnt vmcnt(0)
	v_fma_mix_f32 v7, v9, v10, v7 op_sel_hi:[1,1,0]
	s_and_not1_b32 exec_lo, exec_lo, s1
	s_cbranch_execnz .LBB281_3
; %bb.4:
	s_or_b32 exec_lo, exec_lo, s1
.LBB281_5:
	s_delay_alu instid0(SALU_CYCLE_1)
	s_or_b32 exec_lo, exec_lo, s11
	v_mbcnt_lo_u32_b32 v3, -1, 0
	s_barrier
	buffer_gl0_inv
	v_lshlrev_b32_e32 v4, 2, v3
	v_cmp_gt_u32_e32 vcc_lo, 16, v3
	ds_bpermute_b32 v4, v4, v7
	v_cndmask_b32_e64 v5, 0, 1, vcc_lo
	v_cmp_gt_u32_e32 vcc_lo, 24, v3
	s_delay_alu instid0(VALU_DEP_2) | instskip(SKIP_2) | instid1(VALU_DEP_2)
	v_lshlrev_b32_e32 v5, 4, v5
	v_cndmask_b32_e64 v6, 0, 1, vcc_lo
	v_cmp_gt_u32_e32 vcc_lo, 28, v3
	v_lshlrev_b32_e32 v6, 3, v6
	s_delay_alu instid0(VALU_DEP_1)
	v_add_lshl_u32 v6, v6, v3, 2
	s_waitcnt lgkmcnt(0)
	v_add_f32_e32 v4, v7, v4
	v_add_lshl_u32 v5, v5, v3, 2
	ds_bpermute_b32 v5, v5, v4
	s_waitcnt lgkmcnt(0)
	v_add_f32_e32 v4, v4, v5
	ds_bpermute_b32 v5, v6, v4
	v_cndmask_b32_e64 v6, 0, 1, vcc_lo
	v_cmp_gt_u32_e32 vcc_lo, 30, v3
	s_delay_alu instid0(VALU_DEP_2) | instskip(NEXT) | instid1(VALU_DEP_1)
	v_lshlrev_b32_e32 v6, 2, v6
	v_add_lshl_u32 v6, v6, v3, 2
	s_waitcnt lgkmcnt(0)
	v_add_f32_e32 v4, v4, v5
	ds_bpermute_b32 v5, v6, v4
	v_cndmask_b32_e64 v6, 0, 1, vcc_lo
	v_cmp_ne_u32_e32 vcc_lo, 31, v3
	s_delay_alu instid0(VALU_DEP_2) | instskip(NEXT) | instid1(VALU_DEP_1)
	v_lshlrev_b32_e32 v6, 1, v6
	v_add_lshl_u32 v6, v6, v3, 2
	s_waitcnt lgkmcnt(0)
	v_add_f32_e32 v4, v4, v5
	ds_bpermute_b32 v5, v6, v4
	v_add_co_ci_u32_e32 v6, vcc_lo, 0, v3, vcc_lo
	v_cmp_eq_u32_e32 vcc_lo, 0, v0
	s_waitcnt lgkmcnt(0)
	s_delay_alu instid0(VALU_DEP_2)
	v_dual_add_f32 v3, v4, v5 :: v_dual_lshlrev_b32 v4, 2, v6
	ds_bpermute_b32 v4, v4, v3
	s_and_b32 exec_lo, exec_lo, vcc_lo
	s_cbranch_execz .LBB281_7
; %bb.6:
	v_lshlrev_b64 v[0:1], 2, v[1:2]
	s_waitcnt lgkmcnt(0)
	v_add_f32_e32 v2, v3, v4
	s_delay_alu instid0(VALU_DEP_2) | instskip(NEXT) | instid1(VALU_DEP_3)
	v_add_co_u32 v0, vcc_lo, s8, v0
	v_add_co_ci_u32_e32 v1, vcc_lo, s9, v1, vcc_lo
	global_store_b32 v[0:1], v2, off
.LBB281_7:
	s_nop 0
	s_sendmsg sendmsg(MSG_DEALLOC_VGPRS)
	s_endpgm
	.section	.rodata,"a",@progbits
	.p2align	6, 0x0
	.amdhsa_kernel _ZL28rocblas_dot_batched_4_kernelIlLi64ELi4ELb1EffPKPKDF16_EviT5_lT_lS4_lS5_liPT4_
		.amdhsa_group_segment_fixed_size 0
		.amdhsa_private_segment_fixed_size 0
		.amdhsa_kernarg_size 88
		.amdhsa_user_sgpr_count 15
		.amdhsa_user_sgpr_dispatch_ptr 0
		.amdhsa_user_sgpr_queue_ptr 0
		.amdhsa_user_sgpr_kernarg_segment_ptr 1
		.amdhsa_user_sgpr_dispatch_id 0
		.amdhsa_user_sgpr_private_segment_size 0
		.amdhsa_wavefront_size32 1
		.amdhsa_uses_dynamic_stack 0
		.amdhsa_enable_private_segment 0
		.amdhsa_system_sgpr_workgroup_id_x 1
		.amdhsa_system_sgpr_workgroup_id_y 0
		.amdhsa_system_sgpr_workgroup_id_z 0
		.amdhsa_system_sgpr_workgroup_info 0
		.amdhsa_system_vgpr_workitem_id 1
		.amdhsa_next_free_vgpr 14
		.amdhsa_next_free_sgpr 16
		.amdhsa_reserve_vcc 1
		.amdhsa_float_round_mode_32 0
		.amdhsa_float_round_mode_16_64 0
		.amdhsa_float_denorm_mode_32 3
		.amdhsa_float_denorm_mode_16_64 3
		.amdhsa_dx10_clamp 1
		.amdhsa_ieee_mode 1
		.amdhsa_fp16_overflow 0
		.amdhsa_workgroup_processor_mode 1
		.amdhsa_memory_ordered 1
		.amdhsa_forward_progress 0
		.amdhsa_shared_vgpr_count 0
		.amdhsa_exception_fp_ieee_invalid_op 0
		.amdhsa_exception_fp_denorm_src 0
		.amdhsa_exception_fp_ieee_div_zero 0
		.amdhsa_exception_fp_ieee_overflow 0
		.amdhsa_exception_fp_ieee_underflow 0
		.amdhsa_exception_fp_ieee_inexact 0
		.amdhsa_exception_int_div_zero 0
	.end_amdhsa_kernel
	.section	.text._ZL28rocblas_dot_batched_4_kernelIlLi64ELi4ELb1EffPKPKDF16_EviT5_lT_lS4_lS5_liPT4_,"axG",@progbits,_ZL28rocblas_dot_batched_4_kernelIlLi64ELi4ELb1EffPKPKDF16_EviT5_lT_lS4_lS5_liPT4_,comdat
.Lfunc_end281:
	.size	_ZL28rocblas_dot_batched_4_kernelIlLi64ELi4ELb1EffPKPKDF16_EviT5_lT_lS4_lS5_liPT4_, .Lfunc_end281-_ZL28rocblas_dot_batched_4_kernelIlLi64ELi4ELb1EffPKPKDF16_EviT5_lT_lS4_lS5_liPT4_
                                        ; -- End function
	.section	.AMDGPU.csdata,"",@progbits
; Kernel info:
; codeLenInByte = 768
; NumSgprs: 18
; NumVgprs: 14
; ScratchSize: 0
; MemoryBound: 0
; FloatMode: 240
; IeeeMode: 1
; LDSByteSize: 0 bytes/workgroup (compile time only)
; SGPRBlocks: 2
; VGPRBlocks: 1
; NumSGPRsForWavesPerEU: 18
; NumVGPRsForWavesPerEU: 14
; Occupancy: 16
; WaveLimiterHint : 0
; COMPUTE_PGM_RSRC2:SCRATCH_EN: 0
; COMPUTE_PGM_RSRC2:USER_SGPR: 15
; COMPUTE_PGM_RSRC2:TRAP_HANDLER: 0
; COMPUTE_PGM_RSRC2:TGID_X_EN: 1
; COMPUTE_PGM_RSRC2:TGID_Y_EN: 0
; COMPUTE_PGM_RSRC2:TGID_Z_EN: 0
; COMPUTE_PGM_RSRC2:TIDIG_COMP_CNT: 1
	.section	.text._ZL26rocblas_dot_kernel_inc1by2ILb1ELi1024ELi32ELb1EfPKPKDF16_fEviT4_llS4_lliPT5_PT3_,"axG",@progbits,_ZL26rocblas_dot_kernel_inc1by2ILb1ELi1024ELi32ELb1EfPKPKDF16_fEviT4_llS4_lliPT5_PT3_,comdat
	.globl	_ZL26rocblas_dot_kernel_inc1by2ILb1ELi1024ELi32ELb1EfPKPKDF16_fEviT4_llS4_lliPT5_PT3_ ; -- Begin function _ZL26rocblas_dot_kernel_inc1by2ILb1ELi1024ELi32ELb1EfPKPKDF16_fEviT4_llS4_lliPT5_PT3_
	.p2align	8
	.type	_ZL26rocblas_dot_kernel_inc1by2ILb1ELi1024ELi32ELb1EfPKPKDF16_fEviT4_llS4_lliPT5_PT3_,@function
_ZL26rocblas_dot_kernel_inc1by2ILb1ELi1024ELi32ELb1EfPKPKDF16_fEviT4_llS4_lliPT5_PT3_: ; @_ZL26rocblas_dot_kernel_inc1by2ILb1ELi1024ELi32ELb1EfPKPKDF16_fEviT4_llS4_lliPT5_PT3_
; %bb.0:
	s_clause 0x1
	s_load_b128 s[8:11], s[0:1], 0x8
	s_load_b128 s[4:7], s[0:1], 0x20
	s_mov_b32 s2, s15
	s_mov_b32 s3, 0
	s_clause 0x1
	s_load_b32 s14, s[0:1], 0x0
	s_load_b64 s[12:13], s[0:1], 0x48
	s_lshl_b64 s[16:17], s[2:3], 3
	v_dual_mov_b32 v5, 0 :: v_dual_lshlrev_b32 v6, 1, v0
	s_waitcnt lgkmcnt(0)
	s_add_u32 s0, s8, s16
	s_addc_u32 s1, s9, s17
	s_add_u32 s4, s4, s16
	s_addc_u32 s5, s5, s17
	s_load_b64 s[8:9], s[0:1], 0x0
	s_load_b64 s[4:5], s[4:5], 0x0
	s_add_i32 s0, s14, -1
	s_mov_b32 s1, exec_lo
	v_cmpx_gt_i32_e64 s0, v6
	s_cbranch_execz .LBB282_4
; %bb.1:
	v_lshlrev_b32_e32 v3, 2, v0
	s_lshl_b64 s[16:17], s[6:7], 1
	v_mov_b32_e32 v5, 0
	s_waitcnt lgkmcnt(0)
	s_add_u32 s15, s4, s16
	s_addc_u32 s18, s5, s17
	s_lshl_b64 s[16:17], s[10:11], 1
	v_add_co_u32 v1, s15, s15, v3
	s_delay_alu instid0(VALU_DEP_1) | instskip(SKIP_3) | instid1(VALU_DEP_1)
	v_add_co_ci_u32_e64 v2, null, s18, 0, s15
	s_add_u32 s15, s8, s16
	s_addc_u32 s16, s9, s17
	v_add_co_u32 v3, s15, s15, v3
	v_add_co_ci_u32_e64 v4, null, s16, 0, s15
	s_mov_b32 s15, s3
	s_mov_b32 s16, s3
	.p2align	6
.LBB282_2:                              ; =>This Inner Loop Header: Depth=1
	global_load_b32 v7, v[1:2], off
	global_load_b32 v8, v[3:4], off
	v_add_co_u32 v1, vcc_lo, 0x1000, v1
	v_add_nc_u32_e32 v6, 0x800, v6
	v_add_co_ci_u32_e32 v2, vcc_lo, 0, v2, vcc_lo
	v_add_co_u32 v3, vcc_lo, 0x1000, v3
	v_add_co_ci_u32_e32 v4, vcc_lo, 0, v4, vcc_lo
	s_add_i32 s17, s16, 1
	s_cmp_gt_u32 s16, 30
	s_cselect_b32 s16, -1, 0
	s_waitcnt vmcnt(0)
	v_dot2acc_f32_f16 v5, v7, v8
	v_cmp_le_i32_e32 vcc_lo, s0, v6
	s_or_b32 s16, s16, vcc_lo
	s_delay_alu instid0(SALU_CYCLE_1) | instskip(NEXT) | instid1(SALU_CYCLE_1)
	s_and_b32 s16, exec_lo, s16
	s_or_b32 s15, s16, s15
	s_mov_b32 s16, s17
	s_and_not1_b32 exec_lo, exec_lo, s15
	s_cbranch_execnz .LBB282_2
; %bb.3:
	s_or_b32 exec_lo, exec_lo, s15
.LBB282_4:
	s_delay_alu instid0(SALU_CYCLE_1) | instskip(SKIP_3) | instid1(SALU_CYCLE_1)
	s_or_b32 exec_lo, exec_lo, s1
	v_cmp_eq_u32_e32 vcc_lo, s0, v6
	s_bitcmp1_b32 s14, 0
	s_cselect_b32 s1, -1, 0
	s_and_b32 s1, s1, vcc_lo
	s_delay_alu instid0(SALU_CYCLE_1)
	s_and_saveexec_b32 s14, s1
	s_cbranch_execz .LBB282_6
; %bb.5:
	s_lshl_b64 s[10:11], s[10:11], 1
	s_mov_b32 s1, 0
	s_waitcnt lgkmcnt(0)
	s_add_u32 s8, s8, s10
	s_addc_u32 s9, s9, s11
	s_lshl_b64 s[6:7], s[6:7], 1
	v_mov_b32_e32 v1, 0
	s_add_u32 s4, s4, s6
	s_addc_u32 s5, s5, s7
	s_lshl_b64 s[0:1], s[0:1], 1
	s_delay_alu instid0(SALU_CYCLE_1)
	s_add_u32 s4, s4, s0
	s_addc_u32 s5, s5, s1
	s_add_u32 s0, s8, s0
	s_addc_u32 s1, s9, s1
	s_clause 0x1
	global_load_u16 v2, v1, s[4:5]
	global_load_u16 v1, v1, s[0:1]
	s_waitcnt vmcnt(0)
	v_fma_mix_f32 v5, v2, v1, v5 op_sel_hi:[1,1,0]
.LBB282_6:
	s_or_b32 exec_lo, exec_lo, s14
	v_and_b32_e32 v7, 31, v0
	v_cmp_gt_u32_e32 vcc_lo, 32, v0
	s_delay_alu instid0(VALU_DEP_2)
	v_lshlrev_b32_e32 v1, 2, v7
	s_and_saveexec_b32 s0, vcc_lo
	s_cbranch_execz .LBB282_8
; %bb.7:
	v_mov_b32_e32 v2, 0
	ds_store_b32 v1, v2
.LBB282_8:
	s_or_b32 exec_lo, exec_lo, s0
	v_mbcnt_lo_u32_b32 v6, -1, 0
	s_mov_b32 s1, exec_lo
	s_waitcnt lgkmcnt(0)
	s_barrier
	buffer_gl0_inv
	v_cmp_gt_u32_e64 s0, 16, v6
	s_delay_alu instid0(VALU_DEP_1) | instskip(SKIP_1) | instid1(VALU_DEP_2)
	v_cndmask_b32_e64 v2, 0, 1, s0
	v_cmp_gt_u32_e64 s0, 24, v6
	v_lshlrev_b32_e32 v2, 4, v2
	s_delay_alu instid0(VALU_DEP_2) | instskip(SKIP_1) | instid1(VALU_DEP_3)
	v_cndmask_b32_e64 v3, 0, 1, s0
	v_cmp_gt_u32_e64 s0, 28, v6
	v_add_lshl_u32 v2, v2, v6, 2
	ds_bpermute_b32 v4, v2, v5
	s_waitcnt lgkmcnt(0)
	v_add_f32_e32 v5, v5, v4
	v_lshlrev_b32_e32 v3, 3, v3
	v_cndmask_b32_e64 v4, 0, 1, s0
	v_cmp_gt_u32_e64 s0, 30, v6
	s_delay_alu instid0(VALU_DEP_3) | instskip(NEXT) | instid1(VALU_DEP_3)
	v_add_lshl_u32 v3, v3, v6, 2
	v_lshlrev_b32_e32 v4, 2, v4
	ds_bpermute_b32 v8, v3, v5
	v_add_lshl_u32 v4, v4, v6, 2
	s_waitcnt lgkmcnt(0)
	v_add_f32_e32 v8, v5, v8
	v_cndmask_b32_e64 v5, 0, 1, s0
	v_cmp_ne_u32_e64 s0, 31, v6
	ds_bpermute_b32 v9, v4, v8
	v_lshlrev_b32_e32 v5, 1, v5
	s_delay_alu instid0(VALU_DEP_1) | instskip(SKIP_1) | instid1(VALU_DEP_1)
	v_add_lshl_u32 v5, v5, v6, 2
	v_add_co_ci_u32_e64 v6, s0, 0, v6, s0
	v_lshlrev_b32_e32 v6, 2, v6
	s_waitcnt lgkmcnt(0)
	v_add_f32_e32 v8, v8, v9
	ds_bpermute_b32 v9, v5, v8
	s_waitcnt lgkmcnt(0)
	v_add_f32_e32 v8, v8, v9
	ds_bpermute_b32 v9, v6, v8
	v_cmpx_eq_u32_e32 0, v7
	s_cbranch_execz .LBB282_10
; %bb.9:
	v_lshrrev_b32_e32 v7, 3, v0
	s_waitcnt lgkmcnt(0)
	s_delay_alu instid0(VALU_DEP_1)
	v_dual_add_f32 v8, v8, v9 :: v_dual_and_b32 v7, 0x7c, v7
	ds_store_b32 v7, v8
.LBB282_10:
	s_or_b32 exec_lo, exec_lo, s1
	v_mov_b32_e32 v7, 0
	s_waitcnt lgkmcnt(0)
	s_barrier
	buffer_gl0_inv
	s_and_saveexec_b32 s0, vcc_lo
	s_cbranch_execz .LBB282_12
; %bb.11:
	ds_load_b32 v7, v1
.LBB282_12:
	s_or_b32 exec_lo, exec_lo, s0
	s_and_saveexec_b32 s0, vcc_lo
	s_cbranch_execz .LBB282_14
; %bb.13:
	s_waitcnt lgkmcnt(0)
	ds_bpermute_b32 v1, v2, v7
	s_waitcnt lgkmcnt(0)
	v_add_f32_e32 v1, v7, v1
	ds_bpermute_b32 v2, v3, v1
	s_waitcnt lgkmcnt(0)
	v_add_f32_e32 v1, v1, v2
	ds_bpermute_b32 v2, v4, v1
	s_waitcnt lgkmcnt(0)
	v_add_f32_e32 v1, v1, v2
	ds_bpermute_b32 v2, v5, v1
	s_waitcnt lgkmcnt(0)
	v_add_f32_e32 v1, v1, v2
	ds_bpermute_b32 v2, v6, v1
	s_waitcnt lgkmcnt(0)
	v_add_f32_e32 v7, v1, v2
.LBB282_14:
	s_or_b32 exec_lo, exec_lo, s0
	s_delay_alu instid0(SALU_CYCLE_1)
	s_mov_b32 s0, exec_lo
	v_cmpx_eq_u32_e32 0, v0
	s_cbranch_execz .LBB282_16
; %bb.15:
	s_lshl_b64 s[0:1], s[2:3], 2
	v_mov_b32_e32 v0, 0
	s_add_u32 s0, s12, s0
	s_addc_u32 s1, s13, s1
	s_waitcnt lgkmcnt(0)
	global_store_b32 v0, v7, s[0:1]
.LBB282_16:
	s_nop 0
	s_sendmsg sendmsg(MSG_DEALLOC_VGPRS)
	s_endpgm
	.section	.rodata,"a",@progbits
	.p2align	6, 0x0
	.amdhsa_kernel _ZL26rocblas_dot_kernel_inc1by2ILb1ELi1024ELi32ELb1EfPKPKDF16_fEviT4_llS4_lliPT5_PT3_
		.amdhsa_group_segment_fixed_size 128
		.amdhsa_private_segment_fixed_size 0
		.amdhsa_kernarg_size 80
		.amdhsa_user_sgpr_count 14
		.amdhsa_user_sgpr_dispatch_ptr 0
		.amdhsa_user_sgpr_queue_ptr 0
		.amdhsa_user_sgpr_kernarg_segment_ptr 1
		.amdhsa_user_sgpr_dispatch_id 0
		.amdhsa_user_sgpr_private_segment_size 0
		.amdhsa_wavefront_size32 1
		.amdhsa_uses_dynamic_stack 0
		.amdhsa_enable_private_segment 0
		.amdhsa_system_sgpr_workgroup_id_x 1
		.amdhsa_system_sgpr_workgroup_id_y 0
		.amdhsa_system_sgpr_workgroup_id_z 1
		.amdhsa_system_sgpr_workgroup_info 0
		.amdhsa_system_vgpr_workitem_id 0
		.amdhsa_next_free_vgpr 10
		.amdhsa_next_free_sgpr 19
		.amdhsa_reserve_vcc 1
		.amdhsa_float_round_mode_32 0
		.amdhsa_float_round_mode_16_64 0
		.amdhsa_float_denorm_mode_32 3
		.amdhsa_float_denorm_mode_16_64 3
		.amdhsa_dx10_clamp 1
		.amdhsa_ieee_mode 1
		.amdhsa_fp16_overflow 0
		.amdhsa_workgroup_processor_mode 1
		.amdhsa_memory_ordered 1
		.amdhsa_forward_progress 0
		.amdhsa_shared_vgpr_count 0
		.amdhsa_exception_fp_ieee_invalid_op 0
		.amdhsa_exception_fp_denorm_src 0
		.amdhsa_exception_fp_ieee_div_zero 0
		.amdhsa_exception_fp_ieee_overflow 0
		.amdhsa_exception_fp_ieee_underflow 0
		.amdhsa_exception_fp_ieee_inexact 0
		.amdhsa_exception_int_div_zero 0
	.end_amdhsa_kernel
	.section	.text._ZL26rocblas_dot_kernel_inc1by2ILb1ELi1024ELi32ELb1EfPKPKDF16_fEviT4_llS4_lliPT5_PT3_,"axG",@progbits,_ZL26rocblas_dot_kernel_inc1by2ILb1ELi1024ELi32ELb1EfPKPKDF16_fEviT4_llS4_lliPT5_PT3_,comdat
.Lfunc_end282:
	.size	_ZL26rocblas_dot_kernel_inc1by2ILb1ELi1024ELi32ELb1EfPKPKDF16_fEviT4_llS4_lliPT5_PT3_, .Lfunc_end282-_ZL26rocblas_dot_kernel_inc1by2ILb1ELi1024ELi32ELb1EfPKPKDF16_fEviT4_llS4_lliPT5_PT3_
                                        ; -- End function
	.section	.AMDGPU.csdata,"",@progbits
; Kernel info:
; codeLenInByte = 964
; NumSgprs: 21
; NumVgprs: 10
; ScratchSize: 0
; MemoryBound: 0
; FloatMode: 240
; IeeeMode: 1
; LDSByteSize: 128 bytes/workgroup (compile time only)
; SGPRBlocks: 2
; VGPRBlocks: 1
; NumSGPRsForWavesPerEU: 21
; NumVGPRsForWavesPerEU: 10
; Occupancy: 16
; WaveLimiterHint : 1
; COMPUTE_PGM_RSRC2:SCRATCH_EN: 0
; COMPUTE_PGM_RSRC2:USER_SGPR: 14
; COMPUTE_PGM_RSRC2:TRAP_HANDLER: 0
; COMPUTE_PGM_RSRC2:TGID_X_EN: 1
; COMPUTE_PGM_RSRC2:TGID_Y_EN: 0
; COMPUTE_PGM_RSRC2:TGID_Z_EN: 1
; COMPUTE_PGM_RSRC2:TIDIG_COMP_CNT: 0
	.section	.text._ZL18rocblas_dot_kernelIlLb1ELi1024ELi32ELb1EfPKPKDF16_fEviT5_lT_lS4_lS5_liPT6_PT4_,"axG",@progbits,_ZL18rocblas_dot_kernelIlLb1ELi1024ELi32ELb1EfPKPKDF16_fEviT5_lT_lS4_lS5_liPT6_PT4_,comdat
	.globl	_ZL18rocblas_dot_kernelIlLb1ELi1024ELi32ELb1EfPKPKDF16_fEviT5_lT_lS4_lS5_liPT6_PT4_ ; -- Begin function _ZL18rocblas_dot_kernelIlLb1ELi1024ELi32ELb1EfPKPKDF16_fEviT5_lT_lS4_lS5_liPT6_PT4_
	.p2align	8
	.type	_ZL18rocblas_dot_kernelIlLb1ELi1024ELi32ELb1EfPKPKDF16_fEviT5_lT_lS4_lS5_liPT6_PT4_,@function
_ZL18rocblas_dot_kernelIlLb1ELi1024ELi32ELb1EfPKPKDF16_fEviT5_lT_lS4_lS5_liPT6_PT4_: ; @_ZL18rocblas_dot_kernelIlLb1ELi1024ELi32ELb1EfPKPKDF16_fEviT5_lT_lS4_lS5_liPT6_PT4_
; %bb.0:
	s_clause 0x1
	s_load_b32 s14, s[0:1], 0x0
	s_load_b64 s[2:3], s[0:1], 0x58
	v_mov_b32_e32 v5, 0
	s_mov_b32 s12, s15
	s_mov_b32 s13, 0
	s_mov_b32 s15, exec_lo
	s_waitcnt lgkmcnt(0)
	v_cmpx_gt_i32_e64 s14, v0
	s_cbranch_execz .LBB283_4
; %bb.1:
	s_clause 0x4
	s_load_b64 s[16:17], s[0:1], 0x8
	s_load_b128 s[8:11], s[0:1], 0x10
	s_load_b128 s[4:7], s[0:1], 0x30
	s_load_b64 s[18:19], s[0:1], 0x28
	s_load_b32 s20, s[0:1], 0x60
	s_lshl_b64 s[0:1], s[12:13], 3
	s_waitcnt lgkmcnt(0)
	s_add_u32 s16, s16, s0
	v_mad_u64_u32 v[1:2], null, s10, v0, 0
	v_mad_u64_u32 v[3:4], null, s6, v0, 0
	s_addc_u32 s17, s17, s1
	s_add_u32 s18, s18, s0
	s_load_b64 s[16:17], s[16:17], 0x0
	s_addc_u32 s19, s19, s1
	s_lshl_b64 s[8:9], s[8:9], 1
	s_load_b64 s[18:19], s[18:19], 0x0
	s_delay_alu instid0(VALU_DEP_1) | instskip(SKIP_2) | instid1(SALU_CYCLE_1)
	v_mad_u64_u32 v[7:8], null, s11, v0, v[2:3]
	v_mov_b32_e32 v5, 0
	s_lshl_b32 s1, s20, 10
	s_mul_hi_u32 s0, s10, s1
	s_mul_i32 s11, s11, s1
	s_mul_i32 s20, s10, s1
	s_delay_alu instid0(VALU_DEP_2) | instskip(SKIP_3) | instid1(VALU_DEP_2)
	v_mov_b32_e32 v2, v7
	v_mad_u64_u32 v[8:9], null, s7, v0, v[4:5]
	s_mul_hi_u32 s23, s6, s1
	s_mul_i32 s22, s6, s1
	v_lshlrev_b64 v[1:2], 1, v[1:2]
	s_mul_i32 s7, s7, s1
	v_or_b32_e32 v6, s1, v0
	s_waitcnt lgkmcnt(0)
	s_add_u32 s16, s16, s8
	v_mov_b32_e32 v4, v8
	s_addc_u32 s17, s17, s9
	s_ashr_i32 s24, s1, 31
	s_lshl_b64 s[8:9], s[4:5], 1
	s_mul_i32 s4, s10, s24
	v_lshlrev_b64 v[3:4], 1, v[3:4]
	s_add_i32 s0, s0, s4
	v_add_co_u32 v1, vcc_lo, s16, v1
	s_add_i32 s21, s0, s11
	s_mul_i32 s0, s6, s24
	s_lshl_b64 s[4:5], s[20:21], 1
	s_add_u32 s6, s18, s8
	v_add_co_ci_u32_e32 v2, vcc_lo, s17, v2, vcc_lo
	s_addc_u32 s8, s19, s9
	v_add_co_u32 v3, vcc_lo, s6, v3
	s_add_i32 s0, s23, s0
	v_add_co_ci_u32_e32 v4, vcc_lo, s8, v4, vcc_lo
	s_add_i32 s23, s0, s7
	s_mov_b32 s8, s13
	s_lshl_b64 s[6:7], s[22:23], 1
	s_mov_b32 s9, s13
	.p2align	6
.LBB283_2:                              ; =>This Inner Loop Header: Depth=1
	global_load_u16 v7, v[3:4], off
	global_load_u16 v8, v[1:2], off
	v_add_co_u32 v1, s0, v1, s4
	s_delay_alu instid0(VALU_DEP_1)
	v_add_co_ci_u32_e64 v2, s0, s5, v2, s0
	s_add_i32 s10, s9, 1
	v_cmp_le_i32_e32 vcc_lo, s14, v6
	v_add_co_u32 v3, s0, v3, s6
	s_cmp_gt_u32 s9, 30
	v_add_co_ci_u32_e64 v4, s0, s7, v4, s0
	s_cselect_b32 s0, -1, 0
	v_add_nc_u32_e32 v6, s1, v6
	s_or_b32 s0, s0, vcc_lo
	s_mov_b32 s9, s10
	s_and_b32 s0, exec_lo, s0
	s_delay_alu instid0(SALU_CYCLE_1)
	s_or_b32 s8, s0, s8
	s_waitcnt vmcnt(0)
	v_fma_mix_f32 v5, v7, v8, v5 op_sel_hi:[1,1,0]
	s_and_not1_b32 exec_lo, exec_lo, s8
	s_cbranch_execnz .LBB283_2
; %bb.3:
	s_or_b32 exec_lo, exec_lo, s8
.LBB283_4:
	s_delay_alu instid0(SALU_CYCLE_1) | instskip(SKIP_2) | instid1(VALU_DEP_2)
	s_or_b32 exec_lo, exec_lo, s15
	v_and_b32_e32 v7, 31, v0
	v_cmp_gt_u32_e32 vcc_lo, 32, v0
	v_lshlrev_b32_e32 v1, 2, v7
	s_and_saveexec_b32 s0, vcc_lo
	s_cbranch_execz .LBB283_6
; %bb.5:
	v_mov_b32_e32 v2, 0
	ds_store_b32 v1, v2
.LBB283_6:
	s_or_b32 exec_lo, exec_lo, s0
	v_mbcnt_lo_u32_b32 v6, -1, 0
	s_mov_b32 s1, exec_lo
	s_waitcnt lgkmcnt(0)
	s_barrier
	buffer_gl0_inv
	v_cmp_gt_u32_e64 s0, 16, v6
	s_delay_alu instid0(VALU_DEP_1) | instskip(SKIP_1) | instid1(VALU_DEP_2)
	v_cndmask_b32_e64 v2, 0, 1, s0
	v_cmp_gt_u32_e64 s0, 24, v6
	v_lshlrev_b32_e32 v2, 4, v2
	s_delay_alu instid0(VALU_DEP_2) | instskip(SKIP_1) | instid1(VALU_DEP_3)
	v_cndmask_b32_e64 v3, 0, 1, s0
	v_cmp_gt_u32_e64 s0, 28, v6
	v_add_lshl_u32 v2, v2, v6, 2
	ds_bpermute_b32 v4, v2, v5
	s_waitcnt lgkmcnt(0)
	v_add_f32_e32 v5, v5, v4
	v_lshlrev_b32_e32 v3, 3, v3
	v_cndmask_b32_e64 v4, 0, 1, s0
	v_cmp_gt_u32_e64 s0, 30, v6
	s_delay_alu instid0(VALU_DEP_3) | instskip(NEXT) | instid1(VALU_DEP_3)
	v_add_lshl_u32 v3, v3, v6, 2
	v_lshlrev_b32_e32 v4, 2, v4
	ds_bpermute_b32 v8, v3, v5
	v_add_lshl_u32 v4, v4, v6, 2
	s_waitcnt lgkmcnt(0)
	v_add_f32_e32 v8, v5, v8
	v_cndmask_b32_e64 v5, 0, 1, s0
	v_cmp_ne_u32_e64 s0, 31, v6
	ds_bpermute_b32 v9, v4, v8
	v_lshlrev_b32_e32 v5, 1, v5
	s_delay_alu instid0(VALU_DEP_1) | instskip(SKIP_1) | instid1(VALU_DEP_1)
	v_add_lshl_u32 v5, v5, v6, 2
	v_add_co_ci_u32_e64 v6, s0, 0, v6, s0
	v_lshlrev_b32_e32 v6, 2, v6
	s_waitcnt lgkmcnt(0)
	v_add_f32_e32 v8, v8, v9
	ds_bpermute_b32 v9, v5, v8
	s_waitcnt lgkmcnt(0)
	v_add_f32_e32 v8, v8, v9
	ds_bpermute_b32 v9, v6, v8
	v_cmpx_eq_u32_e32 0, v7
	s_cbranch_execz .LBB283_8
; %bb.7:
	v_lshrrev_b32_e32 v7, 3, v0
	s_waitcnt lgkmcnt(0)
	s_delay_alu instid0(VALU_DEP_1)
	v_dual_add_f32 v8, v8, v9 :: v_dual_and_b32 v7, 0x7c, v7
	ds_store_b32 v7, v8
.LBB283_8:
	s_or_b32 exec_lo, exec_lo, s1
	v_mov_b32_e32 v7, 0
	s_waitcnt lgkmcnt(0)
	s_barrier
	buffer_gl0_inv
	s_and_saveexec_b32 s0, vcc_lo
	s_cbranch_execz .LBB283_10
; %bb.9:
	ds_load_b32 v7, v1
.LBB283_10:
	s_or_b32 exec_lo, exec_lo, s0
	s_and_saveexec_b32 s0, vcc_lo
	s_cbranch_execz .LBB283_12
; %bb.11:
	s_waitcnt lgkmcnt(0)
	ds_bpermute_b32 v1, v2, v7
	s_waitcnt lgkmcnt(0)
	v_add_f32_e32 v1, v7, v1
	ds_bpermute_b32 v2, v3, v1
	s_waitcnt lgkmcnt(0)
	v_add_f32_e32 v1, v1, v2
	;; [unrolled: 3-line block ×5, first 2 shown]
.LBB283_12:
	s_or_b32 exec_lo, exec_lo, s0
	s_delay_alu instid0(SALU_CYCLE_1)
	s_mov_b32 s0, exec_lo
	v_cmpx_eq_u32_e32 0, v0
	s_cbranch_execz .LBB283_14
; %bb.13:
	s_lshl_b64 s[0:1], s[12:13], 2
	v_mov_b32_e32 v0, 0
	s_add_u32 s0, s2, s0
	s_addc_u32 s1, s3, s1
	s_waitcnt lgkmcnt(0)
	global_store_b32 v0, v7, s[0:1]
.LBB283_14:
	s_nop 0
	s_sendmsg sendmsg(MSG_DEALLOC_VGPRS)
	s_endpgm
	.section	.rodata,"a",@progbits
	.p2align	6, 0x0
	.amdhsa_kernel _ZL18rocblas_dot_kernelIlLb1ELi1024ELi32ELb1EfPKPKDF16_fEviT5_lT_lS4_lS5_liPT6_PT4_
		.amdhsa_group_segment_fixed_size 128
		.amdhsa_private_segment_fixed_size 0
		.amdhsa_kernarg_size 352
		.amdhsa_user_sgpr_count 14
		.amdhsa_user_sgpr_dispatch_ptr 0
		.amdhsa_user_sgpr_queue_ptr 0
		.amdhsa_user_sgpr_kernarg_segment_ptr 1
		.amdhsa_user_sgpr_dispatch_id 0
		.amdhsa_user_sgpr_private_segment_size 0
		.amdhsa_wavefront_size32 1
		.amdhsa_uses_dynamic_stack 0
		.amdhsa_enable_private_segment 0
		.amdhsa_system_sgpr_workgroup_id_x 1
		.amdhsa_system_sgpr_workgroup_id_y 0
		.amdhsa_system_sgpr_workgroup_id_z 1
		.amdhsa_system_sgpr_workgroup_info 0
		.amdhsa_system_vgpr_workitem_id 0
		.amdhsa_next_free_vgpr 10
		.amdhsa_next_free_sgpr 25
		.amdhsa_reserve_vcc 1
		.amdhsa_float_round_mode_32 0
		.amdhsa_float_round_mode_16_64 0
		.amdhsa_float_denorm_mode_32 3
		.amdhsa_float_denorm_mode_16_64 3
		.amdhsa_dx10_clamp 1
		.amdhsa_ieee_mode 1
		.amdhsa_fp16_overflow 0
		.amdhsa_workgroup_processor_mode 1
		.amdhsa_memory_ordered 1
		.amdhsa_forward_progress 0
		.amdhsa_shared_vgpr_count 0
		.amdhsa_exception_fp_ieee_invalid_op 0
		.amdhsa_exception_fp_denorm_src 0
		.amdhsa_exception_fp_ieee_div_zero 0
		.amdhsa_exception_fp_ieee_overflow 0
		.amdhsa_exception_fp_ieee_underflow 0
		.amdhsa_exception_fp_ieee_inexact 0
		.amdhsa_exception_int_div_zero 0
	.end_amdhsa_kernel
	.section	.text._ZL18rocblas_dot_kernelIlLb1ELi1024ELi32ELb1EfPKPKDF16_fEviT5_lT_lS4_lS5_liPT6_PT4_,"axG",@progbits,_ZL18rocblas_dot_kernelIlLb1ELi1024ELi32ELb1EfPKPKDF16_fEviT5_lT_lS4_lS5_liPT6_PT4_,comdat
.Lfunc_end283:
	.size	_ZL18rocblas_dot_kernelIlLb1ELi1024ELi32ELb1EfPKPKDF16_fEviT5_lT_lS4_lS5_liPT6_PT4_, .Lfunc_end283-_ZL18rocblas_dot_kernelIlLb1ELi1024ELi32ELb1EfPKPKDF16_fEviT5_lT_lS4_lS5_liPT6_PT4_
                                        ; -- End function
	.section	.AMDGPU.csdata,"",@progbits
; Kernel info:
; codeLenInByte = 976
; NumSgprs: 27
; NumVgprs: 10
; ScratchSize: 0
; MemoryBound: 0
; FloatMode: 240
; IeeeMode: 1
; LDSByteSize: 128 bytes/workgroup (compile time only)
; SGPRBlocks: 3
; VGPRBlocks: 1
; NumSGPRsForWavesPerEU: 27
; NumVGPRsForWavesPerEU: 10
; Occupancy: 16
; WaveLimiterHint : 0
; COMPUTE_PGM_RSRC2:SCRATCH_EN: 0
; COMPUTE_PGM_RSRC2:USER_SGPR: 14
; COMPUTE_PGM_RSRC2:TRAP_HANDLER: 0
; COMPUTE_PGM_RSRC2:TGID_X_EN: 1
; COMPUTE_PGM_RSRC2:TGID_Y_EN: 0
; COMPUTE_PGM_RSRC2:TGID_Z_EN: 1
; COMPUTE_PGM_RSRC2:TIDIG_COMP_CNT: 0
	.section	.text._ZL24rocblas_dot_kernel_magsqIlLb1ELi1024ELi32ELb1EfPKPKDF16_fEviT5_lT_liPT6_PT4_,"axG",@progbits,_ZL24rocblas_dot_kernel_magsqIlLb1ELi1024ELi32ELb1EfPKPKDF16_fEviT5_lT_liPT6_PT4_,comdat
	.globl	_ZL24rocblas_dot_kernel_magsqIlLb1ELi1024ELi32ELb1EfPKPKDF16_fEviT5_lT_liPT6_PT4_ ; -- Begin function _ZL24rocblas_dot_kernel_magsqIlLb1ELi1024ELi32ELb1EfPKPKDF16_fEviT5_lT_liPT6_PT4_
	.p2align	8
	.type	_ZL24rocblas_dot_kernel_magsqIlLb1ELi1024ELi32ELb1EfPKPKDF16_fEviT5_lT_liPT6_PT4_,@function
_ZL24rocblas_dot_kernel_magsqIlLb1ELi1024ELi32ELb1EfPKPKDF16_fEviT5_lT_liPT6_PT4_: ; @_ZL24rocblas_dot_kernel_magsqIlLb1ELi1024ELi32ELb1EfPKPKDF16_fEviT5_lT_liPT6_PT4_
; %bb.0:
	s_clause 0x1
	s_load_b32 s8, s[0:1], 0x0
	s_load_b64 s[2:3], s[0:1], 0x38
	v_mov_b32_e32 v3, 0
	s_mov_b32 s4, s15
	s_mov_b32 s5, 0
	s_mov_b32 s9, exec_lo
	s_waitcnt lgkmcnt(0)
	v_cmpx_gt_i32_e64 s8, v0
	s_cbranch_execz .LBB284_4
; %bb.1:
	s_clause 0x1
	s_load_b64 s[6:7], s[0:1], 0x8
	s_load_b128 s[12:15], s[0:1], 0x10
	s_lshl_b64 s[10:11], s[4:5], 3
	s_load_b32 s16, s[0:1], 0x40
	s_waitcnt lgkmcnt(0)
	s_add_u32 s0, s6, s10
	v_mad_u64_u32 v[1:2], null, s14, v0, 0
	s_addc_u32 s1, s7, s11
	s_lshl_b64 s[10:11], s[12:13], 1
	s_load_b64 s[6:7], s[0:1], 0x0
	s_lshl_b32 s1, s16, 10
	s_delay_alu instid0(SALU_CYCLE_1) | instskip(NEXT) | instid1(VALU_DEP_1)
	s_mul_hi_u32 s0, s14, s1
	v_mad_u64_u32 v[3:4], null, s15, v0, v[2:3]
	v_or_b32_e32 v4, s1, v0
	s_delay_alu instid0(VALU_DEP_2) | instskip(NEXT) | instid1(VALU_DEP_1)
	v_dual_mov_b32 v2, v3 :: v_dual_mov_b32 v3, 0
	v_lshlrev_b64 v[1:2], 1, v[1:2]
	s_waitcnt lgkmcnt(0)
	s_add_u32 s10, s6, s10
	s_addc_u32 s11, s7, s11
	s_ashr_i32 s6, s1, 31
	s_delay_alu instid0(VALU_DEP_1)
	v_add_co_u32 v1, vcc_lo, s10, v1
	s_mul_i32 s6, s14, s6
	s_mul_i32 s7, s15, s1
	s_add_i32 s0, s0, s6
	v_add_co_ci_u32_e32 v2, vcc_lo, s11, v2, vcc_lo
	s_mul_i32 s6, s14, s1
	s_add_i32 s7, s0, s7
	s_mov_b32 s10, s5
	s_lshl_b64 s[6:7], s[6:7], 1
	s_mov_b32 s11, s5
	.p2align	6
.LBB284_2:                              ; =>This Inner Loop Header: Depth=1
	global_load_u16 v5, v[1:2], off
	s_add_i32 s12, s11, 1
	v_cmp_le_i32_e32 vcc_lo, s8, v4
	v_add_co_u32 v1, s0, v1, s6
	s_cmp_gt_u32 s11, 30
	v_add_co_ci_u32_e64 v2, s0, s7, v2, s0
	s_cselect_b32 s0, -1, 0
	v_add_nc_u32_e32 v4, s1, v4
	s_or_b32 s0, s0, vcc_lo
	s_mov_b32 s11, s12
	s_and_b32 s0, exec_lo, s0
	s_delay_alu instid0(SALU_CYCLE_1)
	s_or_b32 s10, s0, s10
	s_waitcnt vmcnt(0)
	v_fma_mix_f32 v3, v5, v5, v3 op_sel_hi:[1,1,0]
	s_and_not1_b32 exec_lo, exec_lo, s10
	s_cbranch_execnz .LBB284_2
; %bb.3:
	s_or_b32 exec_lo, exec_lo, s10
.LBB284_4:
	s_delay_alu instid0(SALU_CYCLE_1) | instskip(SKIP_2) | instid1(VALU_DEP_2)
	s_or_b32 exec_lo, exec_lo, s9
	v_and_b32_e32 v7, 31, v0
	v_cmp_gt_u32_e32 vcc_lo, 32, v0
	v_lshlrev_b32_e32 v1, 2, v7
	s_and_saveexec_b32 s0, vcc_lo
	s_cbranch_execz .LBB284_6
; %bb.5:
	v_mov_b32_e32 v2, 0
	ds_store_b32 v1, v2
.LBB284_6:
	s_or_b32 exec_lo, exec_lo, s0
	v_mbcnt_lo_u32_b32 v6, -1, 0
	s_mov_b32 s1, exec_lo
	s_waitcnt lgkmcnt(0)
	s_barrier
	buffer_gl0_inv
	v_cmp_gt_u32_e64 s0, 16, v6
	s_delay_alu instid0(VALU_DEP_1) | instskip(SKIP_1) | instid1(VALU_DEP_2)
	v_cndmask_b32_e64 v2, 0, 1, s0
	v_cmp_gt_u32_e64 s0, 24, v6
	v_lshlrev_b32_e32 v2, 4, v2
	s_delay_alu instid0(VALU_DEP_2) | instskip(SKIP_1) | instid1(VALU_DEP_3)
	v_cndmask_b32_e64 v4, 0, 1, s0
	v_cmp_gt_u32_e64 s0, 28, v6
	v_add_lshl_u32 v2, v2, v6, 2
	s_delay_alu instid0(VALU_DEP_3)
	v_lshlrev_b32_e32 v4, 3, v4
	ds_bpermute_b32 v5, v2, v3
	v_add_lshl_u32 v4, v4, v6, 2
	s_waitcnt lgkmcnt(0)
	v_add_f32_e32 v5, v3, v5
	v_cndmask_b32_e64 v3, 0, 1, s0
	v_cmp_gt_u32_e64 s0, 30, v6
	ds_bpermute_b32 v8, v4, v5
	s_waitcnt lgkmcnt(0)
	v_dual_add_f32 v8, v5, v8 :: v_dual_lshlrev_b32 v3, 2, v3
	s_delay_alu instid0(VALU_DEP_1) | instskip(SKIP_4) | instid1(VALU_DEP_1)
	v_add_lshl_u32 v3, v3, v6, 2
	v_cndmask_b32_e64 v5, 0, 1, s0
	v_cmp_ne_u32_e64 s0, 31, v6
	ds_bpermute_b32 v9, v3, v8
	v_lshlrev_b32_e32 v5, 1, v5
	v_add_lshl_u32 v5, v5, v6, 2
	v_add_co_ci_u32_e64 v6, s0, 0, v6, s0
	s_delay_alu instid0(VALU_DEP_1)
	v_lshlrev_b32_e32 v6, 2, v6
	s_waitcnt lgkmcnt(0)
	v_add_f32_e32 v8, v8, v9
	ds_bpermute_b32 v9, v5, v8
	s_waitcnt lgkmcnt(0)
	v_add_f32_e32 v8, v8, v9
	ds_bpermute_b32 v9, v6, v8
	v_cmpx_eq_u32_e32 0, v7
	s_cbranch_execz .LBB284_8
; %bb.7:
	v_lshrrev_b32_e32 v7, 3, v0
	s_waitcnt lgkmcnt(0)
	s_delay_alu instid0(VALU_DEP_1)
	v_dual_add_f32 v8, v8, v9 :: v_dual_and_b32 v7, 0x7c, v7
	ds_store_b32 v7, v8
.LBB284_8:
	s_or_b32 exec_lo, exec_lo, s1
	v_mov_b32_e32 v7, 0
	s_waitcnt lgkmcnt(0)
	s_barrier
	buffer_gl0_inv
	s_and_saveexec_b32 s0, vcc_lo
	s_cbranch_execz .LBB284_10
; %bb.9:
	ds_load_b32 v7, v1
.LBB284_10:
	s_or_b32 exec_lo, exec_lo, s0
	s_and_saveexec_b32 s0, vcc_lo
	s_cbranch_execz .LBB284_12
; %bb.11:
	s_waitcnt lgkmcnt(0)
	ds_bpermute_b32 v1, v2, v7
	s_waitcnt lgkmcnt(0)
	v_add_f32_e32 v1, v7, v1
	ds_bpermute_b32 v2, v4, v1
	s_waitcnt lgkmcnt(0)
	v_add_f32_e32 v1, v1, v2
	;; [unrolled: 3-line block ×5, first 2 shown]
.LBB284_12:
	s_or_b32 exec_lo, exec_lo, s0
	s_delay_alu instid0(SALU_CYCLE_1)
	s_mov_b32 s0, exec_lo
	v_cmpx_eq_u32_e32 0, v0
	s_cbranch_execz .LBB284_14
; %bb.13:
	s_lshl_b64 s[0:1], s[4:5], 2
	v_mov_b32_e32 v0, 0
	s_add_u32 s0, s2, s0
	s_addc_u32 s1, s3, s1
	s_waitcnt lgkmcnt(0)
	global_store_b32 v0, v7, s[0:1]
.LBB284_14:
	s_nop 0
	s_sendmsg sendmsg(MSG_DEALLOC_VGPRS)
	s_endpgm
	.section	.rodata,"a",@progbits
	.p2align	6, 0x0
	.amdhsa_kernel _ZL24rocblas_dot_kernel_magsqIlLb1ELi1024ELi32ELb1EfPKPKDF16_fEviT5_lT_liPT6_PT4_
		.amdhsa_group_segment_fixed_size 128
		.amdhsa_private_segment_fixed_size 0
		.amdhsa_kernarg_size 320
		.amdhsa_user_sgpr_count 14
		.amdhsa_user_sgpr_dispatch_ptr 0
		.amdhsa_user_sgpr_queue_ptr 0
		.amdhsa_user_sgpr_kernarg_segment_ptr 1
		.amdhsa_user_sgpr_dispatch_id 0
		.amdhsa_user_sgpr_private_segment_size 0
		.amdhsa_wavefront_size32 1
		.amdhsa_uses_dynamic_stack 0
		.amdhsa_enable_private_segment 0
		.amdhsa_system_sgpr_workgroup_id_x 1
		.amdhsa_system_sgpr_workgroup_id_y 0
		.amdhsa_system_sgpr_workgroup_id_z 1
		.amdhsa_system_sgpr_workgroup_info 0
		.amdhsa_system_vgpr_workitem_id 0
		.amdhsa_next_free_vgpr 10
		.amdhsa_next_free_sgpr 17
		.amdhsa_reserve_vcc 1
		.amdhsa_float_round_mode_32 0
		.amdhsa_float_round_mode_16_64 0
		.amdhsa_float_denorm_mode_32 3
		.amdhsa_float_denorm_mode_16_64 3
		.amdhsa_dx10_clamp 1
		.amdhsa_ieee_mode 1
		.amdhsa_fp16_overflow 0
		.amdhsa_workgroup_processor_mode 1
		.amdhsa_memory_ordered 1
		.amdhsa_forward_progress 0
		.amdhsa_shared_vgpr_count 0
		.amdhsa_exception_fp_ieee_invalid_op 0
		.amdhsa_exception_fp_denorm_src 0
		.amdhsa_exception_fp_ieee_div_zero 0
		.amdhsa_exception_fp_ieee_overflow 0
		.amdhsa_exception_fp_ieee_underflow 0
		.amdhsa_exception_fp_ieee_inexact 0
		.amdhsa_exception_int_div_zero 0
	.end_amdhsa_kernel
	.section	.text._ZL24rocblas_dot_kernel_magsqIlLb1ELi1024ELi32ELb1EfPKPKDF16_fEviT5_lT_liPT6_PT4_,"axG",@progbits,_ZL24rocblas_dot_kernel_magsqIlLb1ELi1024ELi32ELb1EfPKPKDF16_fEviT5_lT_liPT6_PT4_,comdat
.Lfunc_end284:
	.size	_ZL24rocblas_dot_kernel_magsqIlLb1ELi1024ELi32ELb1EfPKPKDF16_fEviT5_lT_liPT6_PT4_, .Lfunc_end284-_ZL24rocblas_dot_kernel_magsqIlLb1ELi1024ELi32ELb1EfPKPKDF16_fEviT5_lT_liPT6_PT4_
                                        ; -- End function
	.section	.AMDGPU.csdata,"",@progbits
; Kernel info:
; codeLenInByte = 844
; NumSgprs: 19
; NumVgprs: 10
; ScratchSize: 0
; MemoryBound: 0
; FloatMode: 240
; IeeeMode: 1
; LDSByteSize: 128 bytes/workgroup (compile time only)
; SGPRBlocks: 2
; VGPRBlocks: 1
; NumSGPRsForWavesPerEU: 19
; NumVGPRsForWavesPerEU: 10
; Occupancy: 16
; WaveLimiterHint : 0
; COMPUTE_PGM_RSRC2:SCRATCH_EN: 0
; COMPUTE_PGM_RSRC2:USER_SGPR: 14
; COMPUTE_PGM_RSRC2:TRAP_HANDLER: 0
; COMPUTE_PGM_RSRC2:TGID_X_EN: 1
; COMPUTE_PGM_RSRC2:TGID_Y_EN: 0
; COMPUTE_PGM_RSRC2:TGID_Z_EN: 1
; COMPUTE_PGM_RSRC2:TIDIG_COMP_CNT: 0
	.section	.text._ZL38rocblas_dot_kernel_gfx942_float_doubleIlLi1024EfPKPKDF16_fEviT2_lT_lS4_lS5_lPT3_PT1_,"axG",@progbits,_ZL38rocblas_dot_kernel_gfx942_float_doubleIlLi1024EfPKPKDF16_fEviT2_lT_lS4_lS5_lPT3_PT1_,comdat
	.globl	_ZL38rocblas_dot_kernel_gfx942_float_doubleIlLi1024EfPKPKDF16_fEviT2_lT_lS4_lS5_lPT3_PT1_ ; -- Begin function _ZL38rocblas_dot_kernel_gfx942_float_doubleIlLi1024EfPKPKDF16_fEviT2_lT_lS4_lS5_lPT3_PT1_
	.p2align	8
	.type	_ZL38rocblas_dot_kernel_gfx942_float_doubleIlLi1024EfPKPKDF16_fEviT2_lT_lS4_lS5_lPT3_PT1_,@function
_ZL38rocblas_dot_kernel_gfx942_float_doubleIlLi1024EfPKPKDF16_fEviT2_lT_lS4_lS5_lPT3_PT1_: ; @_ZL38rocblas_dot_kernel_gfx942_float_doubleIlLi1024EfPKPKDF16_fEviT2_lT_lS4_lS5_lPT3_PT1_
; %bb.0:
	s_endpgm
	.section	.rodata,"a",@progbits
	.p2align	6, 0x0
	.amdhsa_kernel _ZL38rocblas_dot_kernel_gfx942_float_doubleIlLi1024EfPKPKDF16_fEviT2_lT_lS4_lS5_lPT3_PT1_
		.amdhsa_group_segment_fixed_size 0
		.amdhsa_private_segment_fixed_size 0
		.amdhsa_kernarg_size 88
		.amdhsa_user_sgpr_count 15
		.amdhsa_user_sgpr_dispatch_ptr 0
		.amdhsa_user_sgpr_queue_ptr 0
		.amdhsa_user_sgpr_kernarg_segment_ptr 1
		.amdhsa_user_sgpr_dispatch_id 0
		.amdhsa_user_sgpr_private_segment_size 0
		.amdhsa_wavefront_size32 1
		.amdhsa_uses_dynamic_stack 0
		.amdhsa_enable_private_segment 0
		.amdhsa_system_sgpr_workgroup_id_x 1
		.amdhsa_system_sgpr_workgroup_id_y 0
		.amdhsa_system_sgpr_workgroup_id_z 0
		.amdhsa_system_sgpr_workgroup_info 0
		.amdhsa_system_vgpr_workitem_id 0
		.amdhsa_next_free_vgpr 1
		.amdhsa_next_free_sgpr 1
		.amdhsa_reserve_vcc 0
		.amdhsa_float_round_mode_32 0
		.amdhsa_float_round_mode_16_64 0
		.amdhsa_float_denorm_mode_32 3
		.amdhsa_float_denorm_mode_16_64 3
		.amdhsa_dx10_clamp 1
		.amdhsa_ieee_mode 1
		.amdhsa_fp16_overflow 0
		.amdhsa_workgroup_processor_mode 1
		.amdhsa_memory_ordered 1
		.amdhsa_forward_progress 0
		.amdhsa_shared_vgpr_count 0
		.amdhsa_exception_fp_ieee_invalid_op 0
		.amdhsa_exception_fp_denorm_src 0
		.amdhsa_exception_fp_ieee_div_zero 0
		.amdhsa_exception_fp_ieee_overflow 0
		.amdhsa_exception_fp_ieee_underflow 0
		.amdhsa_exception_fp_ieee_inexact 0
		.amdhsa_exception_int_div_zero 0
	.end_amdhsa_kernel
	.section	.text._ZL38rocblas_dot_kernel_gfx942_float_doubleIlLi1024EfPKPKDF16_fEviT2_lT_lS4_lS5_lPT3_PT1_,"axG",@progbits,_ZL38rocblas_dot_kernel_gfx942_float_doubleIlLi1024EfPKPKDF16_fEviT2_lT_lS4_lS5_lPT3_PT1_,comdat
.Lfunc_end285:
	.size	_ZL38rocblas_dot_kernel_gfx942_float_doubleIlLi1024EfPKPKDF16_fEviT2_lT_lS4_lS5_lPT3_PT1_, .Lfunc_end285-_ZL38rocblas_dot_kernel_gfx942_float_doubleIlLi1024EfPKPKDF16_fEviT2_lT_lS4_lS5_lPT3_PT1_
                                        ; -- End function
	.section	.AMDGPU.csdata,"",@progbits
; Kernel info:
; codeLenInByte = 4
; NumSgprs: 0
; NumVgprs: 0
; ScratchSize: 0
; MemoryBound: 0
; FloatMode: 240
; IeeeMode: 1
; LDSByteSize: 0 bytes/workgroup (compile time only)
; SGPRBlocks: 0
; VGPRBlocks: 0
; NumSGPRsForWavesPerEU: 1
; NumVGPRsForWavesPerEU: 1
; Occupancy: 16
; WaveLimiterHint : 0
; COMPUTE_PGM_RSRC2:SCRATCH_EN: 0
; COMPUTE_PGM_RSRC2:USER_SGPR: 15
; COMPUTE_PGM_RSRC2:TRAP_HANDLER: 0
; COMPUTE_PGM_RSRC2:TGID_X_EN: 1
; COMPUTE_PGM_RSRC2:TGID_Y_EN: 0
; COMPUTE_PGM_RSRC2:TGID_Z_EN: 0
; COMPUTE_PGM_RSRC2:TIDIG_COMP_CNT: 0
	.section	.text._ZL23rocblas_dot_kernel_inc1ILb0ELi512ELi4ELb1EfPKPKDF16_fEviT4_llS4_lliPT5_PT3_,"axG",@progbits,_ZL23rocblas_dot_kernel_inc1ILb0ELi512ELi4ELb1EfPKPKDF16_fEviT4_llS4_lliPT5_PT3_,comdat
	.globl	_ZL23rocblas_dot_kernel_inc1ILb0ELi512ELi4ELb1EfPKPKDF16_fEviT4_llS4_lliPT5_PT3_ ; -- Begin function _ZL23rocblas_dot_kernel_inc1ILb0ELi512ELi4ELb1EfPKPKDF16_fEviT4_llS4_lliPT5_PT3_
	.p2align	8
	.type	_ZL23rocblas_dot_kernel_inc1ILb0ELi512ELi4ELb1EfPKPKDF16_fEviT4_llS4_lliPT5_PT3_,@function
_ZL23rocblas_dot_kernel_inc1ILb0ELi512ELi4ELb1EfPKPKDF16_fEviT4_llS4_lliPT5_PT3_: ; @_ZL23rocblas_dot_kernel_inc1ILb0ELi512ELi4ELb1EfPKPKDF16_fEviT4_llS4_lliPT5_PT3_
; %bb.0:
	s_clause 0x2
	s_load_b32 s12, s[0:1], 0x50
	s_load_b32 s13, s[0:1], 0x0
	s_load_b128 s[4:7], s[0:1], 0x40
	v_lshl_or_b32 v3, s14, 9, v0
	v_mov_b32_e32 v5, 0
	s_mov_b32 s2, s15
	s_mov_b32 s3, 0
	s_mov_b32 s15, exec_lo
	s_waitcnt lgkmcnt(0)
	v_cmpx_gt_i32_e64 s13, v3
	s_cbranch_execz .LBB286_4
; %bb.1:
	s_clause 0x1
	s_load_b128 s[8:11], s[0:1], 0x8
	s_load_b128 s[20:23], s[0:1], 0x20
	s_lshl_b64 s[18:19], s[2:3], 3
	v_ashrrev_i32_e32 v4, 31, v3
	v_mov_b32_e32 v5, 0
	s_delay_alu instid0(VALU_DEP_2)
	v_lshlrev_b64 v[1:2], 1, v[3:4]
	s_waitcnt lgkmcnt(0)
	s_add_u32 s0, s8, s18
	s_addc_u32 s1, s9, s19
	s_lshl_b64 s[10:11], s[10:11], 1
	s_load_b64 s[8:9], s[0:1], 0x0
	s_waitcnt lgkmcnt(0)
	s_add_u32 s1, s8, s10
	s_addc_u32 s16, s9, s11
	s_add_u32 s8, s20, s18
	s_addc_u32 s9, s21, s19
	s_lshl_b64 s[10:11], s[22:23], 1
	s_load_b64 s[8:9], s[8:9], 0x0
	s_mov_b32 s19, s3
	s_waitcnt lgkmcnt(0)
	s_add_u32 s17, s8, s10
	s_addc_u32 s18, s9, s11
	s_lshl_b32 s8, s12, 9
	s_delay_alu instid0(SALU_CYCLE_1) | instskip(SKIP_1) | instid1(SALU_CYCLE_1)
	v_add_nc_u32_e32 v3, s8, v3
	s_ashr_i32 s9, s8, 31
	s_lshl_b64 s[10:11], s[8:9], 1
	s_mov_b32 s9, s3
	.p2align	6
.LBB286_2:                              ; =>This Inner Loop Header: Depth=1
	v_add_co_u32 v6, vcc_lo, s17, v1
	v_add_co_ci_u32_e32 v7, vcc_lo, s18, v2, vcc_lo
	v_add_co_u32 v8, vcc_lo, s1, v1
	v_add_co_ci_u32_e32 v9, vcc_lo, s16, v2, vcc_lo
	s_add_i32 s20, s19, 1
	global_load_u16 v4, v[6:7], off
	global_load_u16 v6, v[8:9], off
	v_cmp_le_i32_e32 vcc_lo, s13, v3
	v_add_co_u32 v1, s0, v1, s10
	s_cmp_gt_u32 s19, 2
	v_add_co_ci_u32_e64 v2, s0, s11, v2, s0
	s_cselect_b32 s0, -1, 0
	v_add_nc_u32_e32 v3, s8, v3
	s_or_b32 s0, s0, vcc_lo
	s_mov_b32 s19, s20
	s_and_b32 s0, exec_lo, s0
	s_delay_alu instid0(SALU_CYCLE_1)
	s_or_b32 s9, s0, s9
	s_waitcnt vmcnt(0)
	v_fma_mix_f32 v5, v4, v6, v5 op_sel_hi:[1,1,0]
	s_and_not1_b32 exec_lo, exec_lo, s9
	s_cbranch_execnz .LBB286_2
; %bb.3:
	s_or_b32 exec_lo, exec_lo, s9
.LBB286_4:
	s_delay_alu instid0(SALU_CYCLE_1) | instskip(SKIP_2) | instid1(VALU_DEP_2)
	s_or_b32 exec_lo, exec_lo, s15
	v_and_b32_e32 v2, 31, v0
	v_cmp_gt_u32_e32 vcc_lo, 32, v0
	v_lshlrev_b32_e32 v1, 2, v2
	s_and_saveexec_b32 s0, vcc_lo
	s_cbranch_execz .LBB286_6
; %bb.5:
	v_mov_b32_e32 v3, 0
	ds_store_b32 v1, v3
.LBB286_6:
	s_or_b32 exec_lo, exec_lo, s0
	v_mbcnt_lo_u32_b32 v6, -1, 0
	s_mov_b32 s1, exec_lo
	s_waitcnt lgkmcnt(0)
	s_barrier
	buffer_gl0_inv
	v_cmp_gt_u32_e64 s0, 16, v6
	s_delay_alu instid0(VALU_DEP_1) | instskip(SKIP_1) | instid1(VALU_DEP_2)
	v_cndmask_b32_e64 v3, 0, 1, s0
	v_cmp_gt_u32_e64 s0, 24, v6
	v_lshlrev_b32_e32 v3, 4, v3
	s_delay_alu instid0(VALU_DEP_1) | instskip(SKIP_3) | instid1(VALU_DEP_2)
	v_add_lshl_u32 v3, v3, v6, 2
	ds_bpermute_b32 v4, v3, v5
	v_cndmask_b32_e64 v3, 0, 1, s0
	v_cmp_gt_u32_e64 s0, 28, v6
	v_lshlrev_b32_e32 v3, 3, v3
	s_delay_alu instid0(VALU_DEP_1)
	v_add_lshl_u32 v3, v3, v6, 2
	s_waitcnt lgkmcnt(0)
	v_add_f32_e32 v5, v5, v4
	v_cndmask_b32_e64 v4, 0, 1, s0
	v_cmp_gt_u32_e64 s0, 30, v6
	ds_bpermute_b32 v7, v3, v5
	s_waitcnt lgkmcnt(0)
	v_dual_add_f32 v7, v5, v7 :: v_dual_lshlrev_b32 v4, 2, v4
	s_delay_alu instid0(VALU_DEP_1) | instskip(SKIP_4) | instid1(VALU_DEP_1)
	v_add_lshl_u32 v4, v4, v6, 2
	v_cndmask_b32_e64 v5, 0, 1, s0
	v_cmp_ne_u32_e64 s0, 31, v6
	ds_bpermute_b32 v8, v4, v7
	v_lshlrev_b32_e32 v5, 1, v5
	v_add_lshl_u32 v5, v5, v6, 2
	v_add_co_ci_u32_e64 v6, s0, 0, v6, s0
	s_waitcnt lgkmcnt(0)
	s_delay_alu instid0(VALU_DEP_1)
	v_dual_add_f32 v7, v7, v8 :: v_dual_lshlrev_b32 v6, 2, v6
	ds_bpermute_b32 v8, v5, v7
	s_waitcnt lgkmcnt(0)
	v_add_f32_e32 v7, v7, v8
	ds_bpermute_b32 v8, v6, v7
	v_cmpx_eq_u32_e32 0, v2
	s_cbranch_execz .LBB286_8
; %bb.7:
	v_lshrrev_b32_e32 v2, 3, v0
	s_waitcnt lgkmcnt(0)
	s_delay_alu instid0(VALU_DEP_1)
	v_dual_add_f32 v7, v7, v8 :: v_dual_and_b32 v2, 60, v2
	ds_store_b32 v2, v7
.LBB286_8:
	s_or_b32 exec_lo, exec_lo, s1
	v_mov_b32_e32 v2, 0
	s_mov_b32 s1, exec_lo
	s_waitcnt lgkmcnt(0)
	s_barrier
	buffer_gl0_inv
	v_cmpx_gt_u32_e32 16, v0
	s_cbranch_execz .LBB286_10
; %bb.9:
	ds_load_b32 v2, v1
.LBB286_10:
	s_or_b32 exec_lo, exec_lo, s1
	s_and_saveexec_b32 s0, vcc_lo
	s_cbranch_execz .LBB286_12
; %bb.11:
	s_waitcnt lgkmcnt(0)
	ds_bpermute_b32 v1, v3, v2
	s_waitcnt lgkmcnt(0)
	v_add_f32_e32 v1, v2, v1
	ds_bpermute_b32 v2, v4, v1
	s_waitcnt lgkmcnt(0)
	v_add_f32_e32 v1, v1, v2
	;; [unrolled: 3-line block ×4, first 2 shown]
.LBB286_12:
	s_or_b32 exec_lo, exec_lo, s0
	s_delay_alu instid0(SALU_CYCLE_1)
	s_mov_b32 s0, exec_lo
	v_cmpx_eq_u32_e32 0, v0
	s_cbranch_execz .LBB286_18
; %bb.13:
	s_cmp_lg_u32 s12, 1
	s_cbranch_scc0 .LBB286_15
; %bb.14:
	s_mul_hi_u32 s1, s12, s2
	s_mul_i32 s0, s12, s2
	s_mov_b32 s15, 0
	s_lshl_b64 s[0:1], s[0:1], 2
	s_delay_alu instid0(SALU_CYCLE_1) | instskip(SKIP_2) | instid1(SALU_CYCLE_1)
	s_add_u32 s4, s4, s0
	s_addc_u32 s5, s5, s1
	s_lshl_b64 s[0:1], s[14:15], 2
	s_add_u32 s0, s4, s0
	s_addc_u32 s1, s5, s1
	s_cbranch_execz .LBB286_16
	s_branch .LBB286_17
.LBB286_15:
                                        ; implicit-def: $sgpr0_sgpr1
.LBB286_16:
	s_lshl_b64 s[0:1], s[2:3], 2
	s_delay_alu instid0(SALU_CYCLE_1)
	s_add_u32 s0, s6, s0
	s_addc_u32 s1, s7, s1
.LBB286_17:
	v_mov_b32_e32 v0, 0
	s_waitcnt lgkmcnt(0)
	global_store_b32 v0, v2, s[0:1]
.LBB286_18:
	s_nop 0
	s_sendmsg sendmsg(MSG_DEALLOC_VGPRS)
	s_endpgm
	.section	.rodata,"a",@progbits
	.p2align	6, 0x0
	.amdhsa_kernel _ZL23rocblas_dot_kernel_inc1ILb0ELi512ELi4ELb1EfPKPKDF16_fEviT4_llS4_lliPT5_PT3_
		.amdhsa_group_segment_fixed_size 128
		.amdhsa_private_segment_fixed_size 0
		.amdhsa_kernarg_size 336
		.amdhsa_user_sgpr_count 14
		.amdhsa_user_sgpr_dispatch_ptr 0
		.amdhsa_user_sgpr_queue_ptr 0
		.amdhsa_user_sgpr_kernarg_segment_ptr 1
		.amdhsa_user_sgpr_dispatch_id 0
		.amdhsa_user_sgpr_private_segment_size 0
		.amdhsa_wavefront_size32 1
		.amdhsa_uses_dynamic_stack 0
		.amdhsa_enable_private_segment 0
		.amdhsa_system_sgpr_workgroup_id_x 1
		.amdhsa_system_sgpr_workgroup_id_y 0
		.amdhsa_system_sgpr_workgroup_id_z 1
		.amdhsa_system_sgpr_workgroup_info 0
		.amdhsa_system_vgpr_workitem_id 0
		.amdhsa_next_free_vgpr 10
		.amdhsa_next_free_sgpr 24
		.amdhsa_reserve_vcc 1
		.amdhsa_float_round_mode_32 0
		.amdhsa_float_round_mode_16_64 0
		.amdhsa_float_denorm_mode_32 3
		.amdhsa_float_denorm_mode_16_64 3
		.amdhsa_dx10_clamp 1
		.amdhsa_ieee_mode 1
		.amdhsa_fp16_overflow 0
		.amdhsa_workgroup_processor_mode 1
		.amdhsa_memory_ordered 1
		.amdhsa_forward_progress 0
		.amdhsa_shared_vgpr_count 0
		.amdhsa_exception_fp_ieee_invalid_op 0
		.amdhsa_exception_fp_denorm_src 0
		.amdhsa_exception_fp_ieee_div_zero 0
		.amdhsa_exception_fp_ieee_overflow 0
		.amdhsa_exception_fp_ieee_underflow 0
		.amdhsa_exception_fp_ieee_inexact 0
		.amdhsa_exception_int_div_zero 0
	.end_amdhsa_kernel
	.section	.text._ZL23rocblas_dot_kernel_inc1ILb0ELi512ELi4ELb1EfPKPKDF16_fEviT4_llS4_lliPT5_PT3_,"axG",@progbits,_ZL23rocblas_dot_kernel_inc1ILb0ELi512ELi4ELb1EfPKPKDF16_fEviT4_llS4_lliPT5_PT3_,comdat
.Lfunc_end286:
	.size	_ZL23rocblas_dot_kernel_inc1ILb0ELi512ELi4ELb1EfPKPKDF16_fEviT4_llS4_lliPT5_PT3_, .Lfunc_end286-_ZL23rocblas_dot_kernel_inc1ILb0ELi512ELi4ELb1EfPKPKDF16_fEviT4_llS4_lliPT5_PT3_
                                        ; -- End function
	.section	.AMDGPU.csdata,"",@progbits
; Kernel info:
; codeLenInByte = 904
; NumSgprs: 26
; NumVgprs: 10
; ScratchSize: 0
; MemoryBound: 0
; FloatMode: 240
; IeeeMode: 1
; LDSByteSize: 128 bytes/workgroup (compile time only)
; SGPRBlocks: 3
; VGPRBlocks: 1
; NumSGPRsForWavesPerEU: 26
; NumVGPRsForWavesPerEU: 10
; Occupancy: 16
; WaveLimiterHint : 1
; COMPUTE_PGM_RSRC2:SCRATCH_EN: 0
; COMPUTE_PGM_RSRC2:USER_SGPR: 14
; COMPUTE_PGM_RSRC2:TRAP_HANDLER: 0
; COMPUTE_PGM_RSRC2:TGID_X_EN: 1
; COMPUTE_PGM_RSRC2:TGID_Y_EN: 0
; COMPUTE_PGM_RSRC2:TGID_Z_EN: 1
; COMPUTE_PGM_RSRC2:TIDIG_COMP_CNT: 0
	.section	.text._ZL18rocblas_dot_kernelIlLb0ELi512ELi4ELb1EfPKPKDF16_fEviT5_lT_lS4_lS5_liPT6_PT4_,"axG",@progbits,_ZL18rocblas_dot_kernelIlLb0ELi512ELi4ELb1EfPKPKDF16_fEviT5_lT_lS4_lS5_liPT6_PT4_,comdat
	.globl	_ZL18rocblas_dot_kernelIlLb0ELi512ELi4ELb1EfPKPKDF16_fEviT5_lT_lS4_lS5_liPT6_PT4_ ; -- Begin function _ZL18rocblas_dot_kernelIlLb0ELi512ELi4ELb1EfPKPKDF16_fEviT5_lT_lS4_lS5_liPT6_PT4_
	.p2align	8
	.type	_ZL18rocblas_dot_kernelIlLb0ELi512ELi4ELb1EfPKPKDF16_fEviT5_lT_lS4_lS5_liPT6_PT4_,@function
_ZL18rocblas_dot_kernelIlLb0ELi512ELi4ELb1EfPKPKDF16_fEviT5_lT_lS4_lS5_liPT6_PT4_: ; @_ZL18rocblas_dot_kernelIlLb0ELi512ELi4ELb1EfPKPKDF16_fEviT5_lT_lS4_lS5_liPT6_PT4_
; %bb.0:
	s_clause 0x2
	s_load_b32 s12, s[0:1], 0x60
	s_load_b32 s13, s[0:1], 0x0
	s_load_b128 s[4:7], s[0:1], 0x50
	v_lshl_or_b32 v1, s14, 9, v0
	v_mov_b32_e32 v5, 0
	s_mov_b32 s2, s15
	s_mov_b32 s3, 0
	s_mov_b32 s15, exec_lo
	s_waitcnt lgkmcnt(0)
	v_cmpx_gt_i32_e64 s13, v1
	s_cbranch_execz .LBB287_4
; %bb.1:
	s_clause 0x3
	s_load_b64 s[20:21], s[0:1], 0x8
	s_load_b128 s[16:19], s[0:1], 0x10
	s_load_b128 s[8:11], s[0:1], 0x30
	s_load_b64 s[0:1], s[0:1], 0x28
	s_lshl_b64 s[22:23], s[2:3], 3
	v_ashrrev_i32_e32 v4, 31, v1
	s_waitcnt lgkmcnt(0)
	s_add_u32 s20, s20, s22
	s_addc_u32 s21, s21, s23
	v_mul_lo_u32 v9, s19, v1
	s_load_b64 s[20:21], s[20:21], 0x0
	s_add_u32 s22, s0, s22
	s_addc_u32 s23, s1, s23
	v_mul_lo_u32 v10, s18, v4
	v_mad_u64_u32 v[2:3], null, s18, v1, 0
	s_load_b64 s[22:23], s[22:23], 0x0
	v_mul_lo_u32 v11, s11, v1
	v_mul_lo_u32 v4, s10, v4
	v_mad_u64_u32 v[7:8], null, s10, v1, 0
	s_lshl_b64 s[16:17], s[16:17], 1
	s_delay_alu instid0(VALU_DEP_4) | instskip(SKIP_1) | instid1(SALU_CYCLE_1)
	v_add3_u32 v3, v3, v10, v9
	s_lshl_b32 s1, s12, 9
	v_dual_mov_b32 v5, 0 :: v_dual_add_nc_u32 v6, s1, v1
	s_mul_hi_u32 s0, s18, s1
	s_delay_alu instid0(VALU_DEP_3)
	v_add3_u32 v8, v8, v4, v11
	v_lshlrev_b64 v[1:2], 1, v[2:3]
	s_mul_i32 s19, s19, s1
	s_waitcnt lgkmcnt(0)
	s_add_u32 s20, s20, s16
	s_addc_u32 s21, s21, s17
	s_ashr_i32 s28, s1, 31
	v_lshlrev_b64 v[3:4], 1, v[7:8]
	s_mul_i32 s16, s18, s28
	s_mul_i32 s24, s18, s1
	s_add_i32 s0, s0, s16
	s_lshl_b64 s[16:17], s[8:9], 1
	s_add_i32 s25, s0, s19
	v_add_co_u32 v1, vcc_lo, s20, v1
	s_lshl_b64 s[8:9], s[24:25], 1
	s_mul_hi_u32 s27, s10, s1
	s_mul_i32 s26, s10, s1
	s_mul_i32 s0, s10, s28
	s_add_u32 s10, s22, s16
	v_add_co_ci_u32_e32 v2, vcc_lo, s21, v2, vcc_lo
	s_addc_u32 s16, s23, s17
	v_add_co_u32 v3, vcc_lo, s10, v3
	s_mul_i32 s11, s11, s1
	s_add_i32 s0, s27, s0
	v_add_co_ci_u32_e32 v4, vcc_lo, s16, v4, vcc_lo
	s_add_i32 s27, s0, s11
	s_mov_b32 s16, s3
	s_lshl_b64 s[10:11], s[26:27], 1
	s_mov_b32 s17, s3
	.p2align	6
.LBB287_2:                              ; =>This Inner Loop Header: Depth=1
	global_load_u16 v7, v[3:4], off
	global_load_u16 v8, v[1:2], off
	v_add_co_u32 v1, s0, v1, s8
	s_delay_alu instid0(VALU_DEP_1)
	v_add_co_ci_u32_e64 v2, s0, s9, v2, s0
	s_add_i32 s18, s17, 1
	v_cmp_le_i32_e32 vcc_lo, s13, v6
	v_add_co_u32 v3, s0, v3, s10
	s_cmp_gt_u32 s17, 2
	v_add_co_ci_u32_e64 v4, s0, s11, v4, s0
	s_cselect_b32 s0, -1, 0
	v_add_nc_u32_e32 v6, s1, v6
	s_or_b32 s0, s0, vcc_lo
	s_mov_b32 s17, s18
	s_and_b32 s0, exec_lo, s0
	s_delay_alu instid0(SALU_CYCLE_1)
	s_or_b32 s16, s0, s16
	s_waitcnt vmcnt(0)
	v_fma_mix_f32 v5, v7, v8, v5 op_sel_hi:[1,1,0]
	s_and_not1_b32 exec_lo, exec_lo, s16
	s_cbranch_execnz .LBB287_2
; %bb.3:
	s_or_b32 exec_lo, exec_lo, s16
.LBB287_4:
	s_delay_alu instid0(SALU_CYCLE_1) | instskip(SKIP_2) | instid1(VALU_DEP_2)
	s_or_b32 exec_lo, exec_lo, s15
	v_and_b32_e32 v2, 31, v0
	v_cmp_gt_u32_e32 vcc_lo, 32, v0
	v_lshlrev_b32_e32 v1, 2, v2
	s_and_saveexec_b32 s0, vcc_lo
	s_cbranch_execz .LBB287_6
; %bb.5:
	v_mov_b32_e32 v3, 0
	ds_store_b32 v1, v3
.LBB287_6:
	s_or_b32 exec_lo, exec_lo, s0
	v_mbcnt_lo_u32_b32 v6, -1, 0
	s_mov_b32 s1, exec_lo
	s_waitcnt lgkmcnt(0)
	s_barrier
	buffer_gl0_inv
	v_cmp_gt_u32_e64 s0, 16, v6
	s_delay_alu instid0(VALU_DEP_1) | instskip(SKIP_1) | instid1(VALU_DEP_2)
	v_cndmask_b32_e64 v3, 0, 1, s0
	v_cmp_gt_u32_e64 s0, 24, v6
	v_lshlrev_b32_e32 v3, 4, v3
	s_delay_alu instid0(VALU_DEP_1) | instskip(SKIP_3) | instid1(VALU_DEP_2)
	v_add_lshl_u32 v3, v3, v6, 2
	ds_bpermute_b32 v4, v3, v5
	v_cndmask_b32_e64 v3, 0, 1, s0
	v_cmp_gt_u32_e64 s0, 28, v6
	v_lshlrev_b32_e32 v3, 3, v3
	s_delay_alu instid0(VALU_DEP_1)
	v_add_lshl_u32 v3, v3, v6, 2
	s_waitcnt lgkmcnt(0)
	v_add_f32_e32 v5, v5, v4
	v_cndmask_b32_e64 v4, 0, 1, s0
	v_cmp_gt_u32_e64 s0, 30, v6
	ds_bpermute_b32 v7, v3, v5
	s_waitcnt lgkmcnt(0)
	v_dual_add_f32 v7, v5, v7 :: v_dual_lshlrev_b32 v4, 2, v4
	s_delay_alu instid0(VALU_DEP_1) | instskip(SKIP_4) | instid1(VALU_DEP_1)
	v_add_lshl_u32 v4, v4, v6, 2
	v_cndmask_b32_e64 v5, 0, 1, s0
	v_cmp_ne_u32_e64 s0, 31, v6
	ds_bpermute_b32 v8, v4, v7
	v_lshlrev_b32_e32 v5, 1, v5
	v_add_lshl_u32 v5, v5, v6, 2
	v_add_co_ci_u32_e64 v6, s0, 0, v6, s0
	s_waitcnt lgkmcnt(0)
	s_delay_alu instid0(VALU_DEP_1)
	v_dual_add_f32 v7, v7, v8 :: v_dual_lshlrev_b32 v6, 2, v6
	ds_bpermute_b32 v8, v5, v7
	s_waitcnt lgkmcnt(0)
	v_add_f32_e32 v7, v7, v8
	ds_bpermute_b32 v8, v6, v7
	v_cmpx_eq_u32_e32 0, v2
	s_cbranch_execz .LBB287_8
; %bb.7:
	v_lshrrev_b32_e32 v2, 3, v0
	s_waitcnt lgkmcnt(0)
	s_delay_alu instid0(VALU_DEP_1)
	v_dual_add_f32 v7, v7, v8 :: v_dual_and_b32 v2, 60, v2
	ds_store_b32 v2, v7
.LBB287_8:
	s_or_b32 exec_lo, exec_lo, s1
	v_mov_b32_e32 v2, 0
	s_mov_b32 s1, exec_lo
	s_waitcnt lgkmcnt(0)
	s_barrier
	buffer_gl0_inv
	v_cmpx_gt_u32_e32 16, v0
	s_cbranch_execz .LBB287_10
; %bb.9:
	ds_load_b32 v2, v1
.LBB287_10:
	s_or_b32 exec_lo, exec_lo, s1
	s_and_saveexec_b32 s0, vcc_lo
	s_cbranch_execz .LBB287_12
; %bb.11:
	s_waitcnt lgkmcnt(0)
	ds_bpermute_b32 v1, v3, v2
	s_waitcnt lgkmcnt(0)
	v_add_f32_e32 v1, v2, v1
	ds_bpermute_b32 v2, v4, v1
	s_waitcnt lgkmcnt(0)
	v_add_f32_e32 v1, v1, v2
	;; [unrolled: 3-line block ×4, first 2 shown]
.LBB287_12:
	s_or_b32 exec_lo, exec_lo, s0
	s_delay_alu instid0(SALU_CYCLE_1)
	s_mov_b32 s0, exec_lo
	v_cmpx_eq_u32_e32 0, v0
	s_cbranch_execz .LBB287_18
; %bb.13:
	s_cmp_lg_u32 s12, 1
	s_cbranch_scc0 .LBB287_15
; %bb.14:
	s_mul_hi_u32 s1, s12, s2
	s_mul_i32 s0, s12, s2
	s_mov_b32 s15, 0
	s_lshl_b64 s[0:1], s[0:1], 2
	s_delay_alu instid0(SALU_CYCLE_1) | instskip(SKIP_2) | instid1(SALU_CYCLE_1)
	s_add_u32 s4, s4, s0
	s_addc_u32 s5, s5, s1
	s_lshl_b64 s[0:1], s[14:15], 2
	s_add_u32 s0, s4, s0
	s_addc_u32 s1, s5, s1
	s_cbranch_execz .LBB287_16
	s_branch .LBB287_17
.LBB287_15:
                                        ; implicit-def: $sgpr0_sgpr1
.LBB287_16:
	s_lshl_b64 s[0:1], s[2:3], 2
	s_delay_alu instid0(SALU_CYCLE_1)
	s_add_u32 s0, s6, s0
	s_addc_u32 s1, s7, s1
.LBB287_17:
	v_mov_b32_e32 v0, 0
	s_waitcnt lgkmcnt(0)
	global_store_b32 v0, v2, s[0:1]
.LBB287_18:
	s_nop 0
	s_sendmsg sendmsg(MSG_DEALLOC_VGPRS)
	s_endpgm
	.section	.rodata,"a",@progbits
	.p2align	6, 0x0
	.amdhsa_kernel _ZL18rocblas_dot_kernelIlLb0ELi512ELi4ELb1EfPKPKDF16_fEviT5_lT_lS4_lS5_liPT6_PT4_
		.amdhsa_group_segment_fixed_size 128
		.amdhsa_private_segment_fixed_size 0
		.amdhsa_kernarg_size 352
		.amdhsa_user_sgpr_count 14
		.amdhsa_user_sgpr_dispatch_ptr 0
		.amdhsa_user_sgpr_queue_ptr 0
		.amdhsa_user_sgpr_kernarg_segment_ptr 1
		.amdhsa_user_sgpr_dispatch_id 0
		.amdhsa_user_sgpr_private_segment_size 0
		.amdhsa_wavefront_size32 1
		.amdhsa_uses_dynamic_stack 0
		.amdhsa_enable_private_segment 0
		.amdhsa_system_sgpr_workgroup_id_x 1
		.amdhsa_system_sgpr_workgroup_id_y 0
		.amdhsa_system_sgpr_workgroup_id_z 1
		.amdhsa_system_sgpr_workgroup_info 0
		.amdhsa_system_vgpr_workitem_id 0
		.amdhsa_next_free_vgpr 12
		.amdhsa_next_free_sgpr 29
		.amdhsa_reserve_vcc 1
		.amdhsa_float_round_mode_32 0
		.amdhsa_float_round_mode_16_64 0
		.amdhsa_float_denorm_mode_32 3
		.amdhsa_float_denorm_mode_16_64 3
		.amdhsa_dx10_clamp 1
		.amdhsa_ieee_mode 1
		.amdhsa_fp16_overflow 0
		.amdhsa_workgroup_processor_mode 1
		.amdhsa_memory_ordered 1
		.amdhsa_forward_progress 0
		.amdhsa_shared_vgpr_count 0
		.amdhsa_exception_fp_ieee_invalid_op 0
		.amdhsa_exception_fp_denorm_src 0
		.amdhsa_exception_fp_ieee_div_zero 0
		.amdhsa_exception_fp_ieee_overflow 0
		.amdhsa_exception_fp_ieee_underflow 0
		.amdhsa_exception_fp_ieee_inexact 0
		.amdhsa_exception_int_div_zero 0
	.end_amdhsa_kernel
	.section	.text._ZL18rocblas_dot_kernelIlLb0ELi512ELi4ELb1EfPKPKDF16_fEviT5_lT_lS4_lS5_liPT6_PT4_,"axG",@progbits,_ZL18rocblas_dot_kernelIlLb0ELi512ELi4ELb1EfPKPKDF16_fEviT5_lT_lS4_lS5_liPT6_PT4_,comdat
.Lfunc_end287:
	.size	_ZL18rocblas_dot_kernelIlLb0ELi512ELi4ELb1EfPKPKDF16_fEviT5_lT_lS4_lS5_liPT6_PT4_, .Lfunc_end287-_ZL18rocblas_dot_kernelIlLb0ELi512ELi4ELb1EfPKPKDF16_fEviT5_lT_lS4_lS5_liPT6_PT4_
                                        ; -- End function
	.section	.AMDGPU.csdata,"",@progbits
; Kernel info:
; codeLenInByte = 1060
; NumSgprs: 31
; NumVgprs: 12
; ScratchSize: 0
; MemoryBound: 0
; FloatMode: 240
; IeeeMode: 1
; LDSByteSize: 128 bytes/workgroup (compile time only)
; SGPRBlocks: 3
; VGPRBlocks: 1
; NumSGPRsForWavesPerEU: 31
; NumVGPRsForWavesPerEU: 12
; Occupancy: 16
; WaveLimiterHint : 0
; COMPUTE_PGM_RSRC2:SCRATCH_EN: 0
; COMPUTE_PGM_RSRC2:USER_SGPR: 14
; COMPUTE_PGM_RSRC2:TRAP_HANDLER: 0
; COMPUTE_PGM_RSRC2:TGID_X_EN: 1
; COMPUTE_PGM_RSRC2:TGID_Y_EN: 0
; COMPUTE_PGM_RSRC2:TGID_Z_EN: 1
; COMPUTE_PGM_RSRC2:TIDIG_COMP_CNT: 0
	.section	.text._ZL24rocblas_dot_kernel_magsqIlLb0ELi512ELi4ELb1EfPKPKDF16_fEviT5_lT_liPT6_PT4_,"axG",@progbits,_ZL24rocblas_dot_kernel_magsqIlLb0ELi512ELi4ELb1EfPKPKDF16_fEviT5_lT_liPT6_PT4_,comdat
	.globl	_ZL24rocblas_dot_kernel_magsqIlLb0ELi512ELi4ELb1EfPKPKDF16_fEviT5_lT_liPT6_PT4_ ; -- Begin function _ZL24rocblas_dot_kernel_magsqIlLb0ELi512ELi4ELb1EfPKPKDF16_fEviT5_lT_liPT6_PT4_
	.p2align	8
	.type	_ZL24rocblas_dot_kernel_magsqIlLb0ELi512ELi4ELb1EfPKPKDF16_fEviT5_lT_liPT6_PT4_,@function
_ZL24rocblas_dot_kernel_magsqIlLb0ELi512ELi4ELb1EfPKPKDF16_fEviT5_lT_liPT6_PT4_: ; @_ZL24rocblas_dot_kernel_magsqIlLb0ELi512ELi4ELb1EfPKPKDF16_fEviT5_lT_liPT6_PT4_
; %bb.0:
	s_clause 0x2
	s_load_b32 s11, s[0:1], 0x0
	s_load_b128 s[4:7], s[0:1], 0x30
	s_load_b32 s10, s[0:1], 0x40
	v_lshl_or_b32 v1, s14, 9, v0
	v_mov_b32_e32 v3, 0
	s_mov_b32 s8, s15
	s_mov_b32 s9, 0
	s_mov_b32 s12, exec_lo
	s_waitcnt lgkmcnt(0)
	v_cmpx_gt_i32_e64 s11, v1
	s_cbranch_execz .LBB288_4
; %bb.1:
	s_clause 0x1
	s_load_b64 s[16:17], s[0:1], 0x8
	s_load_b128 s[0:3], s[0:1], 0x10
	s_lshl_b64 s[18:19], s[8:9], 3
	v_ashrrev_i32_e32 v2, 31, v1
	s_waitcnt lgkmcnt(0)
	s_add_u32 s16, s16, s18
	s_addc_u32 s17, s17, s19
	v_mul_lo_u32 v4, s3, v1
	s_load_b64 s[16:17], s[16:17], 0x0
	v_mul_lo_u32 v2, s2, v2
	v_mad_u64_u32 v[5:6], null, s2, v1, 0
	s_lshl_b32 s13, s10, 9
	v_mov_b32_e32 v3, 0
	s_lshl_b64 s[0:1], s[0:1], 1
	s_mul_hi_u32 s15, s2, s13
	s_mul_i32 s3, s3, s13
	s_delay_alu instid0(VALU_DEP_2) | instskip(SKIP_1) | instid1(VALU_DEP_2)
	v_add3_u32 v6, v6, v2, v4
	v_add_nc_u32_e32 v4, s13, v1
	v_lshlrev_b64 v[1:2], 1, v[5:6]
	s_waitcnt lgkmcnt(0)
	s_add_u32 s0, s16, s0
	s_addc_u32 s1, s17, s1
	s_ashr_i32 s16, s13, 31
	s_delay_alu instid0(VALU_DEP_1)
	v_add_co_u32 v1, vcc_lo, s0, v1
	s_mul_i32 s16, s2, s16
	v_add_co_ci_u32_e32 v2, vcc_lo, s1, v2, vcc_lo
	s_add_i32 s15, s15, s16
	s_mul_i32 s2, s2, s13
	s_add_i32 s3, s15, s3
	s_mov_b32 s1, s9
	s_lshl_b64 s[2:3], s[2:3], 1
	s_mov_b32 s15, s9
	.p2align	6
.LBB288_2:                              ; =>This Inner Loop Header: Depth=1
	global_load_u16 v5, v[1:2], off
	s_add_i32 s16, s15, 1
	v_cmp_le_i32_e32 vcc_lo, s11, v4
	v_add_co_u32 v1, s0, v1, s2
	s_cmp_gt_u32 s15, 2
	v_add_co_ci_u32_e64 v2, s0, s3, v2, s0
	s_cselect_b32 s0, -1, 0
	v_add_nc_u32_e32 v4, s13, v4
	s_or_b32 s0, s0, vcc_lo
	s_mov_b32 s15, s16
	s_and_b32 s0, exec_lo, s0
	s_delay_alu instid0(SALU_CYCLE_1)
	s_or_b32 s1, s0, s1
	s_waitcnt vmcnt(0)
	v_fma_mix_f32 v3, v5, v5, v3 op_sel_hi:[1,1,0]
	s_and_not1_b32 exec_lo, exec_lo, s1
	s_cbranch_execnz .LBB288_2
; %bb.3:
	s_or_b32 exec_lo, exec_lo, s1
.LBB288_4:
	s_delay_alu instid0(SALU_CYCLE_1) | instskip(SKIP_2) | instid1(VALU_DEP_2)
	s_or_b32 exec_lo, exec_lo, s12
	v_and_b32_e32 v2, 31, v0
	v_cmp_gt_u32_e32 vcc_lo, 32, v0
	v_lshlrev_b32_e32 v1, 2, v2
	s_and_saveexec_b32 s0, vcc_lo
	s_cbranch_execz .LBB288_6
; %bb.5:
	v_mov_b32_e32 v4, 0
	ds_store_b32 v1, v4
.LBB288_6:
	s_or_b32 exec_lo, exec_lo, s0
	v_mbcnt_lo_u32_b32 v6, -1, 0
	s_mov_b32 s1, exec_lo
	s_waitcnt lgkmcnt(0)
	s_barrier
	buffer_gl0_inv
	v_cmp_gt_u32_e64 s0, 16, v6
	s_delay_alu instid0(VALU_DEP_1) | instskip(SKIP_1) | instid1(VALU_DEP_2)
	v_cndmask_b32_e64 v4, 0, 1, s0
	v_cmp_gt_u32_e64 s0, 24, v6
	v_lshlrev_b32_e32 v4, 4, v4
	s_delay_alu instid0(VALU_DEP_1) | instskip(SKIP_4) | instid1(VALU_DEP_2)
	v_add_lshl_u32 v4, v4, v6, 2
	ds_bpermute_b32 v5, v4, v3
	v_cndmask_b32_e64 v4, 0, 1, s0
	v_cmp_gt_u32_e64 s0, 28, v6
	s_waitcnt lgkmcnt(0)
	v_dual_add_f32 v5, v3, v5 :: v_dual_lshlrev_b32 v4, 3, v4
	s_delay_alu instid0(VALU_DEP_2) | instskip(SKIP_1) | instid1(VALU_DEP_3)
	v_cndmask_b32_e64 v3, 0, 1, s0
	v_cmp_gt_u32_e64 s0, 30, v6
	v_add_lshl_u32 v4, v4, v6, 2
	s_delay_alu instid0(VALU_DEP_3)
	v_lshlrev_b32_e32 v3, 2, v3
	ds_bpermute_b32 v7, v4, v5
	v_add_lshl_u32 v3, v3, v6, 2
	s_waitcnt lgkmcnt(0)
	v_add_f32_e32 v7, v5, v7
	v_cndmask_b32_e64 v5, 0, 1, s0
	v_cmp_ne_u32_e64 s0, 31, v6
	ds_bpermute_b32 v8, v3, v7
	v_lshlrev_b32_e32 v5, 1, v5
	s_delay_alu instid0(VALU_DEP_1) | instskip(SKIP_2) | instid1(VALU_DEP_1)
	v_add_lshl_u32 v5, v5, v6, 2
	v_add_co_ci_u32_e64 v6, s0, 0, v6, s0
	s_waitcnt lgkmcnt(0)
	v_dual_add_f32 v7, v7, v8 :: v_dual_lshlrev_b32 v6, 2, v6
	ds_bpermute_b32 v8, v5, v7
	s_waitcnt lgkmcnt(0)
	v_add_f32_e32 v7, v7, v8
	ds_bpermute_b32 v8, v6, v7
	v_cmpx_eq_u32_e32 0, v2
	s_cbranch_execz .LBB288_8
; %bb.7:
	v_lshrrev_b32_e32 v2, 3, v0
	s_waitcnt lgkmcnt(0)
	s_delay_alu instid0(VALU_DEP_1)
	v_dual_add_f32 v7, v7, v8 :: v_dual_and_b32 v2, 60, v2
	ds_store_b32 v2, v7
.LBB288_8:
	s_or_b32 exec_lo, exec_lo, s1
	v_mov_b32_e32 v2, 0
	s_mov_b32 s1, exec_lo
	s_waitcnt lgkmcnt(0)
	s_barrier
	buffer_gl0_inv
	v_cmpx_gt_u32_e32 16, v0
	s_cbranch_execz .LBB288_10
; %bb.9:
	ds_load_b32 v2, v1
.LBB288_10:
	s_or_b32 exec_lo, exec_lo, s1
	s_and_saveexec_b32 s0, vcc_lo
	s_cbranch_execz .LBB288_12
; %bb.11:
	s_waitcnt lgkmcnt(0)
	ds_bpermute_b32 v1, v4, v2
	s_waitcnt lgkmcnt(0)
	v_add_f32_e32 v1, v2, v1
	ds_bpermute_b32 v2, v3, v1
	s_waitcnt lgkmcnt(0)
	v_add_f32_e32 v1, v1, v2
	;; [unrolled: 3-line block ×4, first 2 shown]
.LBB288_12:
	s_or_b32 exec_lo, exec_lo, s0
	s_delay_alu instid0(SALU_CYCLE_1)
	s_mov_b32 s0, exec_lo
	v_cmpx_eq_u32_e32 0, v0
	s_cbranch_execz .LBB288_18
; %bb.13:
	s_cmp_lg_u32 s10, 1
	s_cbranch_scc0 .LBB288_15
; %bb.14:
	s_mul_hi_u32 s1, s10, s8
	s_mul_i32 s0, s10, s8
	s_mov_b32 s15, 0
	s_lshl_b64 s[0:1], s[0:1], 2
	s_delay_alu instid0(SALU_CYCLE_1) | instskip(SKIP_2) | instid1(SALU_CYCLE_1)
	s_add_u32 s2, s4, s0
	s_addc_u32 s3, s5, s1
	s_lshl_b64 s[0:1], s[14:15], 2
	s_add_u32 s0, s2, s0
	s_addc_u32 s1, s3, s1
	s_cbranch_execz .LBB288_16
	s_branch .LBB288_17
.LBB288_15:
                                        ; implicit-def: $sgpr0_sgpr1
.LBB288_16:
	s_lshl_b64 s[0:1], s[8:9], 2
	s_delay_alu instid0(SALU_CYCLE_1)
	s_add_u32 s0, s6, s0
	s_addc_u32 s1, s7, s1
.LBB288_17:
	v_mov_b32_e32 v0, 0
	s_waitcnt lgkmcnt(0)
	global_store_b32 v0, v2, s[0:1]
.LBB288_18:
	s_nop 0
	s_sendmsg sendmsg(MSG_DEALLOC_VGPRS)
	s_endpgm
	.section	.rodata,"a",@progbits
	.p2align	6, 0x0
	.amdhsa_kernel _ZL24rocblas_dot_kernel_magsqIlLb0ELi512ELi4ELb1EfPKPKDF16_fEviT5_lT_liPT6_PT4_
		.amdhsa_group_segment_fixed_size 128
		.amdhsa_private_segment_fixed_size 0
		.amdhsa_kernarg_size 320
		.amdhsa_user_sgpr_count 14
		.amdhsa_user_sgpr_dispatch_ptr 0
		.amdhsa_user_sgpr_queue_ptr 0
		.amdhsa_user_sgpr_kernarg_segment_ptr 1
		.amdhsa_user_sgpr_dispatch_id 0
		.amdhsa_user_sgpr_private_segment_size 0
		.amdhsa_wavefront_size32 1
		.amdhsa_uses_dynamic_stack 0
		.amdhsa_enable_private_segment 0
		.amdhsa_system_sgpr_workgroup_id_x 1
		.amdhsa_system_sgpr_workgroup_id_y 0
		.amdhsa_system_sgpr_workgroup_id_z 1
		.amdhsa_system_sgpr_workgroup_info 0
		.amdhsa_system_vgpr_workitem_id 0
		.amdhsa_next_free_vgpr 9
		.amdhsa_next_free_sgpr 20
		.amdhsa_reserve_vcc 1
		.amdhsa_float_round_mode_32 0
		.amdhsa_float_round_mode_16_64 0
		.amdhsa_float_denorm_mode_32 3
		.amdhsa_float_denorm_mode_16_64 3
		.amdhsa_dx10_clamp 1
		.amdhsa_ieee_mode 1
		.amdhsa_fp16_overflow 0
		.amdhsa_workgroup_processor_mode 1
		.amdhsa_memory_ordered 1
		.amdhsa_forward_progress 0
		.amdhsa_shared_vgpr_count 0
		.amdhsa_exception_fp_ieee_invalid_op 0
		.amdhsa_exception_fp_denorm_src 0
		.amdhsa_exception_fp_ieee_div_zero 0
		.amdhsa_exception_fp_ieee_overflow 0
		.amdhsa_exception_fp_ieee_underflow 0
		.amdhsa_exception_fp_ieee_inexact 0
		.amdhsa_exception_int_div_zero 0
	.end_amdhsa_kernel
	.section	.text._ZL24rocblas_dot_kernel_magsqIlLb0ELi512ELi4ELb1EfPKPKDF16_fEviT5_lT_liPT6_PT4_,"axG",@progbits,_ZL24rocblas_dot_kernel_magsqIlLb0ELi512ELi4ELb1EfPKPKDF16_fEviT5_lT_liPT6_PT4_,comdat
.Lfunc_end288:
	.size	_ZL24rocblas_dot_kernel_magsqIlLb0ELi512ELi4ELb1EfPKPKDF16_fEviT5_lT_liPT6_PT4_, .Lfunc_end288-_ZL24rocblas_dot_kernel_magsqIlLb0ELi512ELi4ELb1EfPKPKDF16_fEviT5_lT_liPT6_PT4_
                                        ; -- End function
	.section	.AMDGPU.csdata,"",@progbits
; Kernel info:
; codeLenInByte = 908
; NumSgprs: 22
; NumVgprs: 9
; ScratchSize: 0
; MemoryBound: 0
; FloatMode: 240
; IeeeMode: 1
; LDSByteSize: 128 bytes/workgroup (compile time only)
; SGPRBlocks: 2
; VGPRBlocks: 1
; NumSGPRsForWavesPerEU: 22
; NumVGPRsForWavesPerEU: 9
; Occupancy: 16
; WaveLimiterHint : 0
; COMPUTE_PGM_RSRC2:SCRATCH_EN: 0
; COMPUTE_PGM_RSRC2:USER_SGPR: 14
; COMPUTE_PGM_RSRC2:TRAP_HANDLER: 0
; COMPUTE_PGM_RSRC2:TGID_X_EN: 1
; COMPUTE_PGM_RSRC2:TGID_Y_EN: 0
; COMPUTE_PGM_RSRC2:TGID_Z_EN: 1
; COMPUTE_PGM_RSRC2:TIDIG_COMP_CNT: 0
	.section	.text._ZL28rocblas_dot_batched_4_kernelIlLi32ELi4ELb1EDF16_fPKDF16_EviT5_lT_lS2_lS3_liPT4_,"axG",@progbits,_ZL28rocblas_dot_batched_4_kernelIlLi32ELi4ELb1EDF16_fPKDF16_EviT5_lT_lS2_lS3_liPT4_,comdat
	.globl	_ZL28rocblas_dot_batched_4_kernelIlLi32ELi4ELb1EDF16_fPKDF16_EviT5_lT_lS2_lS3_liPT4_ ; -- Begin function _ZL28rocblas_dot_batched_4_kernelIlLi32ELi4ELb1EDF16_fPKDF16_EviT5_lT_lS2_lS3_liPT4_
	.p2align	8
	.type	_ZL28rocblas_dot_batched_4_kernelIlLi32ELi4ELb1EDF16_fPKDF16_EviT5_lT_lS2_lS3_liPT4_,@function
_ZL28rocblas_dot_batched_4_kernelIlLi32ELi4ELb1EDF16_fPKDF16_EviT5_lT_lS2_lS3_liPT4_: ; @_ZL28rocblas_dot_batched_4_kernelIlLi32ELi4ELb1EDF16_fPKDF16_EviT5_lT_lS2_lS3_liPT4_
; %bb.0:
	s_load_b32 s2, s[0:1], 0x48
	v_bfe_u32 v1, v0, 10, 10
	s_delay_alu instid0(VALU_DEP_1) | instskip(SKIP_1) | instid1(VALU_DEP_1)
	v_lshl_add_u32 v1, s15, 2, v1
	s_waitcnt lgkmcnt(0)
	v_cmp_gt_u32_e32 vcc_lo, s2, v1
	s_and_saveexec_b32 s2, vcc_lo
	s_cbranch_execz .LBB289_7
; %bb.1:
	s_clause 0x1
	s_load_b32 s16, s[0:1], 0x0
	s_load_b64 s[2:3], s[0:1], 0x50
	v_mov_b32_e32 v2, 0
	v_and_b32_e32 v0, 0x3ff, v0
	s_mov_b32 s17, exec_lo
	s_delay_alu instid0(VALU_DEP_2) | instskip(SKIP_1) | instid1(VALU_DEP_2)
	v_mov_b32_e32 v7, v2
	s_waitcnt lgkmcnt(0)
	v_cmpx_gt_i32_e64 s16, v0
	s_cbranch_execz .LBB289_5
; %bb.2:
	s_clause 0x3
	s_load_b128 s[12:15], s[0:1], 0x10
	s_load_b256 s[4:11], s[0:1], 0x20
	s_load_b64 s[18:19], s[0:1], 0x40
	s_load_b64 s[0:1], s[0:1], 0x8
	s_waitcnt lgkmcnt(0)
	v_mad_u64_u32 v[3:4], null, s14, v0, 0
	v_mad_u64_u32 v[5:6], null, s4, v1, 0
	v_mad_u64_u32 v[8:9], null, s10, v0, 0
	v_mad_u64_u32 v[10:11], null, s18, v1, 0
	s_lshl_b64 s[12:13], s[12:13], 1
	s_delay_alu instid0(VALU_DEP_3) | instskip(SKIP_4) | instid1(VALU_DEP_2)
	v_mad_u64_u32 v[12:13], null, s15, v0, v[4:5]
	v_mov_b32_e32 v7, 0
	s_add_u32 s12, s0, s12
	s_addc_u32 s13, s1, s13
	s_lshl_b64 s[0:1], s[8:9], 1
	v_mov_b32_e32 v4, v12
	v_mad_u64_u32 v[13:14], null, s5, v1, v[6:7]
	v_mad_u64_u32 v[14:15], null, s11, v0, v[9:10]
	;; [unrolled: 1-line block ×3, first 2 shown]
	s_delay_alu instid0(VALU_DEP_4) | instskip(SKIP_1) | instid1(VALU_DEP_4)
	v_lshlrev_b64 v[3:4], 1, v[3:4]
	s_lshl_b64 s[4:5], s[14:15], 6
	v_mov_b32_e32 v6, v13
	s_add_u32 s0, s6, s0
	s_delay_alu instid0(VALU_DEP_4) | instskip(SKIP_1) | instid1(VALU_DEP_4)
	v_mov_b32_e32 v9, v14
	s_addc_u32 s1, s7, s1
	v_mov_b32_e32 v11, v15
	v_lshlrev_b64 v[5:6], 1, v[5:6]
	s_lshl_b64 s[6:7], s[10:11], 6
	v_lshlrev_b64 v[8:9], 1, v[8:9]
	s_delay_alu instid0(VALU_DEP_3) | instskip(NEXT) | instid1(VALU_DEP_3)
	v_lshlrev_b64 v[10:11], 1, v[10:11]
	v_add_co_u32 v3, vcc_lo, v3, v5
	s_delay_alu instid0(VALU_DEP_4) | instskip(NEXT) | instid1(VALU_DEP_3)
	v_add_co_ci_u32_e32 v4, vcc_lo, v4, v6, vcc_lo
	v_add_co_u32 v5, vcc_lo, v8, v10
	v_mov_b32_e32 v8, v0
	v_add_co_ci_u32_e32 v6, vcc_lo, v9, v11, vcc_lo
	v_add_co_u32 v3, vcc_lo, s12, v3
	v_add_co_ci_u32_e32 v4, vcc_lo, s13, v4, vcc_lo
	v_add_co_u32 v5, vcc_lo, s0, v5
	s_delay_alu instid0(VALU_DEP_4)
	v_add_co_ci_u32_e32 v6, vcc_lo, s1, v6, vcc_lo
	s_mov_b32 s1, 0
	.p2align	6
.LBB289_3:                              ; =>This Inner Loop Header: Depth=1
	global_load_u16 v9, v[3:4], off
	global_load_u16 v10, v[5:6], off
	v_add_nc_u32_e32 v8, 32, v8
	v_add_co_u32 v3, vcc_lo, v3, s4
	v_add_co_ci_u32_e32 v4, vcc_lo, s5, v4, vcc_lo
	v_add_co_u32 v5, vcc_lo, v5, s6
	s_delay_alu instid0(VALU_DEP_4) | instskip(SKIP_1) | instid1(VALU_DEP_2)
	v_cmp_le_i32_e64 s0, s16, v8
	v_add_co_ci_u32_e32 v6, vcc_lo, s7, v6, vcc_lo
	s_or_b32 s1, s0, s1
	s_waitcnt vmcnt(0)
	v_fmac_f16_e32 v7, v9, v10
	s_and_not1_b32 exec_lo, exec_lo, s1
	s_cbranch_execnz .LBB289_3
; %bb.4:
	s_or_b32 exec_lo, exec_lo, s1
.LBB289_5:
	s_delay_alu instid0(SALU_CYCLE_1)
	s_or_b32 exec_lo, exec_lo, s17
	v_mbcnt_lo_u32_b32 v4, -1, 0
	v_and_b32_e32 v5, 0xffff, v7
	s_barrier
	buffer_gl0_inv
	v_cmp_gt_u32_e32 vcc_lo, 16, v4
	v_cndmask_b32_e64 v3, 0, 1, vcc_lo
	v_cmp_gt_u32_e32 vcc_lo, 24, v4
	s_delay_alu instid0(VALU_DEP_2) | instskip(NEXT) | instid1(VALU_DEP_1)
	v_lshlrev_b32_e32 v3, 4, v3
	v_add_lshl_u32 v3, v3, v4, 2
	ds_bpermute_b32 v3, v3, v5
	v_cndmask_b32_e64 v5, 0, 1, vcc_lo
	v_cmp_gt_u32_e32 vcc_lo, 28, v4
	s_delay_alu instid0(VALU_DEP_2) | instskip(NEXT) | instid1(VALU_DEP_1)
	v_lshlrev_b32_e32 v5, 3, v5
	v_add_lshl_u32 v5, v5, v4, 2
	s_waitcnt lgkmcnt(0)
	v_add_f16_e32 v6, v7, v3
	s_delay_alu instid0(VALU_DEP_1) | instskip(NEXT) | instid1(VALU_DEP_1)
	v_and_b32_e32 v7, 0xffff, v6
	v_and_or_b32 v3, 0xffff0000, v3, v7
	ds_bpermute_b32 v3, v5, v3
	v_cndmask_b32_e64 v5, 0, 1, vcc_lo
	v_cmp_gt_u32_e32 vcc_lo, 30, v4
	s_delay_alu instid0(VALU_DEP_2) | instskip(NEXT) | instid1(VALU_DEP_1)
	v_lshlrev_b32_e32 v5, 2, v5
	v_add_lshl_u32 v5, v5, v4, 2
	s_waitcnt lgkmcnt(0)
	v_add_f16_e32 v6, v6, v3
	s_delay_alu instid0(VALU_DEP_1) | instskip(NEXT) | instid1(VALU_DEP_1)
	v_and_b32_e32 v7, 0xffff, v6
	v_and_or_b32 v3, 0xffff0000, v3, v7
	ds_bpermute_b32 v3, v5, v3
	v_cndmask_b32_e64 v5, 0, 1, vcc_lo
	v_cmp_ne_u32_e32 vcc_lo, 31, v4
	s_delay_alu instid0(VALU_DEP_2) | instskip(NEXT) | instid1(VALU_DEP_1)
	v_lshlrev_b32_e32 v5, 1, v5
	v_add_lshl_u32 v5, v5, v4, 2
	v_add_co_ci_u32_e32 v4, vcc_lo, 0, v4, vcc_lo
	v_cmp_eq_u32_e32 vcc_lo, 0, v0
	s_delay_alu instid0(VALU_DEP_2) | instskip(SKIP_2) | instid1(VALU_DEP_1)
	v_lshlrev_b32_e32 v4, 2, v4
	s_waitcnt lgkmcnt(0)
	v_add_f16_e32 v6, v6, v3
	v_and_b32_e32 v7, 0xffff, v6
	s_delay_alu instid0(VALU_DEP_1) | instskip(SKIP_3) | instid1(VALU_DEP_1)
	v_and_or_b32 v3, 0xffff0000, v3, v7
	ds_bpermute_b32 v5, v5, v3
	s_waitcnt lgkmcnt(0)
	v_add_f16_e32 v3, v6, v5
	v_and_b32_e32 v6, 0xffff, v3
	s_delay_alu instid0(VALU_DEP_1)
	v_and_or_b32 v5, 0xffff0000, v5, v6
	ds_bpermute_b32 v4, v4, v5
	s_and_b32 exec_lo, exec_lo, vcc_lo
	s_cbranch_execz .LBB289_7
; %bb.6:
	v_lshlrev_b64 v[0:1], 2, v[1:2]
	s_waitcnt lgkmcnt(0)
	v_add_f16_e32 v2, v3, v4
	s_delay_alu instid0(VALU_DEP_1) | instskip(NEXT) | instid1(VALU_DEP_3)
	v_cvt_f32_f16_e32 v2, v2
	v_add_co_u32 v0, vcc_lo, s2, v0
	s_delay_alu instid0(VALU_DEP_4)
	v_add_co_ci_u32_e32 v1, vcc_lo, s3, v1, vcc_lo
	global_store_b32 v[0:1], v2, off
.LBB289_7:
	s_nop 0
	s_sendmsg sendmsg(MSG_DEALLOC_VGPRS)
	s_endpgm
	.section	.rodata,"a",@progbits
	.p2align	6, 0x0
	.amdhsa_kernel _ZL28rocblas_dot_batched_4_kernelIlLi32ELi4ELb1EDF16_fPKDF16_EviT5_lT_lS2_lS3_liPT4_
		.amdhsa_group_segment_fixed_size 0
		.amdhsa_private_segment_fixed_size 0
		.amdhsa_kernarg_size 88
		.amdhsa_user_sgpr_count 15
		.amdhsa_user_sgpr_dispatch_ptr 0
		.amdhsa_user_sgpr_queue_ptr 0
		.amdhsa_user_sgpr_kernarg_segment_ptr 1
		.amdhsa_user_sgpr_dispatch_id 0
		.amdhsa_user_sgpr_private_segment_size 0
		.amdhsa_wavefront_size32 1
		.amdhsa_uses_dynamic_stack 0
		.amdhsa_enable_private_segment 0
		.amdhsa_system_sgpr_workgroup_id_x 1
		.amdhsa_system_sgpr_workgroup_id_y 0
		.amdhsa_system_sgpr_workgroup_id_z 0
		.amdhsa_system_sgpr_workgroup_info 0
		.amdhsa_system_vgpr_workitem_id 1
		.amdhsa_next_free_vgpr 17
		.amdhsa_next_free_sgpr 20
		.amdhsa_reserve_vcc 1
		.amdhsa_float_round_mode_32 0
		.amdhsa_float_round_mode_16_64 0
		.amdhsa_float_denorm_mode_32 3
		.amdhsa_float_denorm_mode_16_64 3
		.amdhsa_dx10_clamp 1
		.amdhsa_ieee_mode 1
		.amdhsa_fp16_overflow 0
		.amdhsa_workgroup_processor_mode 1
		.amdhsa_memory_ordered 1
		.amdhsa_forward_progress 0
		.amdhsa_shared_vgpr_count 0
		.amdhsa_exception_fp_ieee_invalid_op 0
		.amdhsa_exception_fp_denorm_src 0
		.amdhsa_exception_fp_ieee_div_zero 0
		.amdhsa_exception_fp_ieee_overflow 0
		.amdhsa_exception_fp_ieee_underflow 0
		.amdhsa_exception_fp_ieee_inexact 0
		.amdhsa_exception_int_div_zero 0
	.end_amdhsa_kernel
	.section	.text._ZL28rocblas_dot_batched_4_kernelIlLi32ELi4ELb1EDF16_fPKDF16_EviT5_lT_lS2_lS3_liPT4_,"axG",@progbits,_ZL28rocblas_dot_batched_4_kernelIlLi32ELi4ELb1EDF16_fPKDF16_EviT5_lT_lS2_lS3_liPT4_,comdat
.Lfunc_end289:
	.size	_ZL28rocblas_dot_batched_4_kernelIlLi32ELi4ELb1EDF16_fPKDF16_EviT5_lT_lS2_lS3_liPT4_, .Lfunc_end289-_ZL28rocblas_dot_batched_4_kernelIlLi32ELi4ELb1EDF16_fPKDF16_EviT5_lT_lS2_lS3_liPT4_
                                        ; -- End function
	.section	.AMDGPU.csdata,"",@progbits
; Kernel info:
; codeLenInByte = 856
; NumSgprs: 22
; NumVgprs: 17
; ScratchSize: 0
; MemoryBound: 0
; FloatMode: 240
; IeeeMode: 1
; LDSByteSize: 0 bytes/workgroup (compile time only)
; SGPRBlocks: 2
; VGPRBlocks: 2
; NumSGPRsForWavesPerEU: 22
; NumVGPRsForWavesPerEU: 17
; Occupancy: 16
; WaveLimiterHint : 0
; COMPUTE_PGM_RSRC2:SCRATCH_EN: 0
; COMPUTE_PGM_RSRC2:USER_SGPR: 15
; COMPUTE_PGM_RSRC2:TRAP_HANDLER: 0
; COMPUTE_PGM_RSRC2:TGID_X_EN: 1
; COMPUTE_PGM_RSRC2:TGID_Y_EN: 0
; COMPUTE_PGM_RSRC2:TGID_Z_EN: 0
; COMPUTE_PGM_RSRC2:TIDIG_COMP_CNT: 1
	.section	.text._ZL28rocblas_dot_batched_4_kernelIlLi64ELi4ELb1EDF16_fPKDF16_EviT5_lT_lS2_lS3_liPT4_,"axG",@progbits,_ZL28rocblas_dot_batched_4_kernelIlLi64ELi4ELb1EDF16_fPKDF16_EviT5_lT_lS2_lS3_liPT4_,comdat
	.globl	_ZL28rocblas_dot_batched_4_kernelIlLi64ELi4ELb1EDF16_fPKDF16_EviT5_lT_lS2_lS3_liPT4_ ; -- Begin function _ZL28rocblas_dot_batched_4_kernelIlLi64ELi4ELb1EDF16_fPKDF16_EviT5_lT_lS2_lS3_liPT4_
	.p2align	8
	.type	_ZL28rocblas_dot_batched_4_kernelIlLi64ELi4ELb1EDF16_fPKDF16_EviT5_lT_lS2_lS3_liPT4_,@function
_ZL28rocblas_dot_batched_4_kernelIlLi64ELi4ELb1EDF16_fPKDF16_EviT5_lT_lS2_lS3_liPT4_: ; @_ZL28rocblas_dot_batched_4_kernelIlLi64ELi4ELb1EDF16_fPKDF16_EviT5_lT_lS2_lS3_liPT4_
; %bb.0:
	s_load_b32 s2, s[0:1], 0x48
	v_bfe_u32 v1, v0, 10, 10
	s_delay_alu instid0(VALU_DEP_1) | instskip(SKIP_1) | instid1(VALU_DEP_1)
	v_lshl_add_u32 v1, s15, 2, v1
	s_waitcnt lgkmcnt(0)
	v_cmp_gt_u32_e32 vcc_lo, s2, v1
	s_and_saveexec_b32 s2, vcc_lo
	s_cbranch_execz .LBB290_7
; %bb.1:
	s_clause 0x1
	s_load_b32 s16, s[0:1], 0x0
	s_load_b64 s[2:3], s[0:1], 0x50
	v_mov_b32_e32 v2, 0
	v_and_b32_e32 v0, 0x3ff, v0
	s_mov_b32 s17, exec_lo
	s_delay_alu instid0(VALU_DEP_2) | instskip(SKIP_1) | instid1(VALU_DEP_2)
	v_mov_b32_e32 v7, v2
	s_waitcnt lgkmcnt(0)
	v_cmpx_gt_i32_e64 s16, v0
	s_cbranch_execz .LBB290_5
; %bb.2:
	s_clause 0x3
	s_load_b128 s[12:15], s[0:1], 0x10
	s_load_b256 s[4:11], s[0:1], 0x20
	s_load_b64 s[18:19], s[0:1], 0x40
	s_load_b64 s[0:1], s[0:1], 0x8
	s_waitcnt lgkmcnt(0)
	v_mad_u64_u32 v[3:4], null, s14, v0, 0
	v_mad_u64_u32 v[5:6], null, s4, v1, 0
	v_mad_u64_u32 v[8:9], null, s10, v0, 0
	v_mad_u64_u32 v[10:11], null, s18, v1, 0
	s_lshl_b64 s[12:13], s[12:13], 1
	s_delay_alu instid0(VALU_DEP_3) | instskip(SKIP_4) | instid1(VALU_DEP_2)
	v_mad_u64_u32 v[12:13], null, s15, v0, v[4:5]
	v_mov_b32_e32 v7, 0
	s_add_u32 s12, s0, s12
	s_addc_u32 s13, s1, s13
	s_lshl_b64 s[0:1], s[8:9], 1
	v_mov_b32_e32 v4, v12
	v_mad_u64_u32 v[13:14], null, s5, v1, v[6:7]
	v_mad_u64_u32 v[14:15], null, s11, v0, v[9:10]
	v_mad_u64_u32 v[15:16], null, s19, v1, v[11:12]
	s_delay_alu instid0(VALU_DEP_4) | instskip(SKIP_1) | instid1(VALU_DEP_4)
	v_lshlrev_b64 v[3:4], 1, v[3:4]
	s_lshl_b64 s[4:5], s[14:15], 7
	v_mov_b32_e32 v6, v13
	s_add_u32 s0, s6, s0
	s_delay_alu instid0(VALU_DEP_4) | instskip(SKIP_1) | instid1(VALU_DEP_4)
	v_mov_b32_e32 v9, v14
	s_addc_u32 s1, s7, s1
	v_mov_b32_e32 v11, v15
	v_lshlrev_b64 v[5:6], 1, v[5:6]
	s_lshl_b64 s[6:7], s[10:11], 7
	v_lshlrev_b64 v[8:9], 1, v[8:9]
	s_delay_alu instid0(VALU_DEP_3) | instskip(NEXT) | instid1(VALU_DEP_3)
	v_lshlrev_b64 v[10:11], 1, v[10:11]
	v_add_co_u32 v3, vcc_lo, v3, v5
	s_delay_alu instid0(VALU_DEP_4) | instskip(NEXT) | instid1(VALU_DEP_3)
	v_add_co_ci_u32_e32 v4, vcc_lo, v4, v6, vcc_lo
	v_add_co_u32 v5, vcc_lo, v8, v10
	v_mov_b32_e32 v8, v0
	v_add_co_ci_u32_e32 v6, vcc_lo, v9, v11, vcc_lo
	v_add_co_u32 v3, vcc_lo, s12, v3
	v_add_co_ci_u32_e32 v4, vcc_lo, s13, v4, vcc_lo
	v_add_co_u32 v5, vcc_lo, s0, v5
	s_delay_alu instid0(VALU_DEP_4)
	v_add_co_ci_u32_e32 v6, vcc_lo, s1, v6, vcc_lo
	s_mov_b32 s1, 0
	.p2align	6
.LBB290_3:                              ; =>This Inner Loop Header: Depth=1
	global_load_u16 v9, v[3:4], off
	global_load_u16 v10, v[5:6], off
	v_add_nc_u32_e32 v8, 64, v8
	v_add_co_u32 v3, vcc_lo, v3, s4
	v_add_co_ci_u32_e32 v4, vcc_lo, s5, v4, vcc_lo
	v_add_co_u32 v5, vcc_lo, v5, s6
	s_delay_alu instid0(VALU_DEP_4) | instskip(SKIP_1) | instid1(VALU_DEP_2)
	v_cmp_le_i32_e64 s0, s16, v8
	v_add_co_ci_u32_e32 v6, vcc_lo, s7, v6, vcc_lo
	s_or_b32 s1, s0, s1
	s_waitcnt vmcnt(0)
	v_fmac_f16_e32 v7, v9, v10
	s_and_not1_b32 exec_lo, exec_lo, s1
	s_cbranch_execnz .LBB290_3
; %bb.4:
	s_or_b32 exec_lo, exec_lo, s1
.LBB290_5:
	s_delay_alu instid0(SALU_CYCLE_1)
	s_or_b32 exec_lo, exec_lo, s17
	v_mbcnt_lo_u32_b32 v4, -1, 0
	v_and_b32_e32 v3, 0xffff, v7
	s_barrier
	buffer_gl0_inv
	v_lshlrev_b32_e32 v5, 2, v4
	v_cmp_gt_u32_e32 vcc_lo, 16, v4
	ds_bpermute_b32 v3, v5, v3
	v_cndmask_b32_e64 v5, 0, 1, vcc_lo
	v_cmp_gt_u32_e32 vcc_lo, 24, v4
	s_delay_alu instid0(VALU_DEP_2) | instskip(NEXT) | instid1(VALU_DEP_1)
	v_lshlrev_b32_e32 v5, 4, v5
	v_add_lshl_u32 v5, v5, v4, 2
	s_waitcnt lgkmcnt(0)
	v_add_f16_e32 v6, v7, v3
	s_delay_alu instid0(VALU_DEP_1) | instskip(NEXT) | instid1(VALU_DEP_1)
	v_and_b32_e32 v7, 0xffff, v6
	v_and_or_b32 v3, 0xffff0000, v3, v7
	ds_bpermute_b32 v3, v5, v3
	v_cndmask_b32_e64 v5, 0, 1, vcc_lo
	v_cmp_gt_u32_e32 vcc_lo, 28, v4
	s_delay_alu instid0(VALU_DEP_2) | instskip(NEXT) | instid1(VALU_DEP_1)
	v_lshlrev_b32_e32 v5, 3, v5
	v_add_lshl_u32 v5, v5, v4, 2
	s_waitcnt lgkmcnt(0)
	v_add_f16_e32 v6, v6, v3
	s_delay_alu instid0(VALU_DEP_1) | instskip(NEXT) | instid1(VALU_DEP_1)
	v_and_b32_e32 v7, 0xffff, v6
	v_and_or_b32 v3, 0xffff0000, v3, v7
	;; [unrolled: 11-line block ×3, first 2 shown]
	ds_bpermute_b32 v3, v5, v3
	v_cndmask_b32_e64 v5, 0, 1, vcc_lo
	v_cmp_ne_u32_e32 vcc_lo, 31, v4
	s_delay_alu instid0(VALU_DEP_2) | instskip(NEXT) | instid1(VALU_DEP_1)
	v_lshlrev_b32_e32 v5, 1, v5
	v_add_lshl_u32 v5, v5, v4, 2
	v_add_co_ci_u32_e32 v4, vcc_lo, 0, v4, vcc_lo
	v_cmp_eq_u32_e32 vcc_lo, 0, v0
	s_delay_alu instid0(VALU_DEP_2) | instskip(SKIP_2) | instid1(VALU_DEP_1)
	v_lshlrev_b32_e32 v4, 2, v4
	s_waitcnt lgkmcnt(0)
	v_add_f16_e32 v6, v6, v3
	v_and_b32_e32 v7, 0xffff, v6
	s_delay_alu instid0(VALU_DEP_1) | instskip(SKIP_3) | instid1(VALU_DEP_1)
	v_and_or_b32 v3, 0xffff0000, v3, v7
	ds_bpermute_b32 v5, v5, v3
	s_waitcnt lgkmcnt(0)
	v_add_f16_e32 v3, v6, v5
	v_and_b32_e32 v6, 0xffff, v3
	s_delay_alu instid0(VALU_DEP_1)
	v_and_or_b32 v5, 0xffff0000, v5, v6
	ds_bpermute_b32 v4, v4, v5
	s_and_b32 exec_lo, exec_lo, vcc_lo
	s_cbranch_execz .LBB290_7
; %bb.6:
	v_lshlrev_b64 v[0:1], 2, v[1:2]
	s_waitcnt lgkmcnt(0)
	v_add_f16_e32 v2, v3, v4
	s_delay_alu instid0(VALU_DEP_1) | instskip(NEXT) | instid1(VALU_DEP_3)
	v_cvt_f32_f16_e32 v2, v2
	v_add_co_u32 v0, vcc_lo, s2, v0
	s_delay_alu instid0(VALU_DEP_4)
	v_add_co_ci_u32_e32 v1, vcc_lo, s3, v1, vcc_lo
	global_store_b32 v[0:1], v2, off
.LBB290_7:
	s_nop 0
	s_sendmsg sendmsg(MSG_DEALLOC_VGPRS)
	s_endpgm
	.section	.rodata,"a",@progbits
	.p2align	6, 0x0
	.amdhsa_kernel _ZL28rocblas_dot_batched_4_kernelIlLi64ELi4ELb1EDF16_fPKDF16_EviT5_lT_lS2_lS3_liPT4_
		.amdhsa_group_segment_fixed_size 0
		.amdhsa_private_segment_fixed_size 0
		.amdhsa_kernarg_size 88
		.amdhsa_user_sgpr_count 15
		.amdhsa_user_sgpr_dispatch_ptr 0
		.amdhsa_user_sgpr_queue_ptr 0
		.amdhsa_user_sgpr_kernarg_segment_ptr 1
		.amdhsa_user_sgpr_dispatch_id 0
		.amdhsa_user_sgpr_private_segment_size 0
		.amdhsa_wavefront_size32 1
		.amdhsa_uses_dynamic_stack 0
		.amdhsa_enable_private_segment 0
		.amdhsa_system_sgpr_workgroup_id_x 1
		.amdhsa_system_sgpr_workgroup_id_y 0
		.amdhsa_system_sgpr_workgroup_id_z 0
		.amdhsa_system_sgpr_workgroup_info 0
		.amdhsa_system_vgpr_workitem_id 1
		.amdhsa_next_free_vgpr 17
		.amdhsa_next_free_sgpr 20
		.amdhsa_reserve_vcc 1
		.amdhsa_float_round_mode_32 0
		.amdhsa_float_round_mode_16_64 0
		.amdhsa_float_denorm_mode_32 3
		.amdhsa_float_denorm_mode_16_64 3
		.amdhsa_dx10_clamp 1
		.amdhsa_ieee_mode 1
		.amdhsa_fp16_overflow 0
		.amdhsa_workgroup_processor_mode 1
		.amdhsa_memory_ordered 1
		.amdhsa_forward_progress 0
		.amdhsa_shared_vgpr_count 0
		.amdhsa_exception_fp_ieee_invalid_op 0
		.amdhsa_exception_fp_denorm_src 0
		.amdhsa_exception_fp_ieee_div_zero 0
		.amdhsa_exception_fp_ieee_overflow 0
		.amdhsa_exception_fp_ieee_underflow 0
		.amdhsa_exception_fp_ieee_inexact 0
		.amdhsa_exception_int_div_zero 0
	.end_amdhsa_kernel
	.section	.text._ZL28rocblas_dot_batched_4_kernelIlLi64ELi4ELb1EDF16_fPKDF16_EviT5_lT_lS2_lS3_liPT4_,"axG",@progbits,_ZL28rocblas_dot_batched_4_kernelIlLi64ELi4ELb1EDF16_fPKDF16_EviT5_lT_lS2_lS3_liPT4_,comdat
.Lfunc_end290:
	.size	_ZL28rocblas_dot_batched_4_kernelIlLi64ELi4ELb1EDF16_fPKDF16_EviT5_lT_lS2_lS3_liPT4_, .Lfunc_end290-_ZL28rocblas_dot_batched_4_kernelIlLi64ELi4ELb1EDF16_fPKDF16_EviT5_lT_lS2_lS3_liPT4_
                                        ; -- End function
	.section	.AMDGPU.csdata,"",@progbits
; Kernel info:
; codeLenInByte = 900
; NumSgprs: 22
; NumVgprs: 17
; ScratchSize: 0
; MemoryBound: 0
; FloatMode: 240
; IeeeMode: 1
; LDSByteSize: 0 bytes/workgroup (compile time only)
; SGPRBlocks: 2
; VGPRBlocks: 2
; NumSGPRsForWavesPerEU: 22
; NumVGPRsForWavesPerEU: 17
; Occupancy: 16
; WaveLimiterHint : 0
; COMPUTE_PGM_RSRC2:SCRATCH_EN: 0
; COMPUTE_PGM_RSRC2:USER_SGPR: 15
; COMPUTE_PGM_RSRC2:TRAP_HANDLER: 0
; COMPUTE_PGM_RSRC2:TGID_X_EN: 1
; COMPUTE_PGM_RSRC2:TGID_Y_EN: 0
; COMPUTE_PGM_RSRC2:TGID_Z_EN: 0
; COMPUTE_PGM_RSRC2:TIDIG_COMP_CNT: 1
	.section	.text._ZL26rocblas_dot_kernel_inc1by2ILb1ELi1024ELi32ELb1EfPKDF16_DF16_EviT4_llS2_lliPT5_PT3_,"axG",@progbits,_ZL26rocblas_dot_kernel_inc1by2ILb1ELi1024ELi32ELb1EfPKDF16_DF16_EviT4_llS2_lliPT5_PT3_,comdat
	.globl	_ZL26rocblas_dot_kernel_inc1by2ILb1ELi1024ELi32ELb1EfPKDF16_DF16_EviT4_llS2_lliPT5_PT3_ ; -- Begin function _ZL26rocblas_dot_kernel_inc1by2ILb1ELi1024ELi32ELb1EfPKDF16_DF16_EviT4_llS2_lliPT5_PT3_
	.p2align	8
	.type	_ZL26rocblas_dot_kernel_inc1by2ILb1ELi1024ELi32ELb1EfPKDF16_DF16_EviT4_llS2_lliPT5_PT3_,@function
_ZL26rocblas_dot_kernel_inc1by2ILb1ELi1024ELi32ELb1EfPKDF16_DF16_EviT4_llS2_lliPT5_PT3_: ; @_ZL26rocblas_dot_kernel_inc1by2ILb1ELi1024ELi32ELb1EfPKDF16_DF16_EviT4_llS2_lliPT5_PT3_
; %bb.0:
	s_mov_b32 s2, s15
	s_clause 0x5
	s_load_b128 s[8:11], s[0:1], 0x10
	s_load_b128 s[4:7], s[0:1], 0x28
	s_load_b32 s17, s[0:1], 0x0
	s_load_b64 s[12:13], s[0:1], 0x48
	s_load_b64 s[14:15], s[0:1], 0x8
	;; [unrolled: 1-line block ×3, first 2 shown]
	v_dual_mov_b32 v5, 0 :: v_dual_lshlrev_b32 v6, 1, v0
	s_mov_b32 s3, 0
	s_waitcnt lgkmcnt(0)
	s_mul_i32 s11, s2, s11
	s_mul_hi_u32 s18, s2, s10
	s_mul_i32 s7, s2, s7
	s_mul_hi_u32 s19, s2, s6
	s_add_i32 s16, s17, -1
	s_add_i32 s11, s18, s11
	s_mul_i32 s10, s2, s10
	s_add_i32 s7, s19, s7
	s_mul_i32 s6, s2, s6
	s_mov_b32 s18, exec_lo
	v_cmpx_gt_i32_e64 s16, v6
	s_cbranch_execz .LBB291_4
; %bb.1:
	s_lshl_b64 s[22:23], s[4:5], 1
	s_lshl_b64 s[20:21], s[6:7], 1
	v_lshlrev_b32_e32 v3, 2, v0
	s_add_u32 s19, s0, s22
	s_addc_u32 s22, s1, s23
	s_add_u32 s19, s19, s20
	s_addc_u32 s20, s22, s21
	v_add_co_u32 v1, s19, s19, v3
	s_delay_alu instid0(VALU_DEP_1)
	v_add_co_ci_u32_e64 v2, null, s20, 0, s19
	s_lshl_b64 s[20:21], s[8:9], 1
	s_lshl_b64 s[22:23], s[10:11], 1
	s_add_u32 s19, s14, s20
	s_addc_u32 s20, s15, s21
	s_add_u32 s19, s19, s22
	s_addc_u32 s20, s20, s23
	v_add_co_u32 v3, s19, s19, v3
	v_mov_b32_e32 v5, 0
	v_add_co_ci_u32_e64 v4, null, s20, 0, s19
	s_mov_b32 s19, s3
	s_mov_b32 s20, s3
	.p2align	6
.LBB291_2:                              ; =>This Inner Loop Header: Depth=1
	global_load_b32 v7, v[1:2], off
	global_load_b32 v8, v[3:4], off
	v_add_co_u32 v1, vcc_lo, 0x1000, v1
	v_add_nc_u32_e32 v6, 0x800, v6
	v_add_co_ci_u32_e32 v2, vcc_lo, 0, v2, vcc_lo
	v_add_co_u32 v3, vcc_lo, 0x1000, v3
	v_add_co_ci_u32_e32 v4, vcc_lo, 0, v4, vcc_lo
	s_add_i32 s21, s20, 1
	v_cmp_le_i32_e32 vcc_lo, s16, v6
	s_cmp_gt_u32 s20, 30
	s_cselect_b32 s20, -1, 0
	s_delay_alu instid0(SALU_CYCLE_1) | instskip(NEXT) | instid1(SALU_CYCLE_1)
	s_or_b32 s20, s20, vcc_lo
	s_and_b32 s20, exec_lo, s20
	s_delay_alu instid0(SALU_CYCLE_1) | instskip(SKIP_3) | instid1(VALU_DEP_1)
	s_or_b32 s19, s20, s19
	s_mov_b32 s20, s21
	s_waitcnt vmcnt(0)
	v_pk_mul_f16 v7, v7, v8
	v_add_f16_e32 v5, v5, v7
	v_lshrrev_b32_e32 v7, 16, v7
	s_delay_alu instid0(VALU_DEP_1)
	v_add_f16_e32 v5, v5, v7
	s_and_not1_b32 exec_lo, exec_lo, s19
	s_cbranch_execnz .LBB291_2
; %bb.3:
	s_or_b32 exec_lo, exec_lo, s19
.LBB291_4:
	s_delay_alu instid0(SALU_CYCLE_1) | instskip(SKIP_3) | instid1(SALU_CYCLE_1)
	s_or_b32 exec_lo, exec_lo, s18
	v_cmp_eq_u32_e32 vcc_lo, s16, v6
	s_bitcmp1_b32 s17, 0
	s_cselect_b32 s17, -1, 0
	s_and_b32 s17, s17, vcc_lo
	s_delay_alu instid0(SALU_CYCLE_1)
	s_and_saveexec_b32 s18, s17
	s_cbranch_execz .LBB291_6
; %bb.5:
	s_lshl_b64 s[10:11], s[10:11], 1
	s_mov_b32 s17, 0
	s_add_u32 s10, s14, s10
	s_addc_u32 s11, s15, s11
	s_lshl_b64 s[8:9], s[8:9], 1
	v_mov_b32_e32 v1, 0
	s_add_u32 s8, s10, s8
	s_addc_u32 s9, s11, s9
	s_lshl_b64 s[6:7], s[6:7], 1
	s_delay_alu instid0(SALU_CYCLE_1) | instskip(SKIP_2) | instid1(SALU_CYCLE_1)
	s_add_u32 s6, s0, s6
	s_addc_u32 s7, s1, s7
	s_lshl_b64 s[0:1], s[4:5], 1
	s_add_u32 s6, s6, s0
	s_addc_u32 s7, s7, s1
	s_lshl_b64 s[0:1], s[16:17], 1
	s_delay_alu instid0(SALU_CYCLE_1)
	s_add_u32 s4, s8, s0
	s_addc_u32 s5, s9, s1
	s_add_u32 s0, s6, s0
	s_addc_u32 s1, s7, s1
	s_clause 0x1
	global_load_u16 v2, v1, s[0:1]
	global_load_u16 v1, v1, s[4:5]
	s_waitcnt vmcnt(0)
	v_fmac_f16_e32 v5, v2, v1
.LBB291_6:
	s_or_b32 exec_lo, exec_lo, s18
	v_and_b32_e32 v6, 31, v0
	v_cmp_gt_u32_e32 vcc_lo, 32, v0
	s_delay_alu instid0(VALU_DEP_2)
	v_lshlrev_b32_e32 v1, 1, v6
	s_and_saveexec_b32 s0, vcc_lo
	s_cbranch_execz .LBB291_8
; %bb.7:
	v_mov_b32_e32 v2, 0
	ds_store_b16 v1, v2
.LBB291_8:
	s_or_b32 exec_lo, exec_lo, s0
	v_mbcnt_lo_u32_b32 v7, -1, 0
	v_and_b32_e32 v3, 0xffff, v5
	s_mov_b32 s1, exec_lo
	s_waitcnt lgkmcnt(0)
	s_barrier
	v_cmp_gt_u32_e64 s0, 16, v7
	buffer_gl0_inv
	v_cndmask_b32_e64 v2, 0, 1, s0
	v_cmp_gt_u32_e64 s0, 24, v7
	s_delay_alu instid0(VALU_DEP_2) | instskip(NEXT) | instid1(VALU_DEP_1)
	v_lshlrev_b32_e32 v2, 4, v2
	v_add_lshl_u32 v2, v2, v7, 2
	ds_bpermute_b32 v4, v2, v3
	v_cndmask_b32_e64 v3, 0, 1, s0
	v_cmp_gt_u32_e64 s0, 28, v7
	s_delay_alu instid0(VALU_DEP_2) | instskip(NEXT) | instid1(VALU_DEP_1)
	v_lshlrev_b32_e32 v3, 3, v3
	v_add_lshl_u32 v3, v3, v7, 2
	s_waitcnt lgkmcnt(0)
	v_add_f16_e32 v5, v5, v4
	s_delay_alu instid0(VALU_DEP_1) | instskip(NEXT) | instid1(VALU_DEP_1)
	v_and_b32_e32 v8, 0xffff, v5
	v_and_or_b32 v4, 0xffff0000, v4, v8
	ds_bpermute_b32 v8, v3, v4
	v_cndmask_b32_e64 v4, 0, 1, s0
	v_cmp_gt_u32_e64 s0, 30, v7
	s_delay_alu instid0(VALU_DEP_2) | instskip(NEXT) | instid1(VALU_DEP_1)
	v_lshlrev_b32_e32 v4, 2, v4
	v_add_lshl_u32 v4, v4, v7, 2
	s_waitcnt lgkmcnt(0)
	v_add_f16_e32 v5, v5, v8
	s_delay_alu instid0(VALU_DEP_1) | instskip(NEXT) | instid1(VALU_DEP_1)
	v_and_b32_e32 v9, 0xffff, v5
	v_and_or_b32 v8, 0xffff0000, v8, v9
	v_cndmask_b32_e64 v9, 0, 1, s0
	v_cmp_ne_u32_e64 s0, 31, v7
	ds_bpermute_b32 v8, v4, v8
	s_waitcnt lgkmcnt(0)
	v_add_f16_e32 v10, v5, v8
	v_lshlrev_b32_e32 v5, 1, v9
	s_delay_alu instid0(VALU_DEP_2) | instskip(NEXT) | instid1(VALU_DEP_2)
	v_and_b32_e32 v9, 0xffff, v10
	v_add_lshl_u32 v5, v5, v7, 2
	v_add_co_ci_u32_e64 v7, s0, 0, v7, s0
	s_delay_alu instid0(VALU_DEP_3) | instskip(NEXT) | instid1(VALU_DEP_2)
	v_and_or_b32 v8, 0xffff0000, v8, v9
	v_lshlrev_b32_e32 v7, 2, v7
	ds_bpermute_b32 v9, v5, v8
	s_waitcnt lgkmcnt(0)
	v_add_f16_e32 v8, v10, v9
	s_delay_alu instid0(VALU_DEP_1) | instskip(NEXT) | instid1(VALU_DEP_1)
	v_and_b32_e32 v10, 0xffff, v8
	v_and_or_b32 v9, 0xffff0000, v9, v10
	ds_bpermute_b32 v9, v7, v9
	v_cmpx_eq_u32_e32 0, v6
	s_cbranch_execz .LBB291_10
; %bb.9:
	v_lshrrev_b32_e32 v6, 4, v0
	s_waitcnt lgkmcnt(0)
	v_add_f16_e32 v8, v8, v9
	s_delay_alu instid0(VALU_DEP_2)
	v_and_b32_e32 v6, 62, v6
	ds_store_b16 v6, v8
.LBB291_10:
	s_or_b32 exec_lo, exec_lo, s1
	v_mov_b32_e32 v6, 0
	s_waitcnt lgkmcnt(0)
	s_barrier
	buffer_gl0_inv
	s_and_saveexec_b32 s0, vcc_lo
	s_cbranch_execz .LBB291_12
; %bb.11:
	ds_load_u16 v6, v1
.LBB291_12:
	s_or_b32 exec_lo, exec_lo, s0
	s_and_saveexec_b32 s0, vcc_lo
	s_cbranch_execz .LBB291_14
; %bb.13:
	s_waitcnt lgkmcnt(0)
	v_and_b32_e32 v1, 0xffff, v6
	ds_bpermute_b32 v1, v2, v1
	s_waitcnt lgkmcnt(0)
	v_add_f16_e32 v2, v6, v1
	s_delay_alu instid0(VALU_DEP_1) | instskip(NEXT) | instid1(VALU_DEP_1)
	v_and_b32_e32 v6, 0xffff, v2
	v_and_or_b32 v1, 0xffff0000, v1, v6
	ds_bpermute_b32 v1, v3, v1
	s_waitcnt lgkmcnt(0)
	v_add_f16_e32 v2, v2, v1
	s_delay_alu instid0(VALU_DEP_1) | instskip(NEXT) | instid1(VALU_DEP_1)
	v_and_b32_e32 v3, 0xffff, v2
	v_and_or_b32 v1, 0xffff0000, v1, v3
	;; [unrolled: 6-line block ×4, first 2 shown]
	ds_bpermute_b32 v1, v7, v1
	s_waitcnt lgkmcnt(0)
	v_add_f16_e32 v6, v2, v1
.LBB291_14:
	s_or_b32 exec_lo, exec_lo, s0
	s_delay_alu instid0(SALU_CYCLE_1)
	s_mov_b32 s0, exec_lo
	v_cmpx_eq_u32_e32 0, v0
	s_cbranch_execz .LBB291_16
; %bb.15:
	s_waitcnt lgkmcnt(0)
	v_cvt_f32_f16_e32 v0, v6
	s_lshl_b64 s[0:1], s[2:3], 2
	v_mov_b32_e32 v1, 0
	s_add_u32 s0, s12, s0
	s_addc_u32 s1, s13, s1
	global_store_b32 v1, v0, s[0:1]
.LBB291_16:
	s_nop 0
	s_sendmsg sendmsg(MSG_DEALLOC_VGPRS)
	s_endpgm
	.section	.rodata,"a",@progbits
	.p2align	6, 0x0
	.amdhsa_kernel _ZL26rocblas_dot_kernel_inc1by2ILb1ELi1024ELi32ELb1EfPKDF16_DF16_EviT4_llS2_lliPT5_PT3_
		.amdhsa_group_segment_fixed_size 64
		.amdhsa_private_segment_fixed_size 0
		.amdhsa_kernarg_size 80
		.amdhsa_user_sgpr_count 14
		.amdhsa_user_sgpr_dispatch_ptr 0
		.amdhsa_user_sgpr_queue_ptr 0
		.amdhsa_user_sgpr_kernarg_segment_ptr 1
		.amdhsa_user_sgpr_dispatch_id 0
		.amdhsa_user_sgpr_private_segment_size 0
		.amdhsa_wavefront_size32 1
		.amdhsa_uses_dynamic_stack 0
		.amdhsa_enable_private_segment 0
		.amdhsa_system_sgpr_workgroup_id_x 1
		.amdhsa_system_sgpr_workgroup_id_y 0
		.amdhsa_system_sgpr_workgroup_id_z 1
		.amdhsa_system_sgpr_workgroup_info 0
		.amdhsa_system_vgpr_workitem_id 0
		.amdhsa_next_free_vgpr 11
		.amdhsa_next_free_sgpr 24
		.amdhsa_reserve_vcc 1
		.amdhsa_float_round_mode_32 0
		.amdhsa_float_round_mode_16_64 0
		.amdhsa_float_denorm_mode_32 3
		.amdhsa_float_denorm_mode_16_64 3
		.amdhsa_dx10_clamp 1
		.amdhsa_ieee_mode 1
		.amdhsa_fp16_overflow 0
		.amdhsa_workgroup_processor_mode 1
		.amdhsa_memory_ordered 1
		.amdhsa_forward_progress 0
		.amdhsa_shared_vgpr_count 0
		.amdhsa_exception_fp_ieee_invalid_op 0
		.amdhsa_exception_fp_denorm_src 0
		.amdhsa_exception_fp_ieee_div_zero 0
		.amdhsa_exception_fp_ieee_overflow 0
		.amdhsa_exception_fp_ieee_underflow 0
		.amdhsa_exception_fp_ieee_inexact 0
		.amdhsa_exception_int_div_zero 0
	.end_amdhsa_kernel
	.section	.text._ZL26rocblas_dot_kernel_inc1by2ILb1ELi1024ELi32ELb1EfPKDF16_DF16_EviT4_llS2_lliPT5_PT3_,"axG",@progbits,_ZL26rocblas_dot_kernel_inc1by2ILb1ELi1024ELi32ELb1EfPKDF16_DF16_EviT4_llS2_lliPT5_PT3_,comdat
.Lfunc_end291:
	.size	_ZL26rocblas_dot_kernel_inc1by2ILb1ELi1024ELi32ELb1EfPKDF16_DF16_EviT4_llS2_lliPT5_PT3_, .Lfunc_end291-_ZL26rocblas_dot_kernel_inc1by2ILb1ELi1024ELi32ELb1EfPKDF16_DF16_EviT4_llS2_lliPT5_PT3_
                                        ; -- End function
	.section	.AMDGPU.csdata,"",@progbits
; Kernel info:
; codeLenInByte = 1244
; NumSgprs: 26
; NumVgprs: 11
; ScratchSize: 0
; MemoryBound: 0
; FloatMode: 240
; IeeeMode: 1
; LDSByteSize: 64 bytes/workgroup (compile time only)
; SGPRBlocks: 3
; VGPRBlocks: 1
; NumSGPRsForWavesPerEU: 26
; NumVGPRsForWavesPerEU: 11
; Occupancy: 16
; WaveLimiterHint : 0
; COMPUTE_PGM_RSRC2:SCRATCH_EN: 0
; COMPUTE_PGM_RSRC2:USER_SGPR: 14
; COMPUTE_PGM_RSRC2:TRAP_HANDLER: 0
; COMPUTE_PGM_RSRC2:TGID_X_EN: 1
; COMPUTE_PGM_RSRC2:TGID_Y_EN: 0
; COMPUTE_PGM_RSRC2:TGID_Z_EN: 1
; COMPUTE_PGM_RSRC2:TIDIG_COMP_CNT: 0
	.section	.text._ZL18rocblas_dot_kernelIlLb1ELi1024ELi32ELb1EfPKDF16_DF16_EviT5_lT_lS2_lS3_liPT6_PT4_,"axG",@progbits,_ZL18rocblas_dot_kernelIlLb1ELi1024ELi32ELb1EfPKDF16_DF16_EviT5_lT_lS2_lS3_liPT6_PT4_,comdat
	.globl	_ZL18rocblas_dot_kernelIlLb1ELi1024ELi32ELb1EfPKDF16_DF16_EviT5_lT_lS2_lS3_liPT6_PT4_ ; -- Begin function _ZL18rocblas_dot_kernelIlLb1ELi1024ELi32ELb1EfPKDF16_DF16_EviT5_lT_lS2_lS3_liPT6_PT4_
	.p2align	8
	.type	_ZL18rocblas_dot_kernelIlLb1ELi1024ELi32ELb1EfPKDF16_DF16_EviT5_lT_lS2_lS3_liPT6_PT4_,@function
_ZL18rocblas_dot_kernelIlLb1ELi1024ELi32ELb1EfPKDF16_DF16_EviT5_lT_lS2_lS3_liPT6_PT4_: ; @_ZL18rocblas_dot_kernelIlLb1ELi1024ELi32ELb1EfPKDF16_DF16_EviT5_lT_lS2_lS3_liPT6_PT4_
; %bb.0:
	s_clause 0x1
	s_load_b32 s18, s[0:1], 0x0
	s_load_b64 s[2:3], s[0:1], 0x58
	v_mov_b32_e32 v6, 0
	s_mov_b32 s16, s15
	s_mov_b32 s17, 0
	s_mov_b32 s19, exec_lo
	s_waitcnt lgkmcnt(0)
	v_cmpx_gt_i32_e64 s18, v0
	s_cbranch_execz .LBB292_4
; %bb.1:
	s_clause 0x4
	s_load_b32 s24, s[0:1], 0x60
	s_load_b256 s[4:11], s[0:1], 0x20
	s_load_b128 s[12:15], s[0:1], 0x10
	s_load_b64 s[20:21], s[0:1], 0x40
	s_load_b64 s[22:23], s[0:1], 0x8
	s_waitcnt lgkmcnt(0)
	s_lshl_b32 s1, s24, 10
	v_mad_u64_u32 v[3:4], null, s10, v0, 0
	v_mad_u64_u32 v[1:2], null, s14, v0, 0
	v_or_b32_e32 v5, s1, v0
	s_mul_i32 s0, s5, s16
	s_mul_hi_u32 s5, s4, s16
	s_mul_i32 s4, s4, s16
	s_add_i32 s5, s5, s0
	s_lshl_b64 s[12:13], s[12:13], 1
	s_delay_alu instid0(VALU_DEP_2)
	v_mad_u64_u32 v[6:7], null, s15, v0, v[2:3]
	v_mad_u64_u32 v[7:8], null, s11, v0, v[4:5]
	s_lshl_b64 s[4:5], s[4:5], 1
	s_add_u32 s12, s22, s12
	s_addc_u32 s13, s23, s13
	s_add_u32 s22, s12, s4
	s_delay_alu instid0(VALU_DEP_2)
	v_mov_b32_e32 v2, v6
	s_addc_u32 s23, s13, s5
	s_ashr_i32 s4, s1, 31
	s_mul_hi_u32 s0, s14, s1
	s_mul_i32 s5, s14, s4
	v_mov_b32_e32 v4, v7
	s_mul_i32 s21, s21, s16
	s_mul_hi_u32 s25, s20, s16
	s_mul_i32 s26, s15, s1
	s_add_i32 s0, s0, s5
	v_lshlrev_b64 v[1:2], 1, v[1:2]
	s_mul_i32 s20, s20, s16
	s_mul_i32 s24, s14, s1
	s_add_i32 s21, s25, s21
	s_add_i32 s25, s0, s26
	s_lshl_b64 s[8:9], s[8:9], 1
	v_lshlrev_b64 v[3:4], 1, v[3:4]
	s_lshl_b64 s[12:13], s[20:21], 1
	s_mul_i32 s0, s10, s4
	s_lshl_b64 s[4:5], s[24:25], 1
	s_add_u32 s6, s6, s8
	s_addc_u32 s7, s7, s9
	v_add_co_u32 v1, vcc_lo, s22, v1
	s_add_u32 s6, s6, s12
	v_add_co_ci_u32_e32 v2, vcc_lo, s23, v2, vcc_lo
	s_mul_hi_u32 s8, s10, s1
	s_addc_u32 s7, s7, s13
	v_add_co_u32 v3, vcc_lo, s6, v3
	s_add_i32 s0, s8, s0
	s_mul_i32 s8, s11, s1
	v_add_co_ci_u32_e32 v4, vcc_lo, s7, v4, vcc_lo
	v_mov_b32_e32 v6, 0
	s_add_i32 s7, s0, s8
	s_mul_i32 s6, s10, s1
	s_mov_b32 s8, s17
	s_lshl_b64 s[6:7], s[6:7], 1
	s_mov_b32 s9, s17
	.p2align	6
.LBB292_2:                              ; =>This Inner Loop Header: Depth=1
	global_load_u16 v7, v[3:4], off
	global_load_u16 v8, v[1:2], off
	v_add_co_u32 v1, s0, v1, s4
	s_delay_alu instid0(VALU_DEP_1)
	v_add_co_ci_u32_e64 v2, s0, s5, v2, s0
	s_add_i32 s10, s9, 1
	v_cmp_le_i32_e32 vcc_lo, s18, v5
	v_add_co_u32 v3, s0, v3, s6
	s_cmp_gt_u32 s9, 30
	v_add_co_ci_u32_e64 v4, s0, s7, v4, s0
	s_cselect_b32 s0, -1, 0
	v_add_nc_u32_e32 v5, s1, v5
	s_or_b32 s0, s0, vcc_lo
	s_mov_b32 s9, s10
	s_and_b32 s0, exec_lo, s0
	s_delay_alu instid0(SALU_CYCLE_1)
	s_or_b32 s8, s0, s8
	s_waitcnt vmcnt(0)
	v_fmac_f16_e32 v6, v7, v8
	s_and_not1_b32 exec_lo, exec_lo, s8
	s_cbranch_execnz .LBB292_2
; %bb.3:
	s_or_b32 exec_lo, exec_lo, s8
.LBB292_4:
	s_delay_alu instid0(SALU_CYCLE_1) | instskip(SKIP_2) | instid1(VALU_DEP_2)
	s_or_b32 exec_lo, exec_lo, s19
	v_and_b32_e32 v5, 31, v0
	v_cmp_gt_u32_e32 vcc_lo, 32, v0
	v_lshlrev_b32_e32 v1, 1, v5
	s_and_saveexec_b32 s0, vcc_lo
	s_cbranch_execz .LBB292_6
; %bb.5:
	v_mov_b32_e32 v2, 0
	ds_store_b16 v1, v2
.LBB292_6:
	s_or_b32 exec_lo, exec_lo, s0
	v_mbcnt_lo_u32_b32 v7, -1, 0
	v_and_b32_e32 v3, 0xffff, v6
	s_mov_b32 s1, exec_lo
	s_waitcnt lgkmcnt(0)
	s_barrier
	v_cmp_gt_u32_e64 s0, 16, v7
	buffer_gl0_inv
	v_cndmask_b32_e64 v2, 0, 1, s0
	v_cmp_gt_u32_e64 s0, 24, v7
	s_delay_alu instid0(VALU_DEP_2) | instskip(NEXT) | instid1(VALU_DEP_1)
	v_lshlrev_b32_e32 v2, 4, v2
	v_add_lshl_u32 v2, v2, v7, 2
	ds_bpermute_b32 v4, v2, v3
	v_cndmask_b32_e64 v3, 0, 1, s0
	v_cmp_gt_u32_e64 s0, 28, v7
	s_delay_alu instid0(VALU_DEP_2) | instskip(NEXT) | instid1(VALU_DEP_1)
	v_lshlrev_b32_e32 v3, 3, v3
	v_add_lshl_u32 v3, v3, v7, 2
	s_waitcnt lgkmcnt(0)
	v_add_f16_e32 v6, v6, v4
	s_delay_alu instid0(VALU_DEP_1) | instskip(NEXT) | instid1(VALU_DEP_1)
	v_and_b32_e32 v8, 0xffff, v6
	v_and_or_b32 v4, 0xffff0000, v4, v8
	ds_bpermute_b32 v8, v3, v4
	v_cndmask_b32_e64 v4, 0, 1, s0
	v_cmp_gt_u32_e64 s0, 30, v7
	s_delay_alu instid0(VALU_DEP_2) | instskip(NEXT) | instid1(VALU_DEP_1)
	v_lshlrev_b32_e32 v4, 2, v4
	v_add_lshl_u32 v4, v4, v7, 2
	s_waitcnt lgkmcnt(0)
	v_add_f16_e32 v6, v6, v8
	s_delay_alu instid0(VALU_DEP_1) | instskip(NEXT) | instid1(VALU_DEP_1)
	v_and_b32_e32 v9, 0xffff, v6
	v_and_or_b32 v8, 0xffff0000, v8, v9
	v_cndmask_b32_e64 v9, 0, 1, s0
	v_cmp_ne_u32_e64 s0, 31, v7
	ds_bpermute_b32 v8, v4, v8
	s_waitcnt lgkmcnt(0)
	v_add_f16_e32 v10, v6, v8
	v_lshlrev_b32_e32 v6, 1, v9
	s_delay_alu instid0(VALU_DEP_2) | instskip(NEXT) | instid1(VALU_DEP_2)
	v_and_b32_e32 v9, 0xffff, v10
	v_add_lshl_u32 v6, v6, v7, 2
	v_add_co_ci_u32_e64 v7, s0, 0, v7, s0
	s_delay_alu instid0(VALU_DEP_3) | instskip(NEXT) | instid1(VALU_DEP_2)
	v_and_or_b32 v8, 0xffff0000, v8, v9
	v_lshlrev_b32_e32 v7, 2, v7
	ds_bpermute_b32 v9, v6, v8
	s_waitcnt lgkmcnt(0)
	v_add_f16_e32 v8, v10, v9
	s_delay_alu instid0(VALU_DEP_1) | instskip(NEXT) | instid1(VALU_DEP_1)
	v_and_b32_e32 v10, 0xffff, v8
	v_and_or_b32 v9, 0xffff0000, v9, v10
	ds_bpermute_b32 v9, v7, v9
	v_cmpx_eq_u32_e32 0, v5
	s_cbranch_execz .LBB292_8
; %bb.7:
	v_lshrrev_b32_e32 v5, 4, v0
	s_waitcnt lgkmcnt(0)
	v_add_f16_e32 v8, v8, v9
	s_delay_alu instid0(VALU_DEP_2)
	v_and_b32_e32 v5, 62, v5
	ds_store_b16 v5, v8
.LBB292_8:
	s_or_b32 exec_lo, exec_lo, s1
	v_mov_b32_e32 v5, 0
	s_waitcnt lgkmcnt(0)
	s_barrier
	buffer_gl0_inv
	s_and_saveexec_b32 s0, vcc_lo
	s_cbranch_execz .LBB292_10
; %bb.9:
	ds_load_u16 v5, v1
.LBB292_10:
	s_or_b32 exec_lo, exec_lo, s0
	s_and_saveexec_b32 s0, vcc_lo
	s_cbranch_execz .LBB292_12
; %bb.11:
	s_waitcnt lgkmcnt(0)
	v_and_b32_e32 v1, 0xffff, v5
	ds_bpermute_b32 v1, v2, v1
	s_waitcnt lgkmcnt(0)
	v_add_f16_e32 v2, v5, v1
	s_delay_alu instid0(VALU_DEP_1) | instskip(NEXT) | instid1(VALU_DEP_1)
	v_and_b32_e32 v5, 0xffff, v2
	v_and_or_b32 v1, 0xffff0000, v1, v5
	ds_bpermute_b32 v1, v3, v1
	s_waitcnt lgkmcnt(0)
	v_add_f16_e32 v2, v2, v1
	s_delay_alu instid0(VALU_DEP_1) | instskip(NEXT) | instid1(VALU_DEP_1)
	v_and_b32_e32 v3, 0xffff, v2
	v_and_or_b32 v1, 0xffff0000, v1, v3
	;; [unrolled: 6-line block ×4, first 2 shown]
	ds_bpermute_b32 v1, v7, v1
	s_waitcnt lgkmcnt(0)
	v_add_f16_e32 v5, v2, v1
.LBB292_12:
	s_or_b32 exec_lo, exec_lo, s0
	s_delay_alu instid0(SALU_CYCLE_1)
	s_mov_b32 s0, exec_lo
	v_cmpx_eq_u32_e32 0, v0
	s_cbranch_execz .LBB292_14
; %bb.13:
	s_waitcnt lgkmcnt(0)
	v_cvt_f32_f16_e32 v0, v5
	s_lshl_b64 s[0:1], s[16:17], 2
	v_mov_b32_e32 v1, 0
	s_add_u32 s0, s2, s0
	s_addc_u32 s1, s3, s1
	global_store_b32 v1, v0, s[0:1]
.LBB292_14:
	s_nop 0
	s_sendmsg sendmsg(MSG_DEALLOC_VGPRS)
	s_endpgm
	.section	.rodata,"a",@progbits
	.p2align	6, 0x0
	.amdhsa_kernel _ZL18rocblas_dot_kernelIlLb1ELi1024ELi32ELb1EfPKDF16_DF16_EviT5_lT_lS2_lS3_liPT6_PT4_
		.amdhsa_group_segment_fixed_size 64
		.amdhsa_private_segment_fixed_size 0
		.amdhsa_kernarg_size 352
		.amdhsa_user_sgpr_count 14
		.amdhsa_user_sgpr_dispatch_ptr 0
		.amdhsa_user_sgpr_queue_ptr 0
		.amdhsa_user_sgpr_kernarg_segment_ptr 1
		.amdhsa_user_sgpr_dispatch_id 0
		.amdhsa_user_sgpr_private_segment_size 0
		.amdhsa_wavefront_size32 1
		.amdhsa_uses_dynamic_stack 0
		.amdhsa_enable_private_segment 0
		.amdhsa_system_sgpr_workgroup_id_x 1
		.amdhsa_system_sgpr_workgroup_id_y 0
		.amdhsa_system_sgpr_workgroup_id_z 1
		.amdhsa_system_sgpr_workgroup_info 0
		.amdhsa_system_vgpr_workitem_id 0
		.amdhsa_next_free_vgpr 11
		.amdhsa_next_free_sgpr 27
		.amdhsa_reserve_vcc 1
		.amdhsa_float_round_mode_32 0
		.amdhsa_float_round_mode_16_64 0
		.amdhsa_float_denorm_mode_32 3
		.amdhsa_float_denorm_mode_16_64 3
		.amdhsa_dx10_clamp 1
		.amdhsa_ieee_mode 1
		.amdhsa_fp16_overflow 0
		.amdhsa_workgroup_processor_mode 1
		.amdhsa_memory_ordered 1
		.amdhsa_forward_progress 0
		.amdhsa_shared_vgpr_count 0
		.amdhsa_exception_fp_ieee_invalid_op 0
		.amdhsa_exception_fp_denorm_src 0
		.amdhsa_exception_fp_ieee_div_zero 0
		.amdhsa_exception_fp_ieee_overflow 0
		.amdhsa_exception_fp_ieee_underflow 0
		.amdhsa_exception_fp_ieee_inexact 0
		.amdhsa_exception_int_div_zero 0
	.end_amdhsa_kernel
	.section	.text._ZL18rocblas_dot_kernelIlLb1ELi1024ELi32ELb1EfPKDF16_DF16_EviT5_lT_lS2_lS3_liPT6_PT4_,"axG",@progbits,_ZL18rocblas_dot_kernelIlLb1ELi1024ELi32ELb1EfPKDF16_DF16_EviT5_lT_lS2_lS3_liPT6_PT4_,comdat
.Lfunc_end292:
	.size	_ZL18rocblas_dot_kernelIlLb1ELi1024ELi32ELb1EfPKDF16_DF16_EviT5_lT_lS2_lS3_liPT6_PT4_, .Lfunc_end292-_ZL18rocblas_dot_kernelIlLb1ELi1024ELi32ELb1EfPKDF16_DF16_EviT5_lT_lS2_lS3_liPT6_PT4_
                                        ; -- End function
	.section	.AMDGPU.csdata,"",@progbits
; Kernel info:
; codeLenInByte = 1196
; NumSgprs: 29
; NumVgprs: 11
; ScratchSize: 0
; MemoryBound: 0
; FloatMode: 240
; IeeeMode: 1
; LDSByteSize: 64 bytes/workgroup (compile time only)
; SGPRBlocks: 3
; VGPRBlocks: 1
; NumSGPRsForWavesPerEU: 29
; NumVGPRsForWavesPerEU: 11
; Occupancy: 16
; WaveLimiterHint : 0
; COMPUTE_PGM_RSRC2:SCRATCH_EN: 0
; COMPUTE_PGM_RSRC2:USER_SGPR: 14
; COMPUTE_PGM_RSRC2:TRAP_HANDLER: 0
; COMPUTE_PGM_RSRC2:TGID_X_EN: 1
; COMPUTE_PGM_RSRC2:TGID_Y_EN: 0
; COMPUTE_PGM_RSRC2:TGID_Z_EN: 1
; COMPUTE_PGM_RSRC2:TIDIG_COMP_CNT: 0
	.section	.text._ZL24rocblas_dot_kernel_magsqIlLb1ELi1024ELi32ELb1EfPKDF16_DF16_EviT5_lT_liPT6_PT4_,"axG",@progbits,_ZL24rocblas_dot_kernel_magsqIlLb1ELi1024ELi32ELb1EfPKDF16_DF16_EviT5_lT_liPT6_PT4_,comdat
	.globl	_ZL24rocblas_dot_kernel_magsqIlLb1ELi1024ELi32ELb1EfPKDF16_DF16_EviT5_lT_liPT6_PT4_ ; -- Begin function _ZL24rocblas_dot_kernel_magsqIlLb1ELi1024ELi32ELb1EfPKDF16_DF16_EviT5_lT_liPT6_PT4_
	.p2align	8
	.type	_ZL24rocblas_dot_kernel_magsqIlLb1ELi1024ELi32ELb1EfPKDF16_DF16_EviT5_lT_liPT6_PT4_,@function
_ZL24rocblas_dot_kernel_magsqIlLb1ELi1024ELi32ELb1EfPKDF16_DF16_EviT5_lT_liPT6_PT4_: ; @_ZL24rocblas_dot_kernel_magsqIlLb1ELi1024ELi32ELb1EfPKDF16_DF16_EviT5_lT_liPT6_PT4_
; %bb.0:
	s_clause 0x1
	s_load_b32 s8, s[0:1], 0x0
	s_load_b64 s[2:3], s[0:1], 0x38
	v_mov_b32_e32 v3, 0
	s_mov_b32 s4, s15
	s_mov_b32 s5, 0
	s_mov_b32 s9, exec_lo
	s_waitcnt lgkmcnt(0)
	v_cmpx_gt_i32_e64 s8, v0
	s_cbranch_execz .LBB293_4
; %bb.1:
	s_clause 0x3
	s_load_b128 s[12:15], s[0:1], 0x10
	s_load_b32 s16, s[0:1], 0x40
	s_load_b64 s[6:7], s[0:1], 0x20
	s_load_b64 s[10:11], s[0:1], 0x8
	s_waitcnt lgkmcnt(0)
	v_mad_u64_u32 v[1:2], null, s14, v0, 0
	s_mul_i32 s0, s7, s4
	s_mul_hi_u32 s7, s6, s4
	s_mul_i32 s6, s6, s4
	s_add_i32 s7, s7, s0
	s_lshl_b64 s[12:13], s[12:13], 1
	s_lshl_b32 s1, s16, 10
	s_delay_alu instid0(VALU_DEP_1)
	v_mad_u64_u32 v[3:4], null, s15, v0, v[2:3]
	s_lshl_b64 s[6:7], s[6:7], 1
	s_add_u32 s0, s10, s12
	s_addc_u32 s10, s11, s13
	s_add_u32 s0, s0, s6
	s_addc_u32 s10, s10, s7
	s_ashr_i32 s6, s1, 31
	s_delay_alu instid0(VALU_DEP_1) | instskip(SKIP_3) | instid1(VALU_DEP_1)
	v_dual_mov_b32 v2, v3 :: v_dual_mov_b32 v3, 0
	s_mul_hi_u32 s7, s14, s1
	s_mul_i32 s6, s14, s6
	s_mul_i32 s11, s15, s1
	v_lshlrev_b64 v[1:2], 1, v[1:2]
	s_add_i32 s7, s7, s6
	v_or_b32_e32 v4, s1, v0
	s_mul_i32 s6, s14, s1
	s_add_i32 s7, s7, s11
	s_mov_b32 s11, s5
	v_add_co_u32 v1, vcc_lo, s0, v1
	v_add_co_ci_u32_e32 v2, vcc_lo, s10, v2, vcc_lo
	s_lshl_b64 s[6:7], s[6:7], 1
	s_mov_b32 s10, s5
	.p2align	6
.LBB293_2:                              ; =>This Inner Loop Header: Depth=1
	global_load_u16 v5, v[1:2], off
	s_add_i32 s12, s11, 1
	v_cmp_le_i32_e32 vcc_lo, s8, v4
	v_add_co_u32 v1, s0, v1, s6
	s_cmp_gt_u32 s11, 30
	v_add_co_ci_u32_e64 v2, s0, s7, v2, s0
	s_cselect_b32 s0, -1, 0
	v_add_nc_u32_e32 v4, s1, v4
	s_or_b32 s0, s0, vcc_lo
	s_mov_b32 s11, s12
	s_and_b32 s0, exec_lo, s0
	s_delay_alu instid0(SALU_CYCLE_1)
	s_or_b32 s10, s0, s10
	s_waitcnt vmcnt(0)
	v_fmac_f16_e32 v3, v5, v5
	s_and_not1_b32 exec_lo, exec_lo, s10
	s_cbranch_execnz .LBB293_2
; %bb.3:
	s_or_b32 exec_lo, exec_lo, s10
.LBB293_4:
	s_delay_alu instid0(SALU_CYCLE_1) | instskip(SKIP_2) | instid1(VALU_DEP_2)
	s_or_b32 exec_lo, exec_lo, s9
	v_and_b32_e32 v5, 31, v0
	v_cmp_gt_u32_e32 vcc_lo, 32, v0
	v_lshlrev_b32_e32 v1, 1, v5
	s_and_saveexec_b32 s0, vcc_lo
	s_cbranch_execz .LBB293_6
; %bb.5:
	v_mov_b32_e32 v2, 0
	ds_store_b16 v1, v2
.LBB293_6:
	s_or_b32 exec_lo, exec_lo, s0
	v_mbcnt_lo_u32_b32 v7, -1, 0
	v_and_b32_e32 v4, 0xffff, v3
	s_mov_b32 s1, exec_lo
	s_waitcnt lgkmcnt(0)
	s_barrier
	v_cmp_gt_u32_e64 s0, 16, v7
	buffer_gl0_inv
	v_cndmask_b32_e64 v2, 0, 1, s0
	v_cmp_gt_u32_e64 s0, 24, v7
	s_delay_alu instid0(VALU_DEP_2) | instskip(NEXT) | instid1(VALU_DEP_2)
	v_lshlrev_b32_e32 v2, 4, v2
	v_cndmask_b32_e64 v6, 0, 1, s0
	v_cmp_gt_u32_e64 s0, 28, v7
	s_delay_alu instid0(VALU_DEP_3) | instskip(SKIP_4) | instid1(VALU_DEP_2)
	v_add_lshl_u32 v2, v2, v7, 2
	ds_bpermute_b32 v4, v2, v4
	s_waitcnt lgkmcnt(0)
	v_add_f16_e32 v8, v3, v4
	v_lshlrev_b32_e32 v3, 3, v6
	v_and_b32_e32 v6, 0xffff, v8
	s_delay_alu instid0(VALU_DEP_2) | instskip(NEXT) | instid1(VALU_DEP_2)
	v_add_lshl_u32 v3, v3, v7, 2
	v_and_or_b32 v4, 0xffff0000, v4, v6
	ds_bpermute_b32 v6, v3, v4
	v_cndmask_b32_e64 v4, 0, 1, s0
	v_cmp_gt_u32_e64 s0, 30, v7
	s_delay_alu instid0(VALU_DEP_2) | instskip(NEXT) | instid1(VALU_DEP_1)
	v_lshlrev_b32_e32 v4, 2, v4
	v_add_lshl_u32 v4, v4, v7, 2
	s_waitcnt lgkmcnt(0)
	v_add_f16_e32 v8, v8, v6
	s_delay_alu instid0(VALU_DEP_1) | instskip(NEXT) | instid1(VALU_DEP_1)
	v_and_b32_e32 v9, 0xffff, v8
	v_and_or_b32 v6, 0xffff0000, v6, v9
	ds_bpermute_b32 v9, v4, v6
	v_cndmask_b32_e64 v6, 0, 1, s0
	v_cmp_ne_u32_e64 s0, 31, v7
	s_delay_alu instid0(VALU_DEP_2) | instskip(NEXT) | instid1(VALU_DEP_1)
	v_lshlrev_b32_e32 v6, 1, v6
	v_add_lshl_u32 v6, v6, v7, 2
	s_delay_alu instid0(VALU_DEP_3) | instskip(NEXT) | instid1(VALU_DEP_1)
	v_add_co_ci_u32_e64 v7, s0, 0, v7, s0
	v_lshlrev_b32_e32 v7, 2, v7
	s_waitcnt lgkmcnt(0)
	v_add_f16_e32 v8, v8, v9
	s_delay_alu instid0(VALU_DEP_1) | instskip(NEXT) | instid1(VALU_DEP_1)
	v_and_b32_e32 v10, 0xffff, v8
	v_and_or_b32 v9, 0xffff0000, v9, v10
	ds_bpermute_b32 v9, v6, v9
	s_waitcnt lgkmcnt(0)
	v_add_f16_e32 v8, v8, v9
	s_delay_alu instid0(VALU_DEP_1) | instskip(NEXT) | instid1(VALU_DEP_1)
	v_and_b32_e32 v10, 0xffff, v8
	v_and_or_b32 v9, 0xffff0000, v9, v10
	ds_bpermute_b32 v9, v7, v9
	v_cmpx_eq_u32_e32 0, v5
	s_cbranch_execz .LBB293_8
; %bb.7:
	v_lshrrev_b32_e32 v5, 4, v0
	s_waitcnt lgkmcnt(0)
	v_add_f16_e32 v8, v8, v9
	s_delay_alu instid0(VALU_DEP_2)
	v_and_b32_e32 v5, 62, v5
	ds_store_b16 v5, v8
.LBB293_8:
	s_or_b32 exec_lo, exec_lo, s1
	v_mov_b32_e32 v5, 0
	s_waitcnt lgkmcnt(0)
	s_barrier
	buffer_gl0_inv
	s_and_saveexec_b32 s0, vcc_lo
	s_cbranch_execz .LBB293_10
; %bb.9:
	ds_load_u16 v5, v1
.LBB293_10:
	s_or_b32 exec_lo, exec_lo, s0
	s_and_saveexec_b32 s0, vcc_lo
	s_cbranch_execz .LBB293_12
; %bb.11:
	s_waitcnt lgkmcnt(0)
	v_and_b32_e32 v1, 0xffff, v5
	ds_bpermute_b32 v1, v2, v1
	s_waitcnt lgkmcnt(0)
	v_add_f16_e32 v2, v5, v1
	s_delay_alu instid0(VALU_DEP_1) | instskip(NEXT) | instid1(VALU_DEP_1)
	v_and_b32_e32 v5, 0xffff, v2
	v_and_or_b32 v1, 0xffff0000, v1, v5
	ds_bpermute_b32 v1, v3, v1
	s_waitcnt lgkmcnt(0)
	v_add_f16_e32 v2, v2, v1
	s_delay_alu instid0(VALU_DEP_1) | instskip(NEXT) | instid1(VALU_DEP_1)
	v_and_b32_e32 v3, 0xffff, v2
	v_and_or_b32 v1, 0xffff0000, v1, v3
	;; [unrolled: 6-line block ×4, first 2 shown]
	ds_bpermute_b32 v1, v7, v1
	s_waitcnt lgkmcnt(0)
	v_add_f16_e32 v5, v2, v1
.LBB293_12:
	s_or_b32 exec_lo, exec_lo, s0
	s_delay_alu instid0(SALU_CYCLE_1)
	s_mov_b32 s0, exec_lo
	v_cmpx_eq_u32_e32 0, v0
	s_cbranch_execz .LBB293_14
; %bb.13:
	s_waitcnt lgkmcnt(0)
	v_cvt_f32_f16_e32 v0, v5
	s_lshl_b64 s[0:1], s[4:5], 2
	v_mov_b32_e32 v1, 0
	s_add_u32 s0, s2, s0
	s_addc_u32 s1, s3, s1
	global_store_b32 v1, v0, s[0:1]
.LBB293_14:
	s_nop 0
	s_sendmsg sendmsg(MSG_DEALLOC_VGPRS)
	s_endpgm
	.section	.rodata,"a",@progbits
	.p2align	6, 0x0
	.amdhsa_kernel _ZL24rocblas_dot_kernel_magsqIlLb1ELi1024ELi32ELb1EfPKDF16_DF16_EviT5_lT_liPT6_PT4_
		.amdhsa_group_segment_fixed_size 64
		.amdhsa_private_segment_fixed_size 0
		.amdhsa_kernarg_size 320
		.amdhsa_user_sgpr_count 14
		.amdhsa_user_sgpr_dispatch_ptr 0
		.amdhsa_user_sgpr_queue_ptr 0
		.amdhsa_user_sgpr_kernarg_segment_ptr 1
		.amdhsa_user_sgpr_dispatch_id 0
		.amdhsa_user_sgpr_private_segment_size 0
		.amdhsa_wavefront_size32 1
		.amdhsa_uses_dynamic_stack 0
		.amdhsa_enable_private_segment 0
		.amdhsa_system_sgpr_workgroup_id_x 1
		.amdhsa_system_sgpr_workgroup_id_y 0
		.amdhsa_system_sgpr_workgroup_id_z 1
		.amdhsa_system_sgpr_workgroup_info 0
		.amdhsa_system_vgpr_workitem_id 0
		.amdhsa_next_free_vgpr 11
		.amdhsa_next_free_sgpr 17
		.amdhsa_reserve_vcc 1
		.amdhsa_float_round_mode_32 0
		.amdhsa_float_round_mode_16_64 0
		.amdhsa_float_denorm_mode_32 3
		.amdhsa_float_denorm_mode_16_64 3
		.amdhsa_dx10_clamp 1
		.amdhsa_ieee_mode 1
		.amdhsa_fp16_overflow 0
		.amdhsa_workgroup_processor_mode 1
		.amdhsa_memory_ordered 1
		.amdhsa_forward_progress 0
		.amdhsa_shared_vgpr_count 0
		.amdhsa_exception_fp_ieee_invalid_op 0
		.amdhsa_exception_fp_denorm_src 0
		.amdhsa_exception_fp_ieee_div_zero 0
		.amdhsa_exception_fp_ieee_overflow 0
		.amdhsa_exception_fp_ieee_underflow 0
		.amdhsa_exception_fp_ieee_inexact 0
		.amdhsa_exception_int_div_zero 0
	.end_amdhsa_kernel
	.section	.text._ZL24rocblas_dot_kernel_magsqIlLb1ELi1024ELi32ELb1EfPKDF16_DF16_EviT5_lT_liPT6_PT4_,"axG",@progbits,_ZL24rocblas_dot_kernel_magsqIlLb1ELi1024ELi32ELb1EfPKDF16_DF16_EviT5_lT_liPT6_PT4_,comdat
.Lfunc_end293:
	.size	_ZL24rocblas_dot_kernel_magsqIlLb1ELi1024ELi32ELb1EfPKDF16_DF16_EviT5_lT_liPT6_PT4_, .Lfunc_end293-_ZL24rocblas_dot_kernel_magsqIlLb1ELi1024ELi32ELb1EfPKDF16_DF16_EviT5_lT_liPT6_PT4_
                                        ; -- End function
	.section	.AMDGPU.csdata,"",@progbits
; Kernel info:
; codeLenInByte = 1056
; NumSgprs: 19
; NumVgprs: 11
; ScratchSize: 0
; MemoryBound: 0
; FloatMode: 240
; IeeeMode: 1
; LDSByteSize: 64 bytes/workgroup (compile time only)
; SGPRBlocks: 2
; VGPRBlocks: 1
; NumSGPRsForWavesPerEU: 19
; NumVGPRsForWavesPerEU: 11
; Occupancy: 16
; WaveLimiterHint : 0
; COMPUTE_PGM_RSRC2:SCRATCH_EN: 0
; COMPUTE_PGM_RSRC2:USER_SGPR: 14
; COMPUTE_PGM_RSRC2:TRAP_HANDLER: 0
; COMPUTE_PGM_RSRC2:TGID_X_EN: 1
; COMPUTE_PGM_RSRC2:TGID_Y_EN: 0
; COMPUTE_PGM_RSRC2:TGID_Z_EN: 1
; COMPUTE_PGM_RSRC2:TIDIG_COMP_CNT: 0
	.section	.text._ZL38rocblas_dot_kernel_gfx942_float_doubleIlLi1024EfPKDF16_DF16_EviT2_lT_lS2_lS3_lPT3_PT1_,"axG",@progbits,_ZL38rocblas_dot_kernel_gfx942_float_doubleIlLi1024EfPKDF16_DF16_EviT2_lT_lS2_lS3_lPT3_PT1_,comdat
	.globl	_ZL38rocblas_dot_kernel_gfx942_float_doubleIlLi1024EfPKDF16_DF16_EviT2_lT_lS2_lS3_lPT3_PT1_ ; -- Begin function _ZL38rocblas_dot_kernel_gfx942_float_doubleIlLi1024EfPKDF16_DF16_EviT2_lT_lS2_lS3_lPT3_PT1_
	.p2align	8
	.type	_ZL38rocblas_dot_kernel_gfx942_float_doubleIlLi1024EfPKDF16_DF16_EviT2_lT_lS2_lS3_lPT3_PT1_,@function
_ZL38rocblas_dot_kernel_gfx942_float_doubleIlLi1024EfPKDF16_DF16_EviT2_lT_lS2_lS3_lPT3_PT1_: ; @_ZL38rocblas_dot_kernel_gfx942_float_doubleIlLi1024EfPKDF16_DF16_EviT2_lT_lS2_lS3_lPT3_PT1_
; %bb.0:
	s_endpgm
	.section	.rodata,"a",@progbits
	.p2align	6, 0x0
	.amdhsa_kernel _ZL38rocblas_dot_kernel_gfx942_float_doubleIlLi1024EfPKDF16_DF16_EviT2_lT_lS2_lS3_lPT3_PT1_
		.amdhsa_group_segment_fixed_size 0
		.amdhsa_private_segment_fixed_size 0
		.amdhsa_kernarg_size 88
		.amdhsa_user_sgpr_count 15
		.amdhsa_user_sgpr_dispatch_ptr 0
		.amdhsa_user_sgpr_queue_ptr 0
		.amdhsa_user_sgpr_kernarg_segment_ptr 1
		.amdhsa_user_sgpr_dispatch_id 0
		.amdhsa_user_sgpr_private_segment_size 0
		.amdhsa_wavefront_size32 1
		.amdhsa_uses_dynamic_stack 0
		.amdhsa_enable_private_segment 0
		.amdhsa_system_sgpr_workgroup_id_x 1
		.amdhsa_system_sgpr_workgroup_id_y 0
		.amdhsa_system_sgpr_workgroup_id_z 0
		.amdhsa_system_sgpr_workgroup_info 0
		.amdhsa_system_vgpr_workitem_id 0
		.amdhsa_next_free_vgpr 1
		.amdhsa_next_free_sgpr 1
		.amdhsa_reserve_vcc 0
		.amdhsa_float_round_mode_32 0
		.amdhsa_float_round_mode_16_64 0
		.amdhsa_float_denorm_mode_32 3
		.amdhsa_float_denorm_mode_16_64 3
		.amdhsa_dx10_clamp 1
		.amdhsa_ieee_mode 1
		.amdhsa_fp16_overflow 0
		.amdhsa_workgroup_processor_mode 1
		.amdhsa_memory_ordered 1
		.amdhsa_forward_progress 0
		.amdhsa_shared_vgpr_count 0
		.amdhsa_exception_fp_ieee_invalid_op 0
		.amdhsa_exception_fp_denorm_src 0
		.amdhsa_exception_fp_ieee_div_zero 0
		.amdhsa_exception_fp_ieee_overflow 0
		.amdhsa_exception_fp_ieee_underflow 0
		.amdhsa_exception_fp_ieee_inexact 0
		.amdhsa_exception_int_div_zero 0
	.end_amdhsa_kernel
	.section	.text._ZL38rocblas_dot_kernel_gfx942_float_doubleIlLi1024EfPKDF16_DF16_EviT2_lT_lS2_lS3_lPT3_PT1_,"axG",@progbits,_ZL38rocblas_dot_kernel_gfx942_float_doubleIlLi1024EfPKDF16_DF16_EviT2_lT_lS2_lS3_lPT3_PT1_,comdat
.Lfunc_end294:
	.size	_ZL38rocblas_dot_kernel_gfx942_float_doubleIlLi1024EfPKDF16_DF16_EviT2_lT_lS2_lS3_lPT3_PT1_, .Lfunc_end294-_ZL38rocblas_dot_kernel_gfx942_float_doubleIlLi1024EfPKDF16_DF16_EviT2_lT_lS2_lS3_lPT3_PT1_
                                        ; -- End function
	.section	.AMDGPU.csdata,"",@progbits
; Kernel info:
; codeLenInByte = 4
; NumSgprs: 0
; NumVgprs: 0
; ScratchSize: 0
; MemoryBound: 0
; FloatMode: 240
; IeeeMode: 1
; LDSByteSize: 0 bytes/workgroup (compile time only)
; SGPRBlocks: 0
; VGPRBlocks: 0
; NumSGPRsForWavesPerEU: 1
; NumVGPRsForWavesPerEU: 1
; Occupancy: 16
; WaveLimiterHint : 0
; COMPUTE_PGM_RSRC2:SCRATCH_EN: 0
; COMPUTE_PGM_RSRC2:USER_SGPR: 15
; COMPUTE_PGM_RSRC2:TRAP_HANDLER: 0
; COMPUTE_PGM_RSRC2:TGID_X_EN: 1
; COMPUTE_PGM_RSRC2:TGID_Y_EN: 0
; COMPUTE_PGM_RSRC2:TGID_Z_EN: 0
; COMPUTE_PGM_RSRC2:TIDIG_COMP_CNT: 0
	.section	.text._ZL30rocblas_reduction_kernel_part2ILi1024ELi4E25rocblas_finalize_identityDF16_fEviPT2_PT3_,"axG",@progbits,_ZL30rocblas_reduction_kernel_part2ILi1024ELi4E25rocblas_finalize_identityDF16_fEviPT2_PT3_,comdat
	.globl	_ZL30rocblas_reduction_kernel_part2ILi1024ELi4E25rocblas_finalize_identityDF16_fEviPT2_PT3_ ; -- Begin function _ZL30rocblas_reduction_kernel_part2ILi1024ELi4E25rocblas_finalize_identityDF16_fEviPT2_PT3_
	.p2align	8
	.type	_ZL30rocblas_reduction_kernel_part2ILi1024ELi4E25rocblas_finalize_identityDF16_fEviPT2_PT3_,@function
_ZL30rocblas_reduction_kernel_part2ILi1024ELi4E25rocblas_finalize_identityDF16_fEviPT2_PT3_: ; @_ZL30rocblas_reduction_kernel_part2ILi1024ELi4E25rocblas_finalize_identityDF16_fEviPT2_PT3_
; %bb.0:
	s_clause 0x1
	s_load_b32 s10, s[0:1], 0x0
	s_load_b128 s[4:7], s[0:1], 0x8
	v_dual_mov_b32 v3, 0 :: v_dual_lshlrev_b32 v4, 2, v0
	s_mov_b32 s2, s15
	s_mov_b32 s3, 0
	s_mov_b32 s11, exec_lo
	s_waitcnt lgkmcnt(0)
	s_ashr_i32 s0, s10, 31
	s_mul_hi_u32 s8, s10, s15
	s_lshr_b32 s1, s0, 30
	s_mul_i32 s0, s0, s15
	s_add_i32 s1, s10, s1
	s_add_i32 s9, s8, s0
	s_and_b32 s1, s1, -4
	s_mul_i32 s8, s10, s15
	v_cmpx_gt_i32_e64 s1, v4
	s_cbranch_execz .LBB295_4
; %bb.1:
	v_lshlrev_b32_e32 v1, 3, v0
	s_lshl_b64 s[12:13], s[8:9], 1
	v_mov_b32_e32 v3, 0
	s_add_u32 s0, s4, s12
	s_addc_u32 s12, s5, s13
	v_add_co_u32 v1, s0, s0, v1
	s_delay_alu instid0(VALU_DEP_1) | instskip(SKIP_1) | instid1(VALU_DEP_2)
	v_add_co_ci_u32_e64 v2, null, s12, 0, s0
	s_mov_b32 s12, s3
	v_add_co_u32 v1, vcc_lo, v1, 4
	s_delay_alu instid0(VALU_DEP_2)
	v_add_co_ci_u32_e32 v2, vcc_lo, 0, v2, vcc_lo
	.p2align	6
.LBB295_2:                              ; =>This Inner Loop Header: Depth=1
	global_load_b64 v[5:6], v[1:2], off offset:-4
	v_add_nc_u32_e32 v4, 0x1000, v4
	v_add_co_u32 v1, vcc_lo, 0x2000, v1
	v_add_co_ci_u32_e32 v2, vcc_lo, 0, v2, vcc_lo
	s_delay_alu instid0(VALU_DEP_3) | instskip(NEXT) | instid1(VALU_DEP_1)
	v_cmp_le_i32_e64 s0, s1, v4
	s_or_b32 s12, s0, s12
	s_waitcnt vmcnt(0)
	v_lshrrev_b32_e32 v7, 16, v5
	v_add_f16_e32 v3, v3, v5
	v_lshrrev_b32_e32 v5, 16, v6
	s_delay_alu instid0(VALU_DEP_2) | instskip(NEXT) | instid1(VALU_DEP_1)
	v_add_f16_e32 v3, v3, v7
	v_add_f16_e32 v3, v3, v6
	s_delay_alu instid0(VALU_DEP_1)
	v_add_f16_e32 v3, v3, v5
	s_and_not1_b32 exec_lo, exec_lo, s12
	s_cbranch_execnz .LBB295_2
; %bb.3:
	s_or_b32 exec_lo, exec_lo, s12
.LBB295_4:
	s_delay_alu instid0(SALU_CYCLE_1) | instskip(SKIP_1) | instid1(SALU_CYCLE_1)
	s_or_b32 exec_lo, exec_lo, s11
	s_sub_i32 s0, s10, s1
	v_cmp_gt_u32_e32 vcc_lo, s0, v0
	s_and_saveexec_b32 s0, vcc_lo
	s_cbranch_execz .LBB295_6
; %bb.5:
	v_xad_u32 v1, v0, -1, s10
	v_mov_b32_e32 v2, 0
	s_lshl_b64 s[8:9], s[8:9], 1
	s_delay_alu instid0(SALU_CYCLE_1) | instskip(SKIP_1) | instid1(VALU_DEP_1)
	s_add_u32 s1, s4, s8
	s_addc_u32 s4, s5, s9
	v_lshlrev_b64 v[1:2], 1, v[1:2]
	s_delay_alu instid0(VALU_DEP_1) | instskip(NEXT) | instid1(VALU_DEP_2)
	v_add_co_u32 v1, vcc_lo, s1, v1
	v_add_co_ci_u32_e32 v2, vcc_lo, s4, v2, vcc_lo
	global_load_u16 v1, v[1:2], off
	s_waitcnt vmcnt(0)
	v_add_f16_e32 v3, v3, v1
.LBB295_6:
	s_or_b32 exec_lo, exec_lo, s0
	v_and_b32_e32 v5, 31, v0
	v_cmp_gt_u32_e32 vcc_lo, 32, v0
	s_delay_alu instid0(VALU_DEP_2)
	v_lshlrev_b32_e32 v1, 1, v5
	s_and_saveexec_b32 s0, vcc_lo
	s_cbranch_execz .LBB295_8
; %bb.7:
	v_mov_b32_e32 v2, 0
	ds_store_b16 v1, v2
.LBB295_8:
	s_or_b32 exec_lo, exec_lo, s0
	v_mbcnt_lo_u32_b32 v7, -1, 0
	v_and_b32_e32 v4, 0xffff, v3
	s_mov_b32 s1, exec_lo
	s_waitcnt lgkmcnt(0)
	s_barrier
	v_cmp_gt_u32_e64 s0, 16, v7
	buffer_gl0_inv
	v_cndmask_b32_e64 v2, 0, 1, s0
	v_cmp_gt_u32_e64 s0, 24, v7
	s_delay_alu instid0(VALU_DEP_2) | instskip(NEXT) | instid1(VALU_DEP_2)
	v_lshlrev_b32_e32 v2, 4, v2
	v_cndmask_b32_e64 v6, 0, 1, s0
	v_cmp_gt_u32_e64 s0, 28, v7
	s_delay_alu instid0(VALU_DEP_3) | instskip(SKIP_4) | instid1(VALU_DEP_2)
	v_add_lshl_u32 v2, v2, v7, 2
	ds_bpermute_b32 v4, v2, v4
	s_waitcnt lgkmcnt(0)
	v_add_f16_e32 v8, v3, v4
	v_lshlrev_b32_e32 v3, 3, v6
	v_and_b32_e32 v6, 0xffff, v8
	s_delay_alu instid0(VALU_DEP_2) | instskip(NEXT) | instid1(VALU_DEP_2)
	v_add_lshl_u32 v3, v3, v7, 2
	v_and_or_b32 v4, 0xffff0000, v4, v6
	ds_bpermute_b32 v6, v3, v4
	v_cndmask_b32_e64 v4, 0, 1, s0
	v_cmp_gt_u32_e64 s0, 30, v7
	s_delay_alu instid0(VALU_DEP_2) | instskip(NEXT) | instid1(VALU_DEP_1)
	v_lshlrev_b32_e32 v4, 2, v4
	v_add_lshl_u32 v4, v4, v7, 2
	s_waitcnt lgkmcnt(0)
	v_add_f16_e32 v8, v8, v6
	s_delay_alu instid0(VALU_DEP_1) | instskip(NEXT) | instid1(VALU_DEP_1)
	v_and_b32_e32 v9, 0xffff, v8
	v_and_or_b32 v6, 0xffff0000, v6, v9
	ds_bpermute_b32 v9, v4, v6
	v_cndmask_b32_e64 v6, 0, 1, s0
	v_cmp_ne_u32_e64 s0, 31, v7
	s_delay_alu instid0(VALU_DEP_2) | instskip(NEXT) | instid1(VALU_DEP_1)
	v_lshlrev_b32_e32 v6, 1, v6
	v_add_lshl_u32 v6, v6, v7, 2
	s_delay_alu instid0(VALU_DEP_3) | instskip(NEXT) | instid1(VALU_DEP_1)
	v_add_co_ci_u32_e64 v7, s0, 0, v7, s0
	v_lshlrev_b32_e32 v7, 2, v7
	s_waitcnt lgkmcnt(0)
	v_add_f16_e32 v8, v8, v9
	s_delay_alu instid0(VALU_DEP_1) | instskip(NEXT) | instid1(VALU_DEP_1)
	v_and_b32_e32 v10, 0xffff, v8
	v_and_or_b32 v9, 0xffff0000, v9, v10
	ds_bpermute_b32 v9, v6, v9
	s_waitcnt lgkmcnt(0)
	v_add_f16_e32 v8, v8, v9
	s_delay_alu instid0(VALU_DEP_1) | instskip(NEXT) | instid1(VALU_DEP_1)
	v_and_b32_e32 v10, 0xffff, v8
	v_and_or_b32 v9, 0xffff0000, v9, v10
	ds_bpermute_b32 v9, v7, v9
	v_cmpx_eq_u32_e32 0, v5
	s_cbranch_execz .LBB295_10
; %bb.9:
	v_lshrrev_b32_e32 v5, 4, v0
	s_waitcnt lgkmcnt(0)
	v_add_f16_e32 v8, v8, v9
	s_delay_alu instid0(VALU_DEP_2)
	v_and_b32_e32 v5, 62, v5
	ds_store_b16 v5, v8
.LBB295_10:
	s_or_b32 exec_lo, exec_lo, s1
	v_mov_b32_e32 v5, 0
	s_waitcnt lgkmcnt(0)
	s_barrier
	buffer_gl0_inv
	s_and_saveexec_b32 s0, vcc_lo
	s_cbranch_execz .LBB295_12
; %bb.11:
	ds_load_u16 v5, v1
.LBB295_12:
	s_or_b32 exec_lo, exec_lo, s0
	s_and_saveexec_b32 s0, vcc_lo
	s_cbranch_execz .LBB295_14
; %bb.13:
	s_waitcnt lgkmcnt(0)
	v_and_b32_e32 v1, 0xffff, v5
	ds_bpermute_b32 v1, v2, v1
	s_waitcnt lgkmcnt(0)
	v_add_f16_e32 v2, v5, v1
	s_delay_alu instid0(VALU_DEP_1) | instskip(NEXT) | instid1(VALU_DEP_1)
	v_and_b32_e32 v5, 0xffff, v2
	v_and_or_b32 v1, 0xffff0000, v1, v5
	ds_bpermute_b32 v1, v3, v1
	s_waitcnt lgkmcnt(0)
	v_add_f16_e32 v2, v2, v1
	s_delay_alu instid0(VALU_DEP_1) | instskip(NEXT) | instid1(VALU_DEP_1)
	v_and_b32_e32 v3, 0xffff, v2
	v_and_or_b32 v1, 0xffff0000, v1, v3
	;; [unrolled: 6-line block ×4, first 2 shown]
	ds_bpermute_b32 v1, v7, v1
	s_waitcnt lgkmcnt(0)
	v_add_f16_e32 v5, v2, v1
.LBB295_14:
	s_or_b32 exec_lo, exec_lo, s0
	s_delay_alu instid0(SALU_CYCLE_1)
	s_mov_b32 s0, exec_lo
	v_cmpx_eq_u32_e32 0, v0
	s_cbranch_execz .LBB295_16
; %bb.15:
	s_lshl_b64 s[0:1], s[2:3], 2
	v_mov_b32_e32 v0, 0
	s_waitcnt lgkmcnt(0)
	v_cvt_f32_f16_e32 v1, v5
	s_add_u32 s0, s6, s0
	s_addc_u32 s1, s7, s1
	global_store_b32 v0, v1, s[0:1]
.LBB295_16:
	s_nop 0
	s_sendmsg sendmsg(MSG_DEALLOC_VGPRS)
	s_endpgm
	.section	.rodata,"a",@progbits
	.p2align	6, 0x0
	.amdhsa_kernel _ZL30rocblas_reduction_kernel_part2ILi1024ELi4E25rocblas_finalize_identityDF16_fEviPT2_PT3_
		.amdhsa_group_segment_fixed_size 64
		.amdhsa_private_segment_fixed_size 0
		.amdhsa_kernarg_size 24
		.amdhsa_user_sgpr_count 15
		.amdhsa_user_sgpr_dispatch_ptr 0
		.amdhsa_user_sgpr_queue_ptr 0
		.amdhsa_user_sgpr_kernarg_segment_ptr 1
		.amdhsa_user_sgpr_dispatch_id 0
		.amdhsa_user_sgpr_private_segment_size 0
		.amdhsa_wavefront_size32 1
		.amdhsa_uses_dynamic_stack 0
		.amdhsa_enable_private_segment 0
		.amdhsa_system_sgpr_workgroup_id_x 1
		.amdhsa_system_sgpr_workgroup_id_y 0
		.amdhsa_system_sgpr_workgroup_id_z 0
		.amdhsa_system_sgpr_workgroup_info 0
		.amdhsa_system_vgpr_workitem_id 0
		.amdhsa_next_free_vgpr 11
		.amdhsa_next_free_sgpr 16
		.amdhsa_reserve_vcc 1
		.amdhsa_float_round_mode_32 0
		.amdhsa_float_round_mode_16_64 0
		.amdhsa_float_denorm_mode_32 3
		.amdhsa_float_denorm_mode_16_64 3
		.amdhsa_dx10_clamp 1
		.amdhsa_ieee_mode 1
		.amdhsa_fp16_overflow 0
		.amdhsa_workgroup_processor_mode 1
		.amdhsa_memory_ordered 1
		.amdhsa_forward_progress 0
		.amdhsa_shared_vgpr_count 0
		.amdhsa_exception_fp_ieee_invalid_op 0
		.amdhsa_exception_fp_denorm_src 0
		.amdhsa_exception_fp_ieee_div_zero 0
		.amdhsa_exception_fp_ieee_overflow 0
		.amdhsa_exception_fp_ieee_underflow 0
		.amdhsa_exception_fp_ieee_inexact 0
		.amdhsa_exception_int_div_zero 0
	.end_amdhsa_kernel
	.section	.text._ZL30rocblas_reduction_kernel_part2ILi1024ELi4E25rocblas_finalize_identityDF16_fEviPT2_PT3_,"axG",@progbits,_ZL30rocblas_reduction_kernel_part2ILi1024ELi4E25rocblas_finalize_identityDF16_fEviPT2_PT3_,comdat
.Lfunc_end295:
	.size	_ZL30rocblas_reduction_kernel_part2ILi1024ELi4E25rocblas_finalize_identityDF16_fEviPT2_PT3_, .Lfunc_end295-_ZL30rocblas_reduction_kernel_part2ILi1024ELi4E25rocblas_finalize_identityDF16_fEviPT2_PT3_
                                        ; -- End function
	.section	.AMDGPU.csdata,"",@progbits
; Kernel info:
; codeLenInByte = 1076
; NumSgprs: 18
; NumVgprs: 11
; ScratchSize: 0
; MemoryBound: 0
; FloatMode: 240
; IeeeMode: 1
; LDSByteSize: 64 bytes/workgroup (compile time only)
; SGPRBlocks: 2
; VGPRBlocks: 1
; NumSGPRsForWavesPerEU: 18
; NumVGPRsForWavesPerEU: 11
; Occupancy: 16
; WaveLimiterHint : 0
; COMPUTE_PGM_RSRC2:SCRATCH_EN: 0
; COMPUTE_PGM_RSRC2:USER_SGPR: 15
; COMPUTE_PGM_RSRC2:TRAP_HANDLER: 0
; COMPUTE_PGM_RSRC2:TGID_X_EN: 1
; COMPUTE_PGM_RSRC2:TGID_Y_EN: 0
; COMPUTE_PGM_RSRC2:TGID_Z_EN: 0
; COMPUTE_PGM_RSRC2:TIDIG_COMP_CNT: 0
	.section	.text._ZL23rocblas_dot_kernel_inc1ILb0ELi512ELi4ELb1EfPKDF16_DF16_EviT4_llS2_lliPT5_PT3_,"axG",@progbits,_ZL23rocblas_dot_kernel_inc1ILb0ELi512ELi4ELb1EfPKDF16_DF16_EviT4_llS2_lliPT5_PT3_,comdat
	.globl	_ZL23rocblas_dot_kernel_inc1ILb0ELi512ELi4ELb1EfPKDF16_DF16_EviT4_llS2_lliPT5_PT3_ ; -- Begin function _ZL23rocblas_dot_kernel_inc1ILb0ELi512ELi4ELb1EfPKDF16_DF16_EviT4_llS2_lliPT5_PT3_
	.p2align	8
	.type	_ZL23rocblas_dot_kernel_inc1ILb0ELi512ELi4ELb1EfPKDF16_DF16_EviT4_llS2_lliPT5_PT3_,@function
_ZL23rocblas_dot_kernel_inc1ILb0ELi512ELi4ELb1EfPKDF16_DF16_EviT4_llS2_lliPT5_PT3_: ; @_ZL23rocblas_dot_kernel_inc1ILb0ELi512ELi4ELb1EfPKDF16_DF16_EviT4_llS2_lliPT5_PT3_
; %bb.0:
	s_clause 0x2
	s_load_b32 s12, s[0:1], 0x50
	s_load_b32 s13, s[0:1], 0x0
	s_load_b128 s[4:7], s[0:1], 0x40
	v_lshl_or_b32 v1, s14, 9, v0
	v_mov_b32_e32 v4, 0
	s_mov_b32 s2, s15
	s_mov_b32 s3, 0
	s_mov_b32 s15, exec_lo
	s_waitcnt lgkmcnt(0)
	v_cmpx_gt_i32_e64 s13, v1
	s_cbranch_execz .LBB296_4
; %bb.1:
	s_clause 0x3
	s_load_b128 s[8:11], s[0:1], 0x10
	s_load_b128 s[20:23], s[0:1], 0x28
	s_load_b64 s[16:17], s[0:1], 0x8
	s_load_b64 s[18:19], s[0:1], 0x20
	v_ashrrev_i32_e32 v2, 31, v1
	s_delay_alu instid0(VALU_DEP_1)
	v_lshlrev_b64 v[2:3], 1, v[1:2]
	s_waitcnt lgkmcnt(0)
	s_mul_i32 s1, s2, s11
	s_mul_hi_u32 s11, s2, s10
	s_mul_i32 s0, s2, s10
	s_add_i32 s1, s11, s1
	s_mul_i32 s11, s2, s23
	s_lshl_b64 s[0:1], s[0:1], 1
	s_mul_hi_u32 s23, s2, s22
	s_add_u32 s0, s16, s0
	s_addc_u32 s16, s17, s1
	s_lshl_b64 s[8:9], s[8:9], 1
	s_mul_i32 s10, s2, s22
	s_add_u32 s1, s0, s8
	s_addc_u32 s16, s16, s9
	s_add_i32 s11, s23, s11
	s_delay_alu instid0(SALU_CYCLE_1) | instskip(NEXT) | instid1(SALU_CYCLE_1)
	s_lshl_b64 s[8:9], s[10:11], 1
	s_add_u32 s0, s18, s8
	s_addc_u32 s10, s19, s9
	s_lshl_b64 s[8:9], s[20:21], 1
	s_mov_b32 s19, s3
	s_add_u32 s17, s0, s8
	s_addc_u32 s18, s10, s9
	s_lshl_b32 s8, s12, 9
	s_delay_alu instid0(SALU_CYCLE_1) | instskip(SKIP_1) | instid1(SALU_CYCLE_1)
	v_dual_mov_b32 v4, 0 :: v_dual_add_nc_u32 v1, s8, v1
	s_ashr_i32 s9, s8, 31
	s_lshl_b64 s[10:11], s[8:9], 1
	s_mov_b32 s9, s3
	.p2align	6
.LBB296_2:                              ; =>This Inner Loop Header: Depth=1
	v_add_co_u32 v5, vcc_lo, s17, v2
	v_add_co_ci_u32_e32 v6, vcc_lo, s18, v3, vcc_lo
	v_add_co_u32 v7, vcc_lo, s1, v2
	v_add_co_ci_u32_e32 v8, vcc_lo, s16, v3, vcc_lo
	s_add_i32 s20, s19, 1
	global_load_u16 v5, v[5:6], off
	global_load_u16 v6, v[7:8], off
	v_cmp_le_i32_e32 vcc_lo, s13, v1
	v_add_co_u32 v2, s0, v2, s10
	s_cmp_gt_u32 s19, 2
	v_add_co_ci_u32_e64 v3, s0, s11, v3, s0
	s_cselect_b32 s0, -1, 0
	v_add_nc_u32_e32 v1, s8, v1
	s_or_b32 s0, s0, vcc_lo
	s_mov_b32 s19, s20
	s_and_b32 s0, exec_lo, s0
	s_delay_alu instid0(SALU_CYCLE_1)
	s_or_b32 s9, s0, s9
	s_waitcnt vmcnt(0)
	v_fmac_f16_e32 v4, v5, v6
	s_and_not1_b32 exec_lo, exec_lo, s9
	s_cbranch_execnz .LBB296_2
; %bb.3:
	s_or_b32 exec_lo, exec_lo, s9
.LBB296_4:
	s_delay_alu instid0(SALU_CYCLE_1) | instskip(SKIP_2) | instid1(VALU_DEP_2)
	s_or_b32 exec_lo, exec_lo, s15
	v_and_b32_e32 v3, 31, v0
	v_cmp_gt_u32_e32 vcc_lo, 32, v0
	v_lshlrev_b32_e32 v1, 1, v3
	s_and_saveexec_b32 s0, vcc_lo
	s_cbranch_execz .LBB296_6
; %bb.5:
	v_mov_b32_e32 v2, 0
	ds_store_b16 v1, v2
.LBB296_6:
	s_or_b32 exec_lo, exec_lo, s0
	v_mbcnt_lo_u32_b32 v6, -1, 0
	v_and_b32_e32 v5, 0xffff, v4
	s_mov_b32 s1, exec_lo
	s_waitcnt lgkmcnt(0)
	s_barrier
	v_cmp_gt_u32_e64 s0, 16, v6
	buffer_gl0_inv
	v_cndmask_b32_e64 v2, 0, 1, s0
	v_cmp_gt_u32_e64 s0, 24, v6
	s_delay_alu instid0(VALU_DEP_2) | instskip(NEXT) | instid1(VALU_DEP_1)
	v_lshlrev_b32_e32 v2, 4, v2
	v_add_lshl_u32 v2, v2, v6, 2
	ds_bpermute_b32 v5, v2, v5
	v_cndmask_b32_e64 v2, 0, 1, s0
	v_cmp_gt_u32_e64 s0, 28, v6
	s_delay_alu instid0(VALU_DEP_2) | instskip(NEXT) | instid1(VALU_DEP_1)
	v_lshlrev_b32_e32 v2, 3, v2
	v_add_lshl_u32 v2, v2, v6, 2
	s_waitcnt lgkmcnt(0)
	v_add_f16_e32 v4, v4, v5
	s_delay_alu instid0(VALU_DEP_1) | instskip(NEXT) | instid1(VALU_DEP_1)
	v_and_b32_e32 v7, 0xffff, v4
	v_and_or_b32 v5, 0xffff0000, v5, v7
	v_cndmask_b32_e64 v7, 0, 1, s0
	v_cmp_gt_u32_e64 s0, 30, v6
	ds_bpermute_b32 v5, v2, v5
	s_waitcnt lgkmcnt(0)
	v_add_f16_e32 v8, v4, v5
	v_lshlrev_b32_e32 v4, 2, v7
	s_delay_alu instid0(VALU_DEP_2) | instskip(NEXT) | instid1(VALU_DEP_2)
	v_and_b32_e32 v7, 0xffff, v8
	v_add_lshl_u32 v4, v4, v6, 2
	s_delay_alu instid0(VALU_DEP_2) | instskip(SKIP_3) | instid1(VALU_DEP_2)
	v_and_or_b32 v5, 0xffff0000, v5, v7
	ds_bpermute_b32 v7, v4, v5
	v_cndmask_b32_e64 v5, 0, 1, s0
	v_cmp_ne_u32_e64 s0, 31, v6
	v_lshlrev_b32_e32 v5, 1, v5
	s_delay_alu instid0(VALU_DEP_1) | instskip(NEXT) | instid1(VALU_DEP_3)
	v_add_lshl_u32 v5, v5, v6, 2
	v_add_co_ci_u32_e64 v6, s0, 0, v6, s0
	s_delay_alu instid0(VALU_DEP_1) | instskip(SKIP_2) | instid1(VALU_DEP_1)
	v_lshlrev_b32_e32 v6, 2, v6
	s_waitcnt lgkmcnt(0)
	v_add_f16_e32 v8, v8, v7
	v_and_b32_e32 v9, 0xffff, v8
	s_delay_alu instid0(VALU_DEP_1) | instskip(SKIP_3) | instid1(VALU_DEP_1)
	v_and_or_b32 v7, 0xffff0000, v7, v9
	ds_bpermute_b32 v9, v5, v7
	s_waitcnt lgkmcnt(0)
	v_add_f16_e32 v7, v8, v9
	v_and_b32_e32 v8, 0xffff, v7
	s_delay_alu instid0(VALU_DEP_1)
	v_and_or_b32 v8, 0xffff0000, v9, v8
	ds_bpermute_b32 v8, v6, v8
	v_cmpx_eq_u32_e32 0, v3
	s_cbranch_execz .LBB296_8
; %bb.7:
	v_lshrrev_b32_e32 v3, 4, v0
	s_waitcnt lgkmcnt(0)
	v_add_f16_e32 v7, v7, v8
	s_delay_alu instid0(VALU_DEP_2)
	v_and_b32_e32 v3, 30, v3
	ds_store_b16 v3, v7
.LBB296_8:
	s_or_b32 exec_lo, exec_lo, s1
	v_mov_b32_e32 v3, 0
	s_mov_b32 s1, exec_lo
	s_waitcnt lgkmcnt(0)
	s_barrier
	buffer_gl0_inv
	v_cmpx_gt_u32_e32 16, v0
	s_cbranch_execz .LBB296_10
; %bb.9:
	ds_load_u16 v3, v1
.LBB296_10:
	s_or_b32 exec_lo, exec_lo, s1
	s_and_saveexec_b32 s0, vcc_lo
	s_cbranch_execz .LBB296_12
; %bb.11:
	s_waitcnt lgkmcnt(0)
	v_and_b32_e32 v1, 0xffff, v3
	ds_bpermute_b32 v1, v2, v1
	s_waitcnt lgkmcnt(0)
	v_add_f16_e32 v2, v3, v1
	s_delay_alu instid0(VALU_DEP_1) | instskip(NEXT) | instid1(VALU_DEP_1)
	v_and_b32_e32 v3, 0xffff, v2
	v_and_or_b32 v1, 0xffff0000, v1, v3
	ds_bpermute_b32 v1, v4, v1
	s_waitcnt lgkmcnt(0)
	v_add_f16_e32 v2, v2, v1
	s_delay_alu instid0(VALU_DEP_1) | instskip(NEXT) | instid1(VALU_DEP_1)
	v_and_b32_e32 v3, 0xffff, v2
	v_and_or_b32 v1, 0xffff0000, v1, v3
	;; [unrolled: 6-line block ×3, first 2 shown]
	ds_bpermute_b32 v1, v6, v1
	s_waitcnt lgkmcnt(0)
	v_add_f16_e32 v3, v2, v1
.LBB296_12:
	s_or_b32 exec_lo, exec_lo, s0
	s_delay_alu instid0(SALU_CYCLE_1)
	s_mov_b32 s0, exec_lo
	v_cmpx_eq_u32_e32 0, v0
	s_cbranch_execz .LBB296_17
; %bb.13:
	s_cmp_lg_u32 s12, 1
	s_mov_b32 s15, -1
	s_cbranch_scc0 .LBB296_15
; %bb.14:
	s_mul_hi_u32 s1, s12, s2
	s_mul_i32 s0, s12, s2
	s_mov_b32 s15, 0
	s_lshl_b64 s[0:1], s[0:1], 1
	v_mov_b32_e32 v0, 0
	s_add_u32 s4, s4, s0
	s_addc_u32 s5, s5, s1
	s_lshl_b64 s[0:1], s[14:15], 1
	s_delay_alu instid0(SALU_CYCLE_1)
	s_add_u32 s0, s4, s0
	s_addc_u32 s1, s5, s1
	s_waitcnt lgkmcnt(0)
	global_store_b16 v0, v3, s[0:1]
.LBB296_15:
	s_and_not1_b32 vcc_lo, exec_lo, s15
	s_cbranch_vccnz .LBB296_17
; %bb.16:
	s_waitcnt lgkmcnt(0)
	v_cvt_f32_f16_e32 v0, v3
	s_lshl_b64 s[0:1], s[2:3], 2
	v_mov_b32_e32 v1, 0
	s_add_u32 s0, s6, s0
	s_addc_u32 s1, s7, s1
	global_store_b32 v1, v0, s[0:1]
.LBB296_17:
	s_nop 0
	s_sendmsg sendmsg(MSG_DEALLOC_VGPRS)
	s_endpgm
	.section	.rodata,"a",@progbits
	.p2align	6, 0x0
	.amdhsa_kernel _ZL23rocblas_dot_kernel_inc1ILb0ELi512ELi4ELb1EfPKDF16_DF16_EviT4_llS2_lliPT5_PT3_
		.amdhsa_group_segment_fixed_size 64
		.amdhsa_private_segment_fixed_size 0
		.amdhsa_kernarg_size 336
		.amdhsa_user_sgpr_count 14
		.amdhsa_user_sgpr_dispatch_ptr 0
		.amdhsa_user_sgpr_queue_ptr 0
		.amdhsa_user_sgpr_kernarg_segment_ptr 1
		.amdhsa_user_sgpr_dispatch_id 0
		.amdhsa_user_sgpr_private_segment_size 0
		.amdhsa_wavefront_size32 1
		.amdhsa_uses_dynamic_stack 0
		.amdhsa_enable_private_segment 0
		.amdhsa_system_sgpr_workgroup_id_x 1
		.amdhsa_system_sgpr_workgroup_id_y 0
		.amdhsa_system_sgpr_workgroup_id_z 1
		.amdhsa_system_sgpr_workgroup_info 0
		.amdhsa_system_vgpr_workitem_id 0
		.amdhsa_next_free_vgpr 10
		.amdhsa_next_free_sgpr 24
		.amdhsa_reserve_vcc 1
		.amdhsa_float_round_mode_32 0
		.amdhsa_float_round_mode_16_64 0
		.amdhsa_float_denorm_mode_32 3
		.amdhsa_float_denorm_mode_16_64 3
		.amdhsa_dx10_clamp 1
		.amdhsa_ieee_mode 1
		.amdhsa_fp16_overflow 0
		.amdhsa_workgroup_processor_mode 1
		.amdhsa_memory_ordered 1
		.amdhsa_forward_progress 0
		.amdhsa_shared_vgpr_count 0
		.amdhsa_exception_fp_ieee_invalid_op 0
		.amdhsa_exception_fp_denorm_src 0
		.amdhsa_exception_fp_ieee_div_zero 0
		.amdhsa_exception_fp_ieee_overflow 0
		.amdhsa_exception_fp_ieee_underflow 0
		.amdhsa_exception_fp_ieee_inexact 0
		.amdhsa_exception_int_div_zero 0
	.end_amdhsa_kernel
	.section	.text._ZL23rocblas_dot_kernel_inc1ILb0ELi512ELi4ELb1EfPKDF16_DF16_EviT4_llS2_lliPT5_PT3_,"axG",@progbits,_ZL23rocblas_dot_kernel_inc1ILb0ELi512ELi4ELb1EfPKDF16_DF16_EviT4_llS2_lliPT5_PT3_,comdat
.Lfunc_end296:
	.size	_ZL23rocblas_dot_kernel_inc1ILb0ELi512ELi4ELb1EfPKDF16_DF16_EviT4_llS2_lliPT5_PT3_, .Lfunc_end296-_ZL23rocblas_dot_kernel_inc1ILb0ELi512ELi4ELb1EfPKDF16_DF16_EviT4_llS2_lliPT5_PT3_
                                        ; -- End function
	.section	.AMDGPU.csdata,"",@progbits
; Kernel info:
; codeLenInByte = 1136
; NumSgprs: 26
; NumVgprs: 10
; ScratchSize: 0
; MemoryBound: 0
; FloatMode: 240
; IeeeMode: 1
; LDSByteSize: 64 bytes/workgroup (compile time only)
; SGPRBlocks: 3
; VGPRBlocks: 1
; NumSGPRsForWavesPerEU: 26
; NumVGPRsForWavesPerEU: 10
; Occupancy: 16
; WaveLimiterHint : 0
; COMPUTE_PGM_RSRC2:SCRATCH_EN: 0
; COMPUTE_PGM_RSRC2:USER_SGPR: 14
; COMPUTE_PGM_RSRC2:TRAP_HANDLER: 0
; COMPUTE_PGM_RSRC2:TGID_X_EN: 1
; COMPUTE_PGM_RSRC2:TGID_Y_EN: 0
; COMPUTE_PGM_RSRC2:TGID_Z_EN: 1
; COMPUTE_PGM_RSRC2:TIDIG_COMP_CNT: 0
	.section	.text._ZL18rocblas_dot_kernelIlLb0ELi512ELi4ELb1EfPKDF16_DF16_EviT5_lT_lS2_lS3_liPT6_PT4_,"axG",@progbits,_ZL18rocblas_dot_kernelIlLb0ELi512ELi4ELb1EfPKDF16_DF16_EviT5_lT_lS2_lS3_liPT6_PT4_,comdat
	.globl	_ZL18rocblas_dot_kernelIlLb0ELi512ELi4ELb1EfPKDF16_DF16_EviT5_lT_lS2_lS3_liPT6_PT4_ ; -- Begin function _ZL18rocblas_dot_kernelIlLb0ELi512ELi4ELb1EfPKDF16_DF16_EviT5_lT_lS2_lS3_liPT6_PT4_
	.p2align	8
	.type	_ZL18rocblas_dot_kernelIlLb0ELi512ELi4ELb1EfPKDF16_DF16_EviT5_lT_lS2_lS3_liPT6_PT4_,@function
_ZL18rocblas_dot_kernelIlLb0ELi512ELi4ELb1EfPKDF16_DF16_EviT5_lT_lS2_lS3_liPT6_PT4_: ; @_ZL18rocblas_dot_kernelIlLb0ELi512ELi4ELb1EfPKDF16_DF16_EviT5_lT_lS2_lS3_liPT6_PT4_
; %bb.0:
	s_clause 0x2
	s_load_b32 s12, s[0:1], 0x60
	s_load_b32 s13, s[0:1], 0x0
	s_load_b128 s[16:19], s[0:1], 0x50
	v_lshl_or_b32 v1, s14, 9, v0
	v_mov_b32_e32 v6, 0
	s_mov_b32 s2, s15
	s_mov_b32 s3, 0
	s_mov_b32 s15, exec_lo
	s_waitcnt lgkmcnt(0)
	v_cmpx_gt_i32_e64 s13, v1
	s_cbranch_execz .LBB297_4
; %bb.1:
	s_clause 0x2
	s_load_b128 s[20:23], s[0:1], 0x10
	s_load_b256 s[4:11], s[0:1], 0x20
	s_load_b64 s[26:27], s[0:1], 0x8
	v_ashrrev_i32_e32 v4, 31, v1
	s_load_b64 s[0:1], s[0:1], 0x40
	s_lshl_b32 s24, s12, 9
	s_delay_alu instid0(SALU_CYCLE_1)
	v_add_nc_u32_e32 v5, s24, v1
	s_waitcnt lgkmcnt(0)
	v_mul_lo_u32 v8, s23, v1
	v_mul_lo_u32 v9, s22, v4
	v_mad_u64_u32 v[2:3], null, s22, v1, 0
	s_mul_i32 s5, s5, s2
	s_mul_hi_u32 s25, s4, s2
	s_mul_i32 s4, s4, s2
	v_mul_lo_u32 v10, s11, v1
	v_mul_lo_u32 v4, s10, v4
	s_add_i32 s5, s25, s5
	s_delay_alu instid0(VALU_DEP_3)
	v_add3_u32 v3, v3, v9, v8
	v_mad_u64_u32 v[6:7], null, s10, v1, 0
	s_lshl_b64 s[20:21], s[20:21], 1
	s_lshl_b64 s[4:5], s[4:5], 1
	s_add_u32 s20, s26, s20
	s_addc_u32 s21, s27, s21
	v_lshlrev_b64 v[1:2], 1, v[2:3]
	s_add_u32 s20, s20, s4
	s_addc_u32 s21, s21, s5
	s_ashr_i32 s25, s24, 31
	s_mul_hi_u32 s4, s22, s24
	s_mul_i32 s5, s22, s25
	v_add3_u32 v7, v7, v4, v10
	s_mul_i32 s23, s23, s24
	s_add_i32 s5, s4, s5
	v_add_co_u32 v1, vcc_lo, s20, v1
	s_mul_i32 s1, s1, s2
	s_mul_hi_u32 s20, s0, s2
	s_mul_i32 s4, s22, s24
	s_add_i32 s5, s5, s23
	s_add_i32 s1, s20, s1
	s_mul_i32 s0, s0, s2
	v_lshlrev_b64 v[3:4], 1, v[6:7]
	v_mov_b32_e32 v6, 0
	s_lshl_b64 s[8:9], s[8:9], 1
	s_lshl_b64 s[4:5], s[4:5], 1
	;; [unrolled: 1-line block ×3, first 2 shown]
	s_add_u32 s6, s6, s8
	s_addc_u32 s7, s7, s9
	s_add_u32 s0, s6, s0
	v_add_co_ci_u32_e32 v2, vcc_lo, s21, v2, vcc_lo
	s_mul_i32 s6, s10, s25
	s_mul_hi_u32 s8, s10, s24
	s_addc_u32 s1, s7, s1
	v_add_co_u32 v3, vcc_lo, s0, v3
	s_add_i32 s6, s8, s6
	s_mul_i32 s7, s11, s24
	v_add_co_ci_u32_e32 v4, vcc_lo, s1, v4, vcc_lo
	s_add_i32 s1, s6, s7
	s_mul_i32 s0, s10, s24
	s_mov_b32 s8, s3
	s_lshl_b64 s[6:7], s[0:1], 1
	s_mov_b32 s1, s3
	.p2align	6
.LBB297_2:                              ; =>This Inner Loop Header: Depth=1
	global_load_u16 v7, v[3:4], off
	global_load_u16 v8, v[1:2], off
	v_add_co_u32 v1, s0, v1, s4
	s_delay_alu instid0(VALU_DEP_1)
	v_add_co_ci_u32_e64 v2, s0, s5, v2, s0
	s_add_i32 s9, s8, 1
	v_cmp_le_i32_e32 vcc_lo, s13, v5
	v_add_co_u32 v3, s0, v3, s6
	s_cmp_gt_u32 s8, 2
	v_add_co_ci_u32_e64 v4, s0, s7, v4, s0
	s_cselect_b32 s0, -1, 0
	v_add_nc_u32_e32 v5, s24, v5
	s_or_b32 s0, s0, vcc_lo
	s_mov_b32 s8, s9
	s_and_b32 s0, exec_lo, s0
	s_delay_alu instid0(SALU_CYCLE_1)
	s_or_b32 s1, s0, s1
	s_waitcnt vmcnt(0)
	v_fmac_f16_e32 v6, v7, v8
	s_and_not1_b32 exec_lo, exec_lo, s1
	s_cbranch_execnz .LBB297_2
; %bb.3:
	s_or_b32 exec_lo, exec_lo, s1
.LBB297_4:
	s_delay_alu instid0(SALU_CYCLE_1) | instskip(SKIP_2) | instid1(VALU_DEP_2)
	s_or_b32 exec_lo, exec_lo, s15
	v_and_b32_e32 v3, 31, v0
	v_cmp_gt_u32_e32 vcc_lo, 32, v0
	v_lshlrev_b32_e32 v1, 1, v3
	s_and_saveexec_b32 s0, vcc_lo
	s_cbranch_execz .LBB297_6
; %bb.5:
	v_mov_b32_e32 v2, 0
	ds_store_b16 v1, v2
.LBB297_6:
	s_or_b32 exec_lo, exec_lo, s0
	v_mbcnt_lo_u32_b32 v8, -1, 0
	v_and_b32_e32 v4, 0xffff, v6
	s_mov_b32 s1, exec_lo
	s_waitcnt lgkmcnt(0)
	s_barrier
	v_cmp_gt_u32_e64 s0, 16, v8
	buffer_gl0_inv
	v_cndmask_b32_e64 v2, 0, 1, s0
	v_cmp_gt_u32_e64 s0, 24, v8
	s_delay_alu instid0(VALU_DEP_2) | instskip(NEXT) | instid1(VALU_DEP_1)
	v_lshlrev_b32_e32 v2, 4, v2
	v_add_lshl_u32 v2, v2, v8, 2
	ds_bpermute_b32 v4, v2, v4
	v_cndmask_b32_e64 v2, 0, 1, s0
	v_cmp_gt_u32_e64 s0, 28, v8
	s_delay_alu instid0(VALU_DEP_2) | instskip(NEXT) | instid1(VALU_DEP_1)
	v_lshlrev_b32_e32 v2, 3, v2
	v_add_lshl_u32 v2, v2, v8, 2
	s_waitcnt lgkmcnt(0)
	v_add_f16_e32 v5, v6, v4
	s_delay_alu instid0(VALU_DEP_1) | instskip(NEXT) | instid1(VALU_DEP_1)
	v_and_b32_e32 v6, 0xffff, v5
	v_and_or_b32 v4, 0xffff0000, v4, v6
	ds_bpermute_b32 v6, v2, v4
	v_cndmask_b32_e64 v4, 0, 1, s0
	v_cmp_gt_u32_e64 s0, 30, v8
	s_delay_alu instid0(VALU_DEP_2) | instskip(NEXT) | instid1(VALU_DEP_1)
	v_lshlrev_b32_e32 v4, 2, v4
	v_add_lshl_u32 v4, v4, v8, 2
	s_waitcnt lgkmcnt(0)
	v_add_f16_e32 v5, v5, v6
	s_delay_alu instid0(VALU_DEP_1) | instskip(NEXT) | instid1(VALU_DEP_1)
	v_and_b32_e32 v7, 0xffff, v5
	v_and_or_b32 v6, 0xffff0000, v6, v7
	v_cndmask_b32_e64 v7, 0, 1, s0
	v_cmp_ne_u32_e64 s0, 31, v8
	ds_bpermute_b32 v6, v4, v6
	s_waitcnt lgkmcnt(0)
	v_add_f16_e32 v9, v5, v6
	v_lshlrev_b32_e32 v5, 1, v7
	s_delay_alu instid0(VALU_DEP_2) | instskip(NEXT) | instid1(VALU_DEP_2)
	v_and_b32_e32 v7, 0xffff, v9
	v_add_lshl_u32 v5, v5, v8, 2
	v_add_co_ci_u32_e64 v8, s0, 0, v8, s0
	s_delay_alu instid0(VALU_DEP_3) | instskip(SKIP_3) | instid1(VALU_DEP_1)
	v_and_or_b32 v6, 0xffff0000, v6, v7
	ds_bpermute_b32 v6, v5, v6
	s_waitcnt lgkmcnt(0)
	v_add_f16_e32 v7, v9, v6
	v_and_b32_e32 v9, 0xffff, v7
	s_delay_alu instid0(VALU_DEP_1)
	v_and_or_b32 v9, 0xffff0000, v6, v9
	v_lshlrev_b32_e32 v6, 2, v8
	ds_bpermute_b32 v8, v6, v9
	v_cmpx_eq_u32_e32 0, v3
	s_cbranch_execz .LBB297_8
; %bb.7:
	v_lshrrev_b32_e32 v3, 4, v0
	s_waitcnt lgkmcnt(0)
	v_add_f16_e32 v7, v7, v8
	s_delay_alu instid0(VALU_DEP_2)
	v_and_b32_e32 v3, 30, v3
	ds_store_b16 v3, v7
.LBB297_8:
	s_or_b32 exec_lo, exec_lo, s1
	v_mov_b32_e32 v3, 0
	s_mov_b32 s1, exec_lo
	s_waitcnt lgkmcnt(0)
	s_barrier
	buffer_gl0_inv
	v_cmpx_gt_u32_e32 16, v0
	s_cbranch_execz .LBB297_10
; %bb.9:
	ds_load_u16 v3, v1
.LBB297_10:
	s_or_b32 exec_lo, exec_lo, s1
	s_and_saveexec_b32 s0, vcc_lo
	s_cbranch_execz .LBB297_12
; %bb.11:
	s_waitcnt lgkmcnt(0)
	v_and_b32_e32 v1, 0xffff, v3
	ds_bpermute_b32 v1, v2, v1
	s_waitcnt lgkmcnt(0)
	v_add_f16_e32 v2, v3, v1
	s_delay_alu instid0(VALU_DEP_1) | instskip(NEXT) | instid1(VALU_DEP_1)
	v_and_b32_e32 v3, 0xffff, v2
	v_and_or_b32 v1, 0xffff0000, v1, v3
	ds_bpermute_b32 v1, v4, v1
	s_waitcnt lgkmcnt(0)
	v_add_f16_e32 v2, v2, v1
	s_delay_alu instid0(VALU_DEP_1) | instskip(NEXT) | instid1(VALU_DEP_1)
	v_and_b32_e32 v3, 0xffff, v2
	v_and_or_b32 v1, 0xffff0000, v1, v3
	;; [unrolled: 6-line block ×3, first 2 shown]
	ds_bpermute_b32 v1, v6, v1
	s_waitcnt lgkmcnt(0)
	v_add_f16_e32 v3, v2, v1
.LBB297_12:
	s_or_b32 exec_lo, exec_lo, s0
	s_delay_alu instid0(SALU_CYCLE_1)
	s_mov_b32 s0, exec_lo
	v_cmpx_eq_u32_e32 0, v0
	s_cbranch_execz .LBB297_17
; %bb.13:
	s_cmp_lg_u32 s12, 1
	s_mov_b32 s15, -1
	s_cbranch_scc0 .LBB297_15
; %bb.14:
	s_mul_hi_u32 s1, s12, s2
	s_mul_i32 s0, s12, s2
	s_mov_b32 s15, 0
	s_lshl_b64 s[0:1], s[0:1], 1
	v_mov_b32_e32 v0, 0
	s_add_u32 s4, s16, s0
	s_addc_u32 s5, s17, s1
	s_lshl_b64 s[0:1], s[14:15], 1
	s_delay_alu instid0(SALU_CYCLE_1)
	s_add_u32 s0, s4, s0
	s_addc_u32 s1, s5, s1
	s_waitcnt lgkmcnt(0)
	global_store_b16 v0, v3, s[0:1]
.LBB297_15:
	s_and_not1_b32 vcc_lo, exec_lo, s15
	s_cbranch_vccnz .LBB297_17
; %bb.16:
	s_waitcnt lgkmcnt(0)
	v_cvt_f32_f16_e32 v0, v3
	s_lshl_b64 s[0:1], s[2:3], 2
	v_mov_b32_e32 v1, 0
	s_add_u32 s0, s18, s0
	s_addc_u32 s1, s19, s1
	global_store_b32 v1, v0, s[0:1]
.LBB297_17:
	s_nop 0
	s_sendmsg sendmsg(MSG_DEALLOC_VGPRS)
	s_endpgm
	.section	.rodata,"a",@progbits
	.p2align	6, 0x0
	.amdhsa_kernel _ZL18rocblas_dot_kernelIlLb0ELi512ELi4ELb1EfPKDF16_DF16_EviT5_lT_lS2_lS3_liPT6_PT4_
		.amdhsa_group_segment_fixed_size 64
		.amdhsa_private_segment_fixed_size 0
		.amdhsa_kernarg_size 352
		.amdhsa_user_sgpr_count 14
		.amdhsa_user_sgpr_dispatch_ptr 0
		.amdhsa_user_sgpr_queue_ptr 0
		.amdhsa_user_sgpr_kernarg_segment_ptr 1
		.amdhsa_user_sgpr_dispatch_id 0
		.amdhsa_user_sgpr_private_segment_size 0
		.amdhsa_wavefront_size32 1
		.amdhsa_uses_dynamic_stack 0
		.amdhsa_enable_private_segment 0
		.amdhsa_system_sgpr_workgroup_id_x 1
		.amdhsa_system_sgpr_workgroup_id_y 0
		.amdhsa_system_sgpr_workgroup_id_z 1
		.amdhsa_system_sgpr_workgroup_info 0
		.amdhsa_system_vgpr_workitem_id 0
		.amdhsa_next_free_vgpr 11
		.amdhsa_next_free_sgpr 28
		.amdhsa_reserve_vcc 1
		.amdhsa_float_round_mode_32 0
		.amdhsa_float_round_mode_16_64 0
		.amdhsa_float_denorm_mode_32 3
		.amdhsa_float_denorm_mode_16_64 3
		.amdhsa_dx10_clamp 1
		.amdhsa_ieee_mode 1
		.amdhsa_fp16_overflow 0
		.amdhsa_workgroup_processor_mode 1
		.amdhsa_memory_ordered 1
		.amdhsa_forward_progress 0
		.amdhsa_shared_vgpr_count 0
		.amdhsa_exception_fp_ieee_invalid_op 0
		.amdhsa_exception_fp_denorm_src 0
		.amdhsa_exception_fp_ieee_div_zero 0
		.amdhsa_exception_fp_ieee_overflow 0
		.amdhsa_exception_fp_ieee_underflow 0
		.amdhsa_exception_fp_ieee_inexact 0
		.amdhsa_exception_int_div_zero 0
	.end_amdhsa_kernel
	.section	.text._ZL18rocblas_dot_kernelIlLb0ELi512ELi4ELb1EfPKDF16_DF16_EviT5_lT_lS2_lS3_liPT6_PT4_,"axG",@progbits,_ZL18rocblas_dot_kernelIlLb0ELi512ELi4ELb1EfPKDF16_DF16_EviT5_lT_lS2_lS3_liPT6_PT4_,comdat
.Lfunc_end297:
	.size	_ZL18rocblas_dot_kernelIlLb0ELi512ELi4ELb1EfPKDF16_DF16_EviT5_lT_lS2_lS3_liPT6_PT4_, .Lfunc_end297-_ZL18rocblas_dot_kernelIlLb0ELi512ELi4ELb1EfPKDF16_DF16_EviT5_lT_lS2_lS3_liPT6_PT4_
                                        ; -- End function
	.section	.AMDGPU.csdata,"",@progbits
; Kernel info:
; codeLenInByte = 1272
; NumSgprs: 30
; NumVgprs: 11
; ScratchSize: 0
; MemoryBound: 0
; FloatMode: 240
; IeeeMode: 1
; LDSByteSize: 64 bytes/workgroup (compile time only)
; SGPRBlocks: 3
; VGPRBlocks: 1
; NumSGPRsForWavesPerEU: 30
; NumVGPRsForWavesPerEU: 11
; Occupancy: 16
; WaveLimiterHint : 0
; COMPUTE_PGM_RSRC2:SCRATCH_EN: 0
; COMPUTE_PGM_RSRC2:USER_SGPR: 14
; COMPUTE_PGM_RSRC2:TRAP_HANDLER: 0
; COMPUTE_PGM_RSRC2:TGID_X_EN: 1
; COMPUTE_PGM_RSRC2:TGID_Y_EN: 0
; COMPUTE_PGM_RSRC2:TGID_Z_EN: 1
; COMPUTE_PGM_RSRC2:TIDIG_COMP_CNT: 0
	.section	.text._ZL24rocblas_dot_kernel_magsqIlLb0ELi512ELi4ELb1EfPKDF16_DF16_EviT5_lT_liPT6_PT4_,"axG",@progbits,_ZL24rocblas_dot_kernel_magsqIlLb0ELi512ELi4ELb1EfPKDF16_DF16_EviT5_lT_liPT6_PT4_,comdat
	.globl	_ZL24rocblas_dot_kernel_magsqIlLb0ELi512ELi4ELb1EfPKDF16_DF16_EviT5_lT_liPT6_PT4_ ; -- Begin function _ZL24rocblas_dot_kernel_magsqIlLb0ELi512ELi4ELb1EfPKDF16_DF16_EviT5_lT_liPT6_PT4_
	.p2align	8
	.type	_ZL24rocblas_dot_kernel_magsqIlLb0ELi512ELi4ELb1EfPKDF16_DF16_EviT5_lT_liPT6_PT4_,@function
_ZL24rocblas_dot_kernel_magsqIlLb0ELi512ELi4ELb1EfPKDF16_DF16_EviT5_lT_liPT6_PT4_: ; @_ZL24rocblas_dot_kernel_magsqIlLb0ELi512ELi4ELb1EfPKDF16_DF16_EviT5_lT_liPT6_PT4_
; %bb.0:
	s_clause 0x2
	s_load_b32 s11, s[0:1], 0x0
	s_load_b128 s[4:7], s[0:1], 0x30
	s_load_b32 s10, s[0:1], 0x40
	v_lshl_or_b32 v1, s14, 9, v0
	v_mov_b32_e32 v3, 0
	s_mov_b32 s2, s15
	s_mov_b32 s3, 0
	s_mov_b32 s12, exec_lo
	s_waitcnt lgkmcnt(0)
	v_cmpx_gt_i32_e64 s11, v1
	s_cbranch_execz .LBB298_4
; %bb.1:
	s_clause 0x2
	s_load_b128 s[16:19], s[0:1], 0x10
	s_load_b64 s[8:9], s[0:1], 0x20
	s_load_b64 s[20:21], s[0:1], 0x8
	v_ashrrev_i32_e32 v2, 31, v1
	s_lshl_b32 s1, s10, 9
	s_delay_alu instid0(SALU_CYCLE_1)
	v_add_nc_u32_e32 v4, s1, v1
	s_waitcnt lgkmcnt(0)
	v_mul_lo_u32 v5, s19, v1
	v_mul_lo_u32 v6, s18, v2
	v_mad_u64_u32 v[2:3], null, s18, v1, 0
	s_mul_i32 s0, s9, s2
	s_mul_hi_u32 s9, s8, s2
	s_mul_i32 s8, s8, s2
	s_add_i32 s9, s9, s0
	s_lshl_b64 s[16:17], s[16:17], 1
	s_lshl_b64 s[8:9], s[8:9], 1
	s_delay_alu instid0(VALU_DEP_1)
	v_add3_u32 v3, v3, v6, v5
	s_add_u32 s0, s20, s16
	s_addc_u32 s13, s21, s17
	s_add_u32 s0, s0, s8
	s_addc_u32 s13, s13, s9
	v_lshlrev_b64 v[1:2], 1, v[2:3]
	v_mov_b32_e32 v3, 0
	s_ashr_i32 s8, s1, 31
	s_mul_hi_u32 s9, s18, s1
	s_mul_i32 s8, s18, s8
	s_mul_i32 s15, s19, s1
	v_add_co_u32 v1, vcc_lo, s0, v1
	s_add_i32 s9, s9, s8
	v_add_co_ci_u32_e32 v2, vcc_lo, s13, v2, vcc_lo
	s_mul_i32 s8, s18, s1
	s_add_i32 s9, s9, s15
	s_mov_b32 s13, s3
	s_lshl_b64 s[8:9], s[8:9], 1
	s_mov_b32 s15, s3
	.p2align	6
.LBB298_2:                              ; =>This Inner Loop Header: Depth=1
	global_load_u16 v5, v[1:2], off
	s_add_i32 s16, s15, 1
	v_cmp_le_i32_e32 vcc_lo, s11, v4
	v_add_co_u32 v1, s0, v1, s8
	s_cmp_gt_u32 s15, 2
	v_add_co_ci_u32_e64 v2, s0, s9, v2, s0
	s_cselect_b32 s0, -1, 0
	v_add_nc_u32_e32 v4, s1, v4
	s_or_b32 s0, s0, vcc_lo
	s_mov_b32 s15, s16
	s_and_b32 s0, exec_lo, s0
	s_delay_alu instid0(SALU_CYCLE_1)
	s_or_b32 s13, s0, s13
	s_waitcnt vmcnt(0)
	v_fmac_f16_e32 v3, v5, v5
	s_and_not1_b32 exec_lo, exec_lo, s13
	s_cbranch_execnz .LBB298_2
; %bb.3:
	s_or_b32 exec_lo, exec_lo, s13
.LBB298_4:
	s_delay_alu instid0(SALU_CYCLE_1) | instskip(SKIP_2) | instid1(VALU_DEP_2)
	s_or_b32 exec_lo, exec_lo, s12
	v_and_b32_e32 v5, 31, v0
	v_cmp_gt_u32_e32 vcc_lo, 32, v0
	v_lshlrev_b32_e32 v1, 1, v5
	s_and_saveexec_b32 s0, vcc_lo
	s_cbranch_execz .LBB298_6
; %bb.5:
	v_mov_b32_e32 v2, 0
	ds_store_b16 v1, v2
.LBB298_6:
	s_or_b32 exec_lo, exec_lo, s0
	v_mbcnt_lo_u32_b32 v7, -1, 0
	v_and_b32_e32 v4, 0xffff, v3
	s_mov_b32 s1, exec_lo
	s_waitcnt lgkmcnt(0)
	s_barrier
	v_cmp_gt_u32_e64 s0, 16, v7
	buffer_gl0_inv
	v_cndmask_b32_e64 v2, 0, 1, s0
	v_cmp_gt_u32_e64 s0, 24, v7
	s_delay_alu instid0(VALU_DEP_2) | instskip(NEXT) | instid1(VALU_DEP_1)
	v_lshlrev_b32_e32 v2, 4, v2
	v_add_lshl_u32 v2, v2, v7, 2
	ds_bpermute_b32 v4, v2, v4
	v_cndmask_b32_e64 v2, 0, 1, s0
	v_cmp_gt_u32_e64 s0, 28, v7
	s_delay_alu instid0(VALU_DEP_2) | instskip(NEXT) | instid1(VALU_DEP_1)
	v_lshlrev_b32_e32 v2, 3, v2
	v_add_lshl_u32 v2, v2, v7, 2
	s_waitcnt lgkmcnt(0)
	v_add_f16_e32 v3, v3, v4
	s_delay_alu instid0(VALU_DEP_1) | instskip(NEXT) | instid1(VALU_DEP_1)
	v_and_b32_e32 v6, 0xffff, v3
	v_and_or_b32 v4, 0xffff0000, v4, v6
	ds_bpermute_b32 v6, v2, v4
	v_cndmask_b32_e64 v4, 0, 1, s0
	v_cmp_gt_u32_e64 s0, 30, v7
	s_delay_alu instid0(VALU_DEP_2) | instskip(NEXT) | instid1(VALU_DEP_1)
	v_lshlrev_b32_e32 v4, 2, v4
	v_add_lshl_u32 v4, v4, v7, 2
	s_waitcnt lgkmcnt(0)
	v_add_f16_e32 v3, v3, v6
	s_delay_alu instid0(VALU_DEP_1) | instskip(NEXT) | instid1(VALU_DEP_1)
	v_and_b32_e32 v8, 0xffff, v3
	v_and_or_b32 v6, 0xffff0000, v6, v8
	ds_bpermute_b32 v8, v4, v6
	v_cndmask_b32_e64 v6, 0, 1, s0
	v_cmp_ne_u32_e64 s0, 31, v7
	s_delay_alu instid0(VALU_DEP_2) | instskip(NEXT) | instid1(VALU_DEP_1)
	v_lshlrev_b32_e32 v6, 1, v6
	v_add_lshl_u32 v6, v6, v7, 2
	s_delay_alu instid0(VALU_DEP_3) | instskip(NEXT) | instid1(VALU_DEP_1)
	v_add_co_ci_u32_e64 v7, s0, 0, v7, s0
	v_lshlrev_b32_e32 v7, 2, v7
	s_waitcnt lgkmcnt(0)
	v_add_f16_e32 v3, v3, v8
	s_delay_alu instid0(VALU_DEP_1) | instskip(NEXT) | instid1(VALU_DEP_1)
	v_and_b32_e32 v9, 0xffff, v3
	v_and_or_b32 v8, 0xffff0000, v8, v9
	ds_bpermute_b32 v8, v6, v8
	s_waitcnt lgkmcnt(0)
	v_add_f16_e32 v3, v3, v8
	s_delay_alu instid0(VALU_DEP_1) | instskip(NEXT) | instid1(VALU_DEP_1)
	v_and_b32_e32 v9, 0xffff, v3
	v_and_or_b32 v8, 0xffff0000, v8, v9
	ds_bpermute_b32 v8, v7, v8
	v_cmpx_eq_u32_e32 0, v5
	s_cbranch_execz .LBB298_8
; %bb.7:
	v_lshrrev_b32_e32 v5, 4, v0
	s_waitcnt lgkmcnt(0)
	v_add_f16_e32 v3, v3, v8
	s_delay_alu instid0(VALU_DEP_2)
	v_and_b32_e32 v5, 30, v5
	ds_store_b16 v5, v3
.LBB298_8:
	s_or_b32 exec_lo, exec_lo, s1
	v_mov_b32_e32 v3, 0
	s_mov_b32 s1, exec_lo
	s_waitcnt lgkmcnt(0)
	s_barrier
	buffer_gl0_inv
	v_cmpx_gt_u32_e32 16, v0
	s_cbranch_execz .LBB298_10
; %bb.9:
	ds_load_u16 v3, v1
.LBB298_10:
	s_or_b32 exec_lo, exec_lo, s1
	s_and_saveexec_b32 s0, vcc_lo
	s_cbranch_execz .LBB298_12
; %bb.11:
	s_waitcnt lgkmcnt(0)
	v_and_b32_e32 v1, 0xffff, v3
	ds_bpermute_b32 v1, v2, v1
	s_waitcnt lgkmcnt(0)
	v_add_f16_e32 v2, v3, v1
	s_delay_alu instid0(VALU_DEP_1) | instskip(NEXT) | instid1(VALU_DEP_1)
	v_and_b32_e32 v3, 0xffff, v2
	v_and_or_b32 v1, 0xffff0000, v1, v3
	ds_bpermute_b32 v1, v4, v1
	s_waitcnt lgkmcnt(0)
	v_add_f16_e32 v2, v2, v1
	s_delay_alu instid0(VALU_DEP_1) | instskip(NEXT) | instid1(VALU_DEP_1)
	v_and_b32_e32 v3, 0xffff, v2
	v_and_or_b32 v1, 0xffff0000, v1, v3
	;; [unrolled: 6-line block ×3, first 2 shown]
	ds_bpermute_b32 v1, v7, v1
	s_waitcnt lgkmcnt(0)
	v_add_f16_e32 v3, v2, v1
.LBB298_12:
	s_or_b32 exec_lo, exec_lo, s0
	s_delay_alu instid0(SALU_CYCLE_1)
	s_mov_b32 s0, exec_lo
	v_cmpx_eq_u32_e32 0, v0
	s_cbranch_execz .LBB298_17
; %bb.13:
	s_cmp_lg_u32 s10, 1
	s_mov_b32 s15, -1
	s_cbranch_scc0 .LBB298_15
; %bb.14:
	s_mul_hi_u32 s1, s10, s2
	s_mul_i32 s0, s10, s2
	s_mov_b32 s15, 0
	s_lshl_b64 s[0:1], s[0:1], 1
	v_mov_b32_e32 v0, 0
	s_add_u32 s4, s4, s0
	s_addc_u32 s5, s5, s1
	s_lshl_b64 s[0:1], s[14:15], 1
	s_delay_alu instid0(SALU_CYCLE_1)
	s_add_u32 s0, s4, s0
	s_addc_u32 s1, s5, s1
	s_waitcnt lgkmcnt(0)
	global_store_b16 v0, v3, s[0:1]
.LBB298_15:
	s_and_not1_b32 vcc_lo, exec_lo, s15
	s_cbranch_vccnz .LBB298_17
; %bb.16:
	s_waitcnt lgkmcnt(0)
	v_cvt_f32_f16_e32 v0, v3
	s_lshl_b64 s[0:1], s[2:3], 2
	v_mov_b32_e32 v1, 0
	s_add_u32 s0, s6, s0
	s_addc_u32 s1, s7, s1
	global_store_b32 v1, v0, s[0:1]
.LBB298_17:
	s_nop 0
	s_sendmsg sendmsg(MSG_DEALLOC_VGPRS)
	s_endpgm
	.section	.rodata,"a",@progbits
	.p2align	6, 0x0
	.amdhsa_kernel _ZL24rocblas_dot_kernel_magsqIlLb0ELi512ELi4ELb1EfPKDF16_DF16_EviT5_lT_liPT6_PT4_
		.amdhsa_group_segment_fixed_size 64
		.amdhsa_private_segment_fixed_size 0
		.amdhsa_kernarg_size 320
		.amdhsa_user_sgpr_count 14
		.amdhsa_user_sgpr_dispatch_ptr 0
		.amdhsa_user_sgpr_queue_ptr 0
		.amdhsa_user_sgpr_kernarg_segment_ptr 1
		.amdhsa_user_sgpr_dispatch_id 0
		.amdhsa_user_sgpr_private_segment_size 0
		.amdhsa_wavefront_size32 1
		.amdhsa_uses_dynamic_stack 0
		.amdhsa_enable_private_segment 0
		.amdhsa_system_sgpr_workgroup_id_x 1
		.amdhsa_system_sgpr_workgroup_id_y 0
		.amdhsa_system_sgpr_workgroup_id_z 1
		.amdhsa_system_sgpr_workgroup_info 0
		.amdhsa_system_vgpr_workitem_id 0
		.amdhsa_next_free_vgpr 10
		.amdhsa_next_free_sgpr 22
		.amdhsa_reserve_vcc 1
		.amdhsa_float_round_mode_32 0
		.amdhsa_float_round_mode_16_64 0
		.amdhsa_float_denorm_mode_32 3
		.amdhsa_float_denorm_mode_16_64 3
		.amdhsa_dx10_clamp 1
		.amdhsa_ieee_mode 1
		.amdhsa_fp16_overflow 0
		.amdhsa_workgroup_processor_mode 1
		.amdhsa_memory_ordered 1
		.amdhsa_forward_progress 0
		.amdhsa_shared_vgpr_count 0
		.amdhsa_exception_fp_ieee_invalid_op 0
		.amdhsa_exception_fp_denorm_src 0
		.amdhsa_exception_fp_ieee_div_zero 0
		.amdhsa_exception_fp_ieee_overflow 0
		.amdhsa_exception_fp_ieee_underflow 0
		.amdhsa_exception_fp_ieee_inexact 0
		.amdhsa_exception_int_div_zero 0
	.end_amdhsa_kernel
	.section	.text._ZL24rocblas_dot_kernel_magsqIlLb0ELi512ELi4ELb1EfPKDF16_DF16_EviT5_lT_liPT6_PT4_,"axG",@progbits,_ZL24rocblas_dot_kernel_magsqIlLb0ELi512ELi4ELb1EfPKDF16_DF16_EviT5_lT_liPT6_PT4_,comdat
.Lfunc_end298:
	.size	_ZL24rocblas_dot_kernel_magsqIlLb0ELi512ELi4ELb1EfPKDF16_DF16_EviT5_lT_liPT6_PT4_, .Lfunc_end298-_ZL24rocblas_dot_kernel_magsqIlLb0ELi512ELi4ELb1EfPKDF16_DF16_EviT5_lT_liPT6_PT4_
                                        ; -- End function
	.section	.AMDGPU.csdata,"",@progbits
; Kernel info:
; codeLenInByte = 1120
; NumSgprs: 24
; NumVgprs: 10
; ScratchSize: 0
; MemoryBound: 0
; FloatMode: 240
; IeeeMode: 1
; LDSByteSize: 64 bytes/workgroup (compile time only)
; SGPRBlocks: 2
; VGPRBlocks: 1
; NumSGPRsForWavesPerEU: 24
; NumVGPRsForWavesPerEU: 10
; Occupancy: 16
; WaveLimiterHint : 0
; COMPUTE_PGM_RSRC2:SCRATCH_EN: 0
; COMPUTE_PGM_RSRC2:USER_SGPR: 14
; COMPUTE_PGM_RSRC2:TRAP_HANDLER: 0
; COMPUTE_PGM_RSRC2:TGID_X_EN: 1
; COMPUTE_PGM_RSRC2:TGID_Y_EN: 0
; COMPUTE_PGM_RSRC2:TGID_Z_EN: 1
; COMPUTE_PGM_RSRC2:TIDIG_COMP_CNT: 0
	.section	.text._ZL30rocblas_reduction_kernel_part2ILi512ELi4E25rocblas_finalize_identityDF16_fEviPT2_PT3_,"axG",@progbits,_ZL30rocblas_reduction_kernel_part2ILi512ELi4E25rocblas_finalize_identityDF16_fEviPT2_PT3_,comdat
	.globl	_ZL30rocblas_reduction_kernel_part2ILi512ELi4E25rocblas_finalize_identityDF16_fEviPT2_PT3_ ; -- Begin function _ZL30rocblas_reduction_kernel_part2ILi512ELi4E25rocblas_finalize_identityDF16_fEviPT2_PT3_
	.p2align	8
	.type	_ZL30rocblas_reduction_kernel_part2ILi512ELi4E25rocblas_finalize_identityDF16_fEviPT2_PT3_,@function
_ZL30rocblas_reduction_kernel_part2ILi512ELi4E25rocblas_finalize_identityDF16_fEviPT2_PT3_: ; @_ZL30rocblas_reduction_kernel_part2ILi512ELi4E25rocblas_finalize_identityDF16_fEviPT2_PT3_
; %bb.0:
	s_clause 0x1
	s_load_b32 s10, s[0:1], 0x0
	s_load_b128 s[4:7], s[0:1], 0x8
	v_dual_mov_b32 v3, 0 :: v_dual_lshlrev_b32 v4, 2, v0
	s_mov_b32 s2, s15
	s_mov_b32 s3, 0
	s_mov_b32 s11, exec_lo
	s_waitcnt lgkmcnt(0)
	s_ashr_i32 s0, s10, 31
	s_mul_hi_u32 s8, s10, s15
	s_lshr_b32 s1, s0, 30
	s_mul_i32 s0, s0, s15
	s_add_i32 s1, s10, s1
	s_add_i32 s9, s8, s0
	s_and_b32 s1, s1, -4
	s_mul_i32 s8, s10, s15
	v_cmpx_gt_i32_e64 s1, v4
	s_cbranch_execz .LBB299_4
; %bb.1:
	v_lshlrev_b32_e32 v1, 3, v0
	s_lshl_b64 s[12:13], s[8:9], 1
	v_mov_b32_e32 v3, 0
	s_add_u32 s0, s4, s12
	s_addc_u32 s12, s5, s13
	v_add_co_u32 v1, s0, s0, v1
	s_delay_alu instid0(VALU_DEP_1) | instskip(SKIP_1) | instid1(VALU_DEP_2)
	v_add_co_ci_u32_e64 v2, null, s12, 0, s0
	s_mov_b32 s12, s3
	v_add_co_u32 v1, vcc_lo, v1, 4
	s_delay_alu instid0(VALU_DEP_2)
	v_add_co_ci_u32_e32 v2, vcc_lo, 0, v2, vcc_lo
	.p2align	6
.LBB299_2:                              ; =>This Inner Loop Header: Depth=1
	global_load_b64 v[5:6], v[1:2], off offset:-4
	v_add_nc_u32_e32 v4, 0x800, v4
	v_add_co_u32 v1, vcc_lo, 0x1000, v1
	v_add_co_ci_u32_e32 v2, vcc_lo, 0, v2, vcc_lo
	s_delay_alu instid0(VALU_DEP_3) | instskip(NEXT) | instid1(VALU_DEP_1)
	v_cmp_le_i32_e64 s0, s1, v4
	s_or_b32 s12, s0, s12
	s_waitcnt vmcnt(0)
	v_lshrrev_b32_e32 v7, 16, v5
	v_add_f16_e32 v3, v3, v5
	v_lshrrev_b32_e32 v5, 16, v6
	s_delay_alu instid0(VALU_DEP_2) | instskip(NEXT) | instid1(VALU_DEP_1)
	v_add_f16_e32 v3, v3, v7
	v_add_f16_e32 v3, v3, v6
	s_delay_alu instid0(VALU_DEP_1)
	v_add_f16_e32 v3, v3, v5
	s_and_not1_b32 exec_lo, exec_lo, s12
	s_cbranch_execnz .LBB299_2
; %bb.3:
	s_or_b32 exec_lo, exec_lo, s12
.LBB299_4:
	s_delay_alu instid0(SALU_CYCLE_1) | instskip(SKIP_1) | instid1(SALU_CYCLE_1)
	s_or_b32 exec_lo, exec_lo, s11
	s_sub_i32 s0, s10, s1
	v_cmp_gt_u32_e32 vcc_lo, s0, v0
	s_and_saveexec_b32 s0, vcc_lo
	s_cbranch_execz .LBB299_6
; %bb.5:
	v_xad_u32 v1, v0, -1, s10
	v_mov_b32_e32 v2, 0
	s_lshl_b64 s[8:9], s[8:9], 1
	s_delay_alu instid0(SALU_CYCLE_1) | instskip(SKIP_1) | instid1(VALU_DEP_1)
	s_add_u32 s1, s4, s8
	s_addc_u32 s4, s5, s9
	v_lshlrev_b64 v[1:2], 1, v[1:2]
	s_delay_alu instid0(VALU_DEP_1) | instskip(NEXT) | instid1(VALU_DEP_2)
	v_add_co_u32 v1, vcc_lo, s1, v1
	v_add_co_ci_u32_e32 v2, vcc_lo, s4, v2, vcc_lo
	global_load_u16 v1, v[1:2], off
	s_waitcnt vmcnt(0)
	v_add_f16_e32 v3, v3, v1
.LBB299_6:
	s_or_b32 exec_lo, exec_lo, s0
	v_and_b32_e32 v4, 31, v0
	v_cmp_gt_u32_e32 vcc_lo, 32, v0
	s_delay_alu instid0(VALU_DEP_2)
	v_lshlrev_b32_e32 v1, 1, v4
	s_and_saveexec_b32 s0, vcc_lo
	s_cbranch_execz .LBB299_8
; %bb.7:
	v_mov_b32_e32 v2, 0
	ds_store_b16 v1, v2
.LBB299_8:
	s_or_b32 exec_lo, exec_lo, s0
	v_mbcnt_lo_u32_b32 v6, -1, 0
	v_and_b32_e32 v5, 0xffff, v3
	s_mov_b32 s1, exec_lo
	s_waitcnt lgkmcnt(0)
	s_barrier
	v_cmp_gt_u32_e64 s0, 16, v6
	buffer_gl0_inv
	v_cndmask_b32_e64 v2, 0, 1, s0
	v_cmp_gt_u32_e64 s0, 24, v6
	s_delay_alu instid0(VALU_DEP_2) | instskip(NEXT) | instid1(VALU_DEP_1)
	v_lshlrev_b32_e32 v2, 4, v2
	v_add_lshl_u32 v2, v2, v6, 2
	ds_bpermute_b32 v5, v2, v5
	v_cndmask_b32_e64 v2, 0, 1, s0
	v_cmp_gt_u32_e64 s0, 28, v6
	s_delay_alu instid0(VALU_DEP_2) | instskip(NEXT) | instid1(VALU_DEP_1)
	v_lshlrev_b32_e32 v2, 3, v2
	v_add_lshl_u32 v2, v2, v6, 2
	s_waitcnt lgkmcnt(0)
	v_add_f16_e32 v3, v3, v5
	s_delay_alu instid0(VALU_DEP_1) | instskip(NEXT) | instid1(VALU_DEP_1)
	v_and_b32_e32 v7, 0xffff, v3
	v_and_or_b32 v5, 0xffff0000, v5, v7
	v_cndmask_b32_e64 v7, 0, 1, s0
	v_cmp_gt_u32_e64 s0, 30, v6
	ds_bpermute_b32 v5, v2, v5
	s_waitcnt lgkmcnt(0)
	v_add_f16_e32 v8, v3, v5
	v_lshlrev_b32_e32 v3, 2, v7
	s_delay_alu instid0(VALU_DEP_2) | instskip(NEXT) | instid1(VALU_DEP_2)
	v_and_b32_e32 v7, 0xffff, v8
	v_add_lshl_u32 v3, v3, v6, 2
	s_delay_alu instid0(VALU_DEP_2) | instskip(SKIP_3) | instid1(VALU_DEP_2)
	v_and_or_b32 v5, 0xffff0000, v5, v7
	ds_bpermute_b32 v7, v3, v5
	v_cndmask_b32_e64 v5, 0, 1, s0
	v_cmp_ne_u32_e64 s0, 31, v6
	v_lshlrev_b32_e32 v5, 1, v5
	s_delay_alu instid0(VALU_DEP_1) | instskip(NEXT) | instid1(VALU_DEP_3)
	v_add_lshl_u32 v5, v5, v6, 2
	v_add_co_ci_u32_e64 v6, s0, 0, v6, s0
	s_delay_alu instid0(VALU_DEP_1) | instskip(SKIP_2) | instid1(VALU_DEP_1)
	v_lshlrev_b32_e32 v6, 2, v6
	s_waitcnt lgkmcnt(0)
	v_add_f16_e32 v8, v8, v7
	v_and_b32_e32 v9, 0xffff, v8
	s_delay_alu instid0(VALU_DEP_1) | instskip(SKIP_3) | instid1(VALU_DEP_1)
	v_and_or_b32 v7, 0xffff0000, v7, v9
	ds_bpermute_b32 v9, v5, v7
	s_waitcnt lgkmcnt(0)
	v_add_f16_e32 v7, v8, v9
	v_and_b32_e32 v8, 0xffff, v7
	s_delay_alu instid0(VALU_DEP_1)
	v_and_or_b32 v8, 0xffff0000, v9, v8
	ds_bpermute_b32 v8, v6, v8
	v_cmpx_eq_u32_e32 0, v4
	s_cbranch_execz .LBB299_10
; %bb.9:
	v_lshrrev_b32_e32 v4, 4, v0
	s_waitcnt lgkmcnt(0)
	v_add_f16_e32 v7, v7, v8
	s_delay_alu instid0(VALU_DEP_2)
	v_and_b32_e32 v4, 30, v4
	ds_store_b16 v4, v7
.LBB299_10:
	s_or_b32 exec_lo, exec_lo, s1
	v_mov_b32_e32 v4, 0
	s_mov_b32 s1, exec_lo
	s_waitcnt lgkmcnt(0)
	s_barrier
	buffer_gl0_inv
	v_cmpx_gt_u32_e32 16, v0
	s_cbranch_execz .LBB299_12
; %bb.11:
	ds_load_u16 v4, v1
.LBB299_12:
	s_or_b32 exec_lo, exec_lo, s1
	s_and_saveexec_b32 s0, vcc_lo
	s_cbranch_execz .LBB299_14
; %bb.13:
	s_waitcnt lgkmcnt(0)
	v_and_b32_e32 v1, 0xffff, v4
	ds_bpermute_b32 v1, v2, v1
	s_waitcnt lgkmcnt(0)
	v_add_f16_e32 v2, v4, v1
	s_delay_alu instid0(VALU_DEP_1) | instskip(NEXT) | instid1(VALU_DEP_1)
	v_and_b32_e32 v4, 0xffff, v2
	v_and_or_b32 v1, 0xffff0000, v1, v4
	ds_bpermute_b32 v1, v3, v1
	s_waitcnt lgkmcnt(0)
	v_add_f16_e32 v2, v2, v1
	s_delay_alu instid0(VALU_DEP_1) | instskip(NEXT) | instid1(VALU_DEP_1)
	v_and_b32_e32 v3, 0xffff, v2
	v_and_or_b32 v1, 0xffff0000, v1, v3
	ds_bpermute_b32 v1, v5, v1
	s_waitcnt lgkmcnt(0)
	v_add_f16_e32 v2, v2, v1
	s_delay_alu instid0(VALU_DEP_1) | instskip(NEXT) | instid1(VALU_DEP_1)
	v_and_b32_e32 v3, 0xffff, v2
	v_and_or_b32 v1, 0xffff0000, v1, v3
	ds_bpermute_b32 v1, v6, v1
	s_waitcnt lgkmcnt(0)
	v_add_f16_e32 v4, v2, v1
.LBB299_14:
	s_or_b32 exec_lo, exec_lo, s0
	s_delay_alu instid0(SALU_CYCLE_1)
	s_mov_b32 s0, exec_lo
	v_cmpx_eq_u32_e32 0, v0
	s_cbranch_execz .LBB299_16
; %bb.15:
	s_lshl_b64 s[0:1], s[2:3], 2
	v_mov_b32_e32 v0, 0
	s_waitcnt lgkmcnt(0)
	v_cvt_f32_f16_e32 v1, v4
	s_add_u32 s0, s6, s0
	s_addc_u32 s1, s7, s1
	global_store_b32 v0, v1, s[0:1]
.LBB299_16:
	s_nop 0
	s_sendmsg sendmsg(MSG_DEALLOC_VGPRS)
	s_endpgm
	.section	.rodata,"a",@progbits
	.p2align	6, 0x0
	.amdhsa_kernel _ZL30rocblas_reduction_kernel_part2ILi512ELi4E25rocblas_finalize_identityDF16_fEviPT2_PT3_
		.amdhsa_group_segment_fixed_size 64
		.amdhsa_private_segment_fixed_size 0
		.amdhsa_kernarg_size 24
		.amdhsa_user_sgpr_count 15
		.amdhsa_user_sgpr_dispatch_ptr 0
		.amdhsa_user_sgpr_queue_ptr 0
		.amdhsa_user_sgpr_kernarg_segment_ptr 1
		.amdhsa_user_sgpr_dispatch_id 0
		.amdhsa_user_sgpr_private_segment_size 0
		.amdhsa_wavefront_size32 1
		.amdhsa_uses_dynamic_stack 0
		.amdhsa_enable_private_segment 0
		.amdhsa_system_sgpr_workgroup_id_x 1
		.amdhsa_system_sgpr_workgroup_id_y 0
		.amdhsa_system_sgpr_workgroup_id_z 0
		.amdhsa_system_sgpr_workgroup_info 0
		.amdhsa_system_vgpr_workitem_id 0
		.amdhsa_next_free_vgpr 10
		.amdhsa_next_free_sgpr 16
		.amdhsa_reserve_vcc 1
		.amdhsa_float_round_mode_32 0
		.amdhsa_float_round_mode_16_64 0
		.amdhsa_float_denorm_mode_32 3
		.amdhsa_float_denorm_mode_16_64 3
		.amdhsa_dx10_clamp 1
		.amdhsa_ieee_mode 1
		.amdhsa_fp16_overflow 0
		.amdhsa_workgroup_processor_mode 1
		.amdhsa_memory_ordered 1
		.amdhsa_forward_progress 0
		.amdhsa_shared_vgpr_count 0
		.amdhsa_exception_fp_ieee_invalid_op 0
		.amdhsa_exception_fp_denorm_src 0
		.amdhsa_exception_fp_ieee_div_zero 0
		.amdhsa_exception_fp_ieee_overflow 0
		.amdhsa_exception_fp_ieee_underflow 0
		.amdhsa_exception_fp_ieee_inexact 0
		.amdhsa_exception_int_div_zero 0
	.end_amdhsa_kernel
	.section	.text._ZL30rocblas_reduction_kernel_part2ILi512ELi4E25rocblas_finalize_identityDF16_fEviPT2_PT3_,"axG",@progbits,_ZL30rocblas_reduction_kernel_part2ILi512ELi4E25rocblas_finalize_identityDF16_fEviPT2_PT3_,comdat
.Lfunc_end299:
	.size	_ZL30rocblas_reduction_kernel_part2ILi512ELi4E25rocblas_finalize_identityDF16_fEviPT2_PT3_, .Lfunc_end299-_ZL30rocblas_reduction_kernel_part2ILi512ELi4E25rocblas_finalize_identityDF16_fEviPT2_PT3_
                                        ; -- End function
	.section	.AMDGPU.csdata,"",@progbits
; Kernel info:
; codeLenInByte = 1040
; NumSgprs: 18
; NumVgprs: 10
; ScratchSize: 0
; MemoryBound: 0
; FloatMode: 240
; IeeeMode: 1
; LDSByteSize: 64 bytes/workgroup (compile time only)
; SGPRBlocks: 2
; VGPRBlocks: 1
; NumSGPRsForWavesPerEU: 18
; NumVGPRsForWavesPerEU: 10
; Occupancy: 16
; WaveLimiterHint : 0
; COMPUTE_PGM_RSRC2:SCRATCH_EN: 0
; COMPUTE_PGM_RSRC2:USER_SGPR: 15
; COMPUTE_PGM_RSRC2:TRAP_HANDLER: 0
; COMPUTE_PGM_RSRC2:TGID_X_EN: 1
; COMPUTE_PGM_RSRC2:TGID_Y_EN: 0
; COMPUTE_PGM_RSRC2:TGID_Z_EN: 0
; COMPUTE_PGM_RSRC2:TIDIG_COMP_CNT: 0
	.section	.text._ZL28rocblas_dot_batched_4_kernelIlLi32ELi4ELb1EDF16_fPKPKDF16_EviT5_lT_lS4_lS5_liPT4_,"axG",@progbits,_ZL28rocblas_dot_batched_4_kernelIlLi32ELi4ELb1EDF16_fPKPKDF16_EviT5_lT_lS4_lS5_liPT4_,comdat
	.globl	_ZL28rocblas_dot_batched_4_kernelIlLi32ELi4ELb1EDF16_fPKPKDF16_EviT5_lT_lS4_lS5_liPT4_ ; -- Begin function _ZL28rocblas_dot_batched_4_kernelIlLi32ELi4ELb1EDF16_fPKPKDF16_EviT5_lT_lS4_lS5_liPT4_
	.p2align	8
	.type	_ZL28rocblas_dot_batched_4_kernelIlLi32ELi4ELb1EDF16_fPKPKDF16_EviT5_lT_lS4_lS5_liPT4_,@function
_ZL28rocblas_dot_batched_4_kernelIlLi32ELi4ELb1EDF16_fPKPKDF16_EviT5_lT_lS4_lS5_liPT4_: ; @_ZL28rocblas_dot_batched_4_kernelIlLi32ELi4ELb1EDF16_fPKPKDF16_EviT5_lT_lS4_lS5_liPT4_
; %bb.0:
	s_load_b32 s2, s[0:1], 0x48
	v_bfe_u32 v1, v0, 10, 10
	s_delay_alu instid0(VALU_DEP_1) | instskip(SKIP_1) | instid1(VALU_DEP_1)
	v_lshl_add_u32 v1, s15, 2, v1
	s_waitcnt lgkmcnt(0)
	v_cmp_gt_u32_e32 vcc_lo, s2, v1
	s_and_saveexec_b32 s2, vcc_lo
	s_cbranch_execz .LBB300_7
; %bb.1:
	s_clause 0x1
	s_load_b32 s10, s[0:1], 0x0
	s_load_b64 s[8:9], s[0:1], 0x50
	v_mov_b32_e32 v2, 0
	v_and_b32_e32 v0, 0x3ff, v0
	s_mov_b32 s11, exec_lo
	s_delay_alu instid0(VALU_DEP_2) | instskip(SKIP_1) | instid1(VALU_DEP_2)
	v_mov_b32_e32 v7, v2
	s_waitcnt lgkmcnt(0)
	v_cmpx_gt_i32_e64 s10, v0
	s_cbranch_execz .LBB300_5
; %bb.2:
	s_clause 0x1
	s_load_b64 s[12:13], s[0:1], 0x8
	s_load_b64 s[14:15], s[0:1], 0x28
	v_lshlrev_b64 v[3:4], 3, v[1:2]
	s_clause 0x1
	s_load_b128 s[4:7], s[0:1], 0x10
	s_load_b128 s[0:3], s[0:1], 0x30
	s_waitcnt lgkmcnt(0)
	s_delay_alu instid0(VALU_DEP_1)
	v_add_co_u32 v5, vcc_lo, s12, v3
	v_add_co_ci_u32_e32 v6, vcc_lo, s13, v4, vcc_lo
	v_add_co_u32 v3, vcc_lo, s14, v3
	v_add_co_ci_u32_e32 v4, vcc_lo, s15, v4, vcc_lo
	v_mad_u64_u32 v[10:11], null, s2, v0, 0
	global_load_b64 v[5:6], v[5:6], off
	global_load_b64 v[8:9], v[3:4], off
	v_mad_u64_u32 v[3:4], null, s6, v0, 0
	s_lshl_b64 s[4:5], s[4:5], 1
	s_lshl_b64 s[0:1], s[0:1], 1
	v_mov_b32_e32 v7, v11
	s_waitcnt vmcnt(1)
	s_delay_alu instid0(VALU_DEP_2) | instskip(SKIP_1) | instid1(VALU_DEP_2)
	v_mad_u64_u32 v[11:12], null, s7, v0, v[4:5]
	s_waitcnt vmcnt(0)
	v_mad_u64_u32 v[12:13], null, s3, v0, v[7:8]
	v_mov_b32_e32 v7, 0
	s_lshl_b64 s[2:3], s[2:3], 6
	s_delay_alu instid0(VALU_DEP_2) | instskip(NEXT) | instid1(VALU_DEP_1)
	v_dual_mov_b32 v4, v11 :: v_dual_mov_b32 v11, v12
	v_lshlrev_b64 v[3:4], 1, v[3:4]
	s_delay_alu instid0(VALU_DEP_2) | instskip(NEXT) | instid1(VALU_DEP_2)
	v_lshlrev_b64 v[10:11], 1, v[10:11]
	v_add_co_u32 v3, vcc_lo, v3, s4
	s_delay_alu instid0(VALU_DEP_3) | instskip(NEXT) | instid1(VALU_DEP_3)
	v_add_co_ci_u32_e32 v4, vcc_lo, s5, v4, vcc_lo
	v_add_co_u32 v10, vcc_lo, v10, s0
	s_delay_alu instid0(VALU_DEP_4) | instskip(NEXT) | instid1(VALU_DEP_4)
	v_add_co_ci_u32_e32 v11, vcc_lo, s1, v11, vcc_lo
	v_add_co_u32 v3, vcc_lo, v5, v3
	s_delay_alu instid0(VALU_DEP_4) | instskip(NEXT) | instid1(VALU_DEP_4)
	v_add_co_ci_u32_e32 v4, vcc_lo, v6, v4, vcc_lo
	v_add_co_u32 v5, vcc_lo, v8, v10
	s_delay_alu instid0(VALU_DEP_4)
	v_add_co_ci_u32_e32 v6, vcc_lo, v9, v11, vcc_lo
	v_mov_b32_e32 v8, v0
	s_lshl_b64 s[4:5], s[6:7], 6
	s_mov_b32 s1, 0
	.p2align	6
.LBB300_3:                              ; =>This Inner Loop Header: Depth=1
	global_load_u16 v9, v[3:4], off
	global_load_u16 v10, v[5:6], off
	v_add_nc_u32_e32 v8, 32, v8
	v_add_co_u32 v3, vcc_lo, v3, s4
	v_add_co_ci_u32_e32 v4, vcc_lo, s5, v4, vcc_lo
	v_add_co_u32 v5, vcc_lo, v5, s2
	s_delay_alu instid0(VALU_DEP_4) | instskip(SKIP_1) | instid1(VALU_DEP_2)
	v_cmp_le_i32_e64 s0, s10, v8
	v_add_co_ci_u32_e32 v6, vcc_lo, s3, v6, vcc_lo
	s_or_b32 s1, s0, s1
	s_waitcnt vmcnt(0)
	v_fmac_f16_e32 v7, v9, v10
	s_and_not1_b32 exec_lo, exec_lo, s1
	s_cbranch_execnz .LBB300_3
; %bb.4:
	s_or_b32 exec_lo, exec_lo, s1
.LBB300_5:
	s_delay_alu instid0(SALU_CYCLE_1)
	s_or_b32 exec_lo, exec_lo, s11
	v_mbcnt_lo_u32_b32 v4, -1, 0
	v_and_b32_e32 v5, 0xffff, v7
	s_barrier
	buffer_gl0_inv
	v_cmp_gt_u32_e32 vcc_lo, 16, v4
	v_cndmask_b32_e64 v3, 0, 1, vcc_lo
	v_cmp_gt_u32_e32 vcc_lo, 24, v4
	s_delay_alu instid0(VALU_DEP_2) | instskip(NEXT) | instid1(VALU_DEP_1)
	v_lshlrev_b32_e32 v3, 4, v3
	v_add_lshl_u32 v3, v3, v4, 2
	ds_bpermute_b32 v3, v3, v5
	v_cndmask_b32_e64 v5, 0, 1, vcc_lo
	v_cmp_gt_u32_e32 vcc_lo, 28, v4
	s_delay_alu instid0(VALU_DEP_2) | instskip(NEXT) | instid1(VALU_DEP_1)
	v_lshlrev_b32_e32 v5, 3, v5
	v_add_lshl_u32 v5, v5, v4, 2
	s_waitcnt lgkmcnt(0)
	v_add_f16_e32 v6, v7, v3
	s_delay_alu instid0(VALU_DEP_1) | instskip(NEXT) | instid1(VALU_DEP_1)
	v_and_b32_e32 v7, 0xffff, v6
	v_and_or_b32 v3, 0xffff0000, v3, v7
	ds_bpermute_b32 v3, v5, v3
	v_cndmask_b32_e64 v5, 0, 1, vcc_lo
	v_cmp_gt_u32_e32 vcc_lo, 30, v4
	s_delay_alu instid0(VALU_DEP_2) | instskip(NEXT) | instid1(VALU_DEP_1)
	v_lshlrev_b32_e32 v5, 2, v5
	v_add_lshl_u32 v5, v5, v4, 2
	s_waitcnt lgkmcnt(0)
	v_add_f16_e32 v6, v6, v3
	s_delay_alu instid0(VALU_DEP_1) | instskip(NEXT) | instid1(VALU_DEP_1)
	v_and_b32_e32 v7, 0xffff, v6
	v_and_or_b32 v3, 0xffff0000, v3, v7
	ds_bpermute_b32 v3, v5, v3
	v_cndmask_b32_e64 v5, 0, 1, vcc_lo
	v_cmp_ne_u32_e32 vcc_lo, 31, v4
	s_delay_alu instid0(VALU_DEP_2) | instskip(NEXT) | instid1(VALU_DEP_1)
	v_lshlrev_b32_e32 v5, 1, v5
	v_add_lshl_u32 v5, v5, v4, 2
	v_add_co_ci_u32_e32 v4, vcc_lo, 0, v4, vcc_lo
	v_cmp_eq_u32_e32 vcc_lo, 0, v0
	s_delay_alu instid0(VALU_DEP_2) | instskip(SKIP_2) | instid1(VALU_DEP_1)
	v_lshlrev_b32_e32 v4, 2, v4
	s_waitcnt lgkmcnt(0)
	v_add_f16_e32 v6, v6, v3
	v_and_b32_e32 v7, 0xffff, v6
	s_delay_alu instid0(VALU_DEP_1) | instskip(SKIP_3) | instid1(VALU_DEP_1)
	v_and_or_b32 v3, 0xffff0000, v3, v7
	ds_bpermute_b32 v5, v5, v3
	s_waitcnt lgkmcnt(0)
	v_add_f16_e32 v3, v6, v5
	v_and_b32_e32 v6, 0xffff, v3
	s_delay_alu instid0(VALU_DEP_1)
	v_and_or_b32 v5, 0xffff0000, v5, v6
	ds_bpermute_b32 v4, v4, v5
	s_and_b32 exec_lo, exec_lo, vcc_lo
	s_cbranch_execz .LBB300_7
; %bb.6:
	v_lshlrev_b64 v[0:1], 2, v[1:2]
	s_waitcnt lgkmcnt(0)
	v_add_f16_e32 v2, v3, v4
	s_delay_alu instid0(VALU_DEP_1) | instskip(NEXT) | instid1(VALU_DEP_3)
	v_cvt_f32_f16_e32 v2, v2
	v_add_co_u32 v0, vcc_lo, s8, v0
	s_delay_alu instid0(VALU_DEP_4)
	v_add_co_ci_u32_e32 v1, vcc_lo, s9, v1, vcc_lo
	global_store_b32 v[0:1], v2, off
.LBB300_7:
	s_nop 0
	s_sendmsg sendmsg(MSG_DEALLOC_VGPRS)
	s_endpgm
	.section	.rodata,"a",@progbits
	.p2align	6, 0x0
	.amdhsa_kernel _ZL28rocblas_dot_batched_4_kernelIlLi32ELi4ELb1EDF16_fPKPKDF16_EviT5_lT_lS4_lS5_liPT4_
		.amdhsa_group_segment_fixed_size 0
		.amdhsa_private_segment_fixed_size 0
		.amdhsa_kernarg_size 88
		.amdhsa_user_sgpr_count 15
		.amdhsa_user_sgpr_dispatch_ptr 0
		.amdhsa_user_sgpr_queue_ptr 0
		.amdhsa_user_sgpr_kernarg_segment_ptr 1
		.amdhsa_user_sgpr_dispatch_id 0
		.amdhsa_user_sgpr_private_segment_size 0
		.amdhsa_wavefront_size32 1
		.amdhsa_uses_dynamic_stack 0
		.amdhsa_enable_private_segment 0
		.amdhsa_system_sgpr_workgroup_id_x 1
		.amdhsa_system_sgpr_workgroup_id_y 0
		.amdhsa_system_sgpr_workgroup_id_z 0
		.amdhsa_system_sgpr_workgroup_info 0
		.amdhsa_system_vgpr_workitem_id 1
		.amdhsa_next_free_vgpr 14
		.amdhsa_next_free_sgpr 16
		.amdhsa_reserve_vcc 1
		.amdhsa_float_round_mode_32 0
		.amdhsa_float_round_mode_16_64 0
		.amdhsa_float_denorm_mode_32 3
		.amdhsa_float_denorm_mode_16_64 3
		.amdhsa_dx10_clamp 1
		.amdhsa_ieee_mode 1
		.amdhsa_fp16_overflow 0
		.amdhsa_workgroup_processor_mode 1
		.amdhsa_memory_ordered 1
		.amdhsa_forward_progress 0
		.amdhsa_shared_vgpr_count 0
		.amdhsa_exception_fp_ieee_invalid_op 0
		.amdhsa_exception_fp_denorm_src 0
		.amdhsa_exception_fp_ieee_div_zero 0
		.amdhsa_exception_fp_ieee_overflow 0
		.amdhsa_exception_fp_ieee_underflow 0
		.amdhsa_exception_fp_ieee_inexact 0
		.amdhsa_exception_int_div_zero 0
	.end_amdhsa_kernel
	.section	.text._ZL28rocblas_dot_batched_4_kernelIlLi32ELi4ELb1EDF16_fPKPKDF16_EviT5_lT_lS4_lS5_liPT4_,"axG",@progbits,_ZL28rocblas_dot_batched_4_kernelIlLi32ELi4ELb1EDF16_fPKPKDF16_EviT5_lT_lS4_lS5_liPT4_,comdat
.Lfunc_end300:
	.size	_ZL28rocblas_dot_batched_4_kernelIlLi32ELi4ELb1EDF16_fPKPKDF16_EviT5_lT_lS4_lS5_liPT4_, .Lfunc_end300-_ZL28rocblas_dot_batched_4_kernelIlLi32ELi4ELb1EDF16_fPKPKDF16_EviT5_lT_lS4_lS5_liPT4_
                                        ; -- End function
	.section	.AMDGPU.csdata,"",@progbits
; Kernel info:
; codeLenInByte = 856
; NumSgprs: 18
; NumVgprs: 14
; ScratchSize: 0
; MemoryBound: 0
; FloatMode: 240
; IeeeMode: 1
; LDSByteSize: 0 bytes/workgroup (compile time only)
; SGPRBlocks: 2
; VGPRBlocks: 1
; NumSGPRsForWavesPerEU: 18
; NumVGPRsForWavesPerEU: 14
; Occupancy: 16
; WaveLimiterHint : 0
; COMPUTE_PGM_RSRC2:SCRATCH_EN: 0
; COMPUTE_PGM_RSRC2:USER_SGPR: 15
; COMPUTE_PGM_RSRC2:TRAP_HANDLER: 0
; COMPUTE_PGM_RSRC2:TGID_X_EN: 1
; COMPUTE_PGM_RSRC2:TGID_Y_EN: 0
; COMPUTE_PGM_RSRC2:TGID_Z_EN: 0
; COMPUTE_PGM_RSRC2:TIDIG_COMP_CNT: 1
	.section	.text._ZL28rocblas_dot_batched_4_kernelIlLi64ELi4ELb1EDF16_fPKPKDF16_EviT5_lT_lS4_lS5_liPT4_,"axG",@progbits,_ZL28rocblas_dot_batched_4_kernelIlLi64ELi4ELb1EDF16_fPKPKDF16_EviT5_lT_lS4_lS5_liPT4_,comdat
	.globl	_ZL28rocblas_dot_batched_4_kernelIlLi64ELi4ELb1EDF16_fPKPKDF16_EviT5_lT_lS4_lS5_liPT4_ ; -- Begin function _ZL28rocblas_dot_batched_4_kernelIlLi64ELi4ELb1EDF16_fPKPKDF16_EviT5_lT_lS4_lS5_liPT4_
	.p2align	8
	.type	_ZL28rocblas_dot_batched_4_kernelIlLi64ELi4ELb1EDF16_fPKPKDF16_EviT5_lT_lS4_lS5_liPT4_,@function
_ZL28rocblas_dot_batched_4_kernelIlLi64ELi4ELb1EDF16_fPKPKDF16_EviT5_lT_lS4_lS5_liPT4_: ; @_ZL28rocblas_dot_batched_4_kernelIlLi64ELi4ELb1EDF16_fPKPKDF16_EviT5_lT_lS4_lS5_liPT4_
; %bb.0:
	s_load_b32 s2, s[0:1], 0x48
	v_bfe_u32 v1, v0, 10, 10
	s_delay_alu instid0(VALU_DEP_1) | instskip(SKIP_1) | instid1(VALU_DEP_1)
	v_lshl_add_u32 v1, s15, 2, v1
	s_waitcnt lgkmcnt(0)
	v_cmp_gt_u32_e32 vcc_lo, s2, v1
	s_and_saveexec_b32 s2, vcc_lo
	s_cbranch_execz .LBB301_7
; %bb.1:
	s_clause 0x1
	s_load_b32 s10, s[0:1], 0x0
	s_load_b64 s[8:9], s[0:1], 0x50
	v_mov_b32_e32 v2, 0
	v_and_b32_e32 v0, 0x3ff, v0
	s_mov_b32 s11, exec_lo
	s_delay_alu instid0(VALU_DEP_2) | instskip(SKIP_1) | instid1(VALU_DEP_2)
	v_mov_b32_e32 v7, v2
	s_waitcnt lgkmcnt(0)
	v_cmpx_gt_i32_e64 s10, v0
	s_cbranch_execz .LBB301_5
; %bb.2:
	s_clause 0x1
	s_load_b64 s[12:13], s[0:1], 0x8
	s_load_b64 s[14:15], s[0:1], 0x28
	v_lshlrev_b64 v[3:4], 3, v[1:2]
	s_clause 0x1
	s_load_b128 s[4:7], s[0:1], 0x10
	s_load_b128 s[0:3], s[0:1], 0x30
	s_waitcnt lgkmcnt(0)
	s_delay_alu instid0(VALU_DEP_1)
	v_add_co_u32 v5, vcc_lo, s12, v3
	v_add_co_ci_u32_e32 v6, vcc_lo, s13, v4, vcc_lo
	v_add_co_u32 v3, vcc_lo, s14, v3
	v_add_co_ci_u32_e32 v4, vcc_lo, s15, v4, vcc_lo
	v_mad_u64_u32 v[10:11], null, s2, v0, 0
	global_load_b64 v[5:6], v[5:6], off
	global_load_b64 v[8:9], v[3:4], off
	v_mad_u64_u32 v[3:4], null, s6, v0, 0
	s_lshl_b64 s[4:5], s[4:5], 1
	s_lshl_b64 s[0:1], s[0:1], 1
	v_mov_b32_e32 v7, v11
	s_waitcnt vmcnt(1)
	s_delay_alu instid0(VALU_DEP_2) | instskip(SKIP_1) | instid1(VALU_DEP_2)
	v_mad_u64_u32 v[11:12], null, s7, v0, v[4:5]
	s_waitcnt vmcnt(0)
	v_mad_u64_u32 v[12:13], null, s3, v0, v[7:8]
	v_mov_b32_e32 v7, 0
	s_lshl_b64 s[2:3], s[2:3], 7
	s_delay_alu instid0(VALU_DEP_2) | instskip(NEXT) | instid1(VALU_DEP_1)
	v_dual_mov_b32 v4, v11 :: v_dual_mov_b32 v11, v12
	v_lshlrev_b64 v[3:4], 1, v[3:4]
	s_delay_alu instid0(VALU_DEP_2) | instskip(NEXT) | instid1(VALU_DEP_2)
	v_lshlrev_b64 v[10:11], 1, v[10:11]
	v_add_co_u32 v3, vcc_lo, v3, s4
	s_delay_alu instid0(VALU_DEP_3) | instskip(NEXT) | instid1(VALU_DEP_3)
	v_add_co_ci_u32_e32 v4, vcc_lo, s5, v4, vcc_lo
	v_add_co_u32 v10, vcc_lo, v10, s0
	s_delay_alu instid0(VALU_DEP_4) | instskip(NEXT) | instid1(VALU_DEP_4)
	v_add_co_ci_u32_e32 v11, vcc_lo, s1, v11, vcc_lo
	v_add_co_u32 v3, vcc_lo, v5, v3
	s_delay_alu instid0(VALU_DEP_4) | instskip(NEXT) | instid1(VALU_DEP_4)
	v_add_co_ci_u32_e32 v4, vcc_lo, v6, v4, vcc_lo
	v_add_co_u32 v5, vcc_lo, v8, v10
	s_delay_alu instid0(VALU_DEP_4)
	v_add_co_ci_u32_e32 v6, vcc_lo, v9, v11, vcc_lo
	v_mov_b32_e32 v8, v0
	s_lshl_b64 s[4:5], s[6:7], 7
	s_mov_b32 s1, 0
	.p2align	6
.LBB301_3:                              ; =>This Inner Loop Header: Depth=1
	global_load_u16 v9, v[3:4], off
	global_load_u16 v10, v[5:6], off
	v_add_nc_u32_e32 v8, 64, v8
	v_add_co_u32 v3, vcc_lo, v3, s4
	v_add_co_ci_u32_e32 v4, vcc_lo, s5, v4, vcc_lo
	v_add_co_u32 v5, vcc_lo, v5, s2
	s_delay_alu instid0(VALU_DEP_4) | instskip(SKIP_1) | instid1(VALU_DEP_2)
	v_cmp_le_i32_e64 s0, s10, v8
	v_add_co_ci_u32_e32 v6, vcc_lo, s3, v6, vcc_lo
	s_or_b32 s1, s0, s1
	s_waitcnt vmcnt(0)
	v_fmac_f16_e32 v7, v9, v10
	s_and_not1_b32 exec_lo, exec_lo, s1
	s_cbranch_execnz .LBB301_3
; %bb.4:
	s_or_b32 exec_lo, exec_lo, s1
.LBB301_5:
	s_delay_alu instid0(SALU_CYCLE_1)
	s_or_b32 exec_lo, exec_lo, s11
	v_mbcnt_lo_u32_b32 v4, -1, 0
	v_and_b32_e32 v3, 0xffff, v7
	s_barrier
	buffer_gl0_inv
	v_lshlrev_b32_e32 v5, 2, v4
	v_cmp_gt_u32_e32 vcc_lo, 16, v4
	ds_bpermute_b32 v3, v5, v3
	v_cndmask_b32_e64 v5, 0, 1, vcc_lo
	v_cmp_gt_u32_e32 vcc_lo, 24, v4
	s_delay_alu instid0(VALU_DEP_2) | instskip(NEXT) | instid1(VALU_DEP_1)
	v_lshlrev_b32_e32 v5, 4, v5
	v_add_lshl_u32 v5, v5, v4, 2
	s_waitcnt lgkmcnt(0)
	v_add_f16_e32 v6, v7, v3
	s_delay_alu instid0(VALU_DEP_1) | instskip(NEXT) | instid1(VALU_DEP_1)
	v_and_b32_e32 v7, 0xffff, v6
	v_and_or_b32 v3, 0xffff0000, v3, v7
	ds_bpermute_b32 v3, v5, v3
	v_cndmask_b32_e64 v5, 0, 1, vcc_lo
	v_cmp_gt_u32_e32 vcc_lo, 28, v4
	s_delay_alu instid0(VALU_DEP_2) | instskip(NEXT) | instid1(VALU_DEP_1)
	v_lshlrev_b32_e32 v5, 3, v5
	v_add_lshl_u32 v5, v5, v4, 2
	s_waitcnt lgkmcnt(0)
	v_add_f16_e32 v6, v6, v3
	s_delay_alu instid0(VALU_DEP_1) | instskip(NEXT) | instid1(VALU_DEP_1)
	v_and_b32_e32 v7, 0xffff, v6
	v_and_or_b32 v3, 0xffff0000, v3, v7
	;; [unrolled: 11-line block ×3, first 2 shown]
	ds_bpermute_b32 v3, v5, v3
	v_cndmask_b32_e64 v5, 0, 1, vcc_lo
	v_cmp_ne_u32_e32 vcc_lo, 31, v4
	s_delay_alu instid0(VALU_DEP_2) | instskip(NEXT) | instid1(VALU_DEP_1)
	v_lshlrev_b32_e32 v5, 1, v5
	v_add_lshl_u32 v5, v5, v4, 2
	v_add_co_ci_u32_e32 v4, vcc_lo, 0, v4, vcc_lo
	v_cmp_eq_u32_e32 vcc_lo, 0, v0
	s_delay_alu instid0(VALU_DEP_2) | instskip(SKIP_2) | instid1(VALU_DEP_1)
	v_lshlrev_b32_e32 v4, 2, v4
	s_waitcnt lgkmcnt(0)
	v_add_f16_e32 v6, v6, v3
	v_and_b32_e32 v7, 0xffff, v6
	s_delay_alu instid0(VALU_DEP_1) | instskip(SKIP_3) | instid1(VALU_DEP_1)
	v_and_or_b32 v3, 0xffff0000, v3, v7
	ds_bpermute_b32 v5, v5, v3
	s_waitcnt lgkmcnt(0)
	v_add_f16_e32 v3, v6, v5
	v_and_b32_e32 v6, 0xffff, v3
	s_delay_alu instid0(VALU_DEP_1)
	v_and_or_b32 v5, 0xffff0000, v5, v6
	ds_bpermute_b32 v4, v4, v5
	s_and_b32 exec_lo, exec_lo, vcc_lo
	s_cbranch_execz .LBB301_7
; %bb.6:
	v_lshlrev_b64 v[0:1], 2, v[1:2]
	s_waitcnt lgkmcnt(0)
	v_add_f16_e32 v2, v3, v4
	s_delay_alu instid0(VALU_DEP_1) | instskip(NEXT) | instid1(VALU_DEP_3)
	v_cvt_f32_f16_e32 v2, v2
	v_add_co_u32 v0, vcc_lo, s8, v0
	s_delay_alu instid0(VALU_DEP_4)
	v_add_co_ci_u32_e32 v1, vcc_lo, s9, v1, vcc_lo
	global_store_b32 v[0:1], v2, off
.LBB301_7:
	s_nop 0
	s_sendmsg sendmsg(MSG_DEALLOC_VGPRS)
	s_endpgm
	.section	.rodata,"a",@progbits
	.p2align	6, 0x0
	.amdhsa_kernel _ZL28rocblas_dot_batched_4_kernelIlLi64ELi4ELb1EDF16_fPKPKDF16_EviT5_lT_lS4_lS5_liPT4_
		.amdhsa_group_segment_fixed_size 0
		.amdhsa_private_segment_fixed_size 0
		.amdhsa_kernarg_size 88
		.amdhsa_user_sgpr_count 15
		.amdhsa_user_sgpr_dispatch_ptr 0
		.amdhsa_user_sgpr_queue_ptr 0
		.amdhsa_user_sgpr_kernarg_segment_ptr 1
		.amdhsa_user_sgpr_dispatch_id 0
		.amdhsa_user_sgpr_private_segment_size 0
		.amdhsa_wavefront_size32 1
		.amdhsa_uses_dynamic_stack 0
		.amdhsa_enable_private_segment 0
		.amdhsa_system_sgpr_workgroup_id_x 1
		.amdhsa_system_sgpr_workgroup_id_y 0
		.amdhsa_system_sgpr_workgroup_id_z 0
		.amdhsa_system_sgpr_workgroup_info 0
		.amdhsa_system_vgpr_workitem_id 1
		.amdhsa_next_free_vgpr 14
		.amdhsa_next_free_sgpr 16
		.amdhsa_reserve_vcc 1
		.amdhsa_float_round_mode_32 0
		.amdhsa_float_round_mode_16_64 0
		.amdhsa_float_denorm_mode_32 3
		.amdhsa_float_denorm_mode_16_64 3
		.amdhsa_dx10_clamp 1
		.amdhsa_ieee_mode 1
		.amdhsa_fp16_overflow 0
		.amdhsa_workgroup_processor_mode 1
		.amdhsa_memory_ordered 1
		.amdhsa_forward_progress 0
		.amdhsa_shared_vgpr_count 0
		.amdhsa_exception_fp_ieee_invalid_op 0
		.amdhsa_exception_fp_denorm_src 0
		.amdhsa_exception_fp_ieee_div_zero 0
		.amdhsa_exception_fp_ieee_overflow 0
		.amdhsa_exception_fp_ieee_underflow 0
		.amdhsa_exception_fp_ieee_inexact 0
		.amdhsa_exception_int_div_zero 0
	.end_amdhsa_kernel
	.section	.text._ZL28rocblas_dot_batched_4_kernelIlLi64ELi4ELb1EDF16_fPKPKDF16_EviT5_lT_lS4_lS5_liPT4_,"axG",@progbits,_ZL28rocblas_dot_batched_4_kernelIlLi64ELi4ELb1EDF16_fPKPKDF16_EviT5_lT_lS4_lS5_liPT4_,comdat
.Lfunc_end301:
	.size	_ZL28rocblas_dot_batched_4_kernelIlLi64ELi4ELb1EDF16_fPKPKDF16_EviT5_lT_lS4_lS5_liPT4_, .Lfunc_end301-_ZL28rocblas_dot_batched_4_kernelIlLi64ELi4ELb1EDF16_fPKPKDF16_EviT5_lT_lS4_lS5_liPT4_
                                        ; -- End function
	.section	.AMDGPU.csdata,"",@progbits
; Kernel info:
; codeLenInByte = 900
; NumSgprs: 18
; NumVgprs: 14
; ScratchSize: 0
; MemoryBound: 0
; FloatMode: 240
; IeeeMode: 1
; LDSByteSize: 0 bytes/workgroup (compile time only)
; SGPRBlocks: 2
; VGPRBlocks: 1
; NumSGPRsForWavesPerEU: 18
; NumVGPRsForWavesPerEU: 14
; Occupancy: 16
; WaveLimiterHint : 0
; COMPUTE_PGM_RSRC2:SCRATCH_EN: 0
; COMPUTE_PGM_RSRC2:USER_SGPR: 15
; COMPUTE_PGM_RSRC2:TRAP_HANDLER: 0
; COMPUTE_PGM_RSRC2:TGID_X_EN: 1
; COMPUTE_PGM_RSRC2:TGID_Y_EN: 0
; COMPUTE_PGM_RSRC2:TGID_Z_EN: 0
; COMPUTE_PGM_RSRC2:TIDIG_COMP_CNT: 1
	.section	.text._ZL26rocblas_dot_kernel_inc1by2ILb1ELi1024ELi32ELb1EfPKPKDF16_DF16_EviT4_llS4_lliPT5_PT3_,"axG",@progbits,_ZL26rocblas_dot_kernel_inc1by2ILb1ELi1024ELi32ELb1EfPKPKDF16_DF16_EviT4_llS4_lliPT5_PT3_,comdat
	.globl	_ZL26rocblas_dot_kernel_inc1by2ILb1ELi1024ELi32ELb1EfPKPKDF16_DF16_EviT4_llS4_lliPT5_PT3_ ; -- Begin function _ZL26rocblas_dot_kernel_inc1by2ILb1ELi1024ELi32ELb1EfPKPKDF16_DF16_EviT4_llS4_lliPT5_PT3_
	.p2align	8
	.type	_ZL26rocblas_dot_kernel_inc1by2ILb1ELi1024ELi32ELb1EfPKPKDF16_DF16_EviT4_llS4_lliPT5_PT3_,@function
_ZL26rocblas_dot_kernel_inc1by2ILb1ELi1024ELi32ELb1EfPKPKDF16_DF16_EviT4_llS4_lliPT5_PT3_: ; @_ZL26rocblas_dot_kernel_inc1by2ILb1ELi1024ELi32ELb1EfPKPKDF16_DF16_EviT4_llS4_lliPT5_PT3_
; %bb.0:
	s_clause 0x1
	s_load_b128 s[8:11], s[0:1], 0x8
	s_load_b128 s[4:7], s[0:1], 0x20
	s_mov_b32 s2, s15
	s_mov_b32 s3, 0
	s_clause 0x1
	s_load_b32 s14, s[0:1], 0x0
	s_load_b64 s[12:13], s[0:1], 0x48
	s_lshl_b64 s[16:17], s[2:3], 3
	v_dual_mov_b32 v5, 0 :: v_dual_lshlrev_b32 v6, 1, v0
	s_waitcnt lgkmcnt(0)
	s_add_u32 s0, s8, s16
	s_addc_u32 s1, s9, s17
	s_add_u32 s4, s4, s16
	s_addc_u32 s5, s5, s17
	s_load_b64 s[8:9], s[0:1], 0x0
	s_load_b64 s[4:5], s[4:5], 0x0
	s_add_i32 s0, s14, -1
	s_mov_b32 s1, exec_lo
	v_cmpx_gt_i32_e64 s0, v6
	s_cbranch_execz .LBB302_4
; %bb.1:
	v_lshlrev_b32_e32 v3, 2, v0
	s_lshl_b64 s[16:17], s[6:7], 1
	v_mov_b32_e32 v5, 0
	s_waitcnt lgkmcnt(0)
	s_add_u32 s15, s4, s16
	s_addc_u32 s18, s5, s17
	s_lshl_b64 s[16:17], s[10:11], 1
	v_add_co_u32 v1, s15, s15, v3
	s_delay_alu instid0(VALU_DEP_1) | instskip(SKIP_3) | instid1(VALU_DEP_1)
	v_add_co_ci_u32_e64 v2, null, s18, 0, s15
	s_add_u32 s15, s8, s16
	s_addc_u32 s16, s9, s17
	v_add_co_u32 v3, s15, s15, v3
	v_add_co_ci_u32_e64 v4, null, s16, 0, s15
	s_mov_b32 s15, s3
	s_mov_b32 s16, s3
	.p2align	6
.LBB302_2:                              ; =>This Inner Loop Header: Depth=1
	global_load_b32 v7, v[1:2], off
	global_load_b32 v8, v[3:4], off
	v_add_co_u32 v1, vcc_lo, 0x1000, v1
	v_add_nc_u32_e32 v6, 0x800, v6
	v_add_co_ci_u32_e32 v2, vcc_lo, 0, v2, vcc_lo
	v_add_co_u32 v3, vcc_lo, 0x1000, v3
	v_add_co_ci_u32_e32 v4, vcc_lo, 0, v4, vcc_lo
	s_add_i32 s17, s16, 1
	v_cmp_le_i32_e32 vcc_lo, s0, v6
	s_cmp_gt_u32 s16, 30
	s_cselect_b32 s16, -1, 0
	s_delay_alu instid0(SALU_CYCLE_1) | instskip(NEXT) | instid1(SALU_CYCLE_1)
	s_or_b32 s16, s16, vcc_lo
	s_and_b32 s16, exec_lo, s16
	s_delay_alu instid0(SALU_CYCLE_1) | instskip(SKIP_3) | instid1(VALU_DEP_1)
	s_or_b32 s15, s16, s15
	s_mov_b32 s16, s17
	s_waitcnt vmcnt(0)
	v_pk_mul_f16 v7, v7, v8
	v_add_f16_e32 v5, v5, v7
	v_lshrrev_b32_e32 v7, 16, v7
	s_delay_alu instid0(VALU_DEP_1)
	v_add_f16_e32 v5, v5, v7
	s_and_not1_b32 exec_lo, exec_lo, s15
	s_cbranch_execnz .LBB302_2
; %bb.3:
	s_or_b32 exec_lo, exec_lo, s15
.LBB302_4:
	s_delay_alu instid0(SALU_CYCLE_1) | instskip(SKIP_3) | instid1(SALU_CYCLE_1)
	s_or_b32 exec_lo, exec_lo, s1
	v_cmp_eq_u32_e32 vcc_lo, s0, v6
	s_bitcmp1_b32 s14, 0
	s_cselect_b32 s1, -1, 0
	s_and_b32 s1, s1, vcc_lo
	s_delay_alu instid0(SALU_CYCLE_1)
	s_and_saveexec_b32 s14, s1
	s_cbranch_execz .LBB302_6
; %bb.5:
	s_lshl_b64 s[10:11], s[10:11], 1
	s_mov_b32 s1, 0
	s_waitcnt lgkmcnt(0)
	s_add_u32 s8, s8, s10
	s_addc_u32 s9, s9, s11
	s_lshl_b64 s[6:7], s[6:7], 1
	v_mov_b32_e32 v1, 0
	s_add_u32 s6, s4, s6
	s_addc_u32 s7, s5, s7
	s_lshl_b64 s[0:1], s[0:1], 1
	s_delay_alu instid0(SALU_CYCLE_1)
	s_add_u32 s4, s8, s0
	s_addc_u32 s5, s9, s1
	s_add_u32 s0, s6, s0
	s_addc_u32 s1, s7, s1
	s_clause 0x1
	global_load_u16 v2, v1, s[0:1]
	global_load_u16 v1, v1, s[4:5]
	s_waitcnt vmcnt(0)
	v_fmac_f16_e32 v5, v2, v1
.LBB302_6:
	s_or_b32 exec_lo, exec_lo, s14
	v_and_b32_e32 v6, 31, v0
	v_cmp_gt_u32_e32 vcc_lo, 32, v0
	s_delay_alu instid0(VALU_DEP_2)
	v_lshlrev_b32_e32 v1, 1, v6
	s_and_saveexec_b32 s0, vcc_lo
	s_cbranch_execz .LBB302_8
; %bb.7:
	v_mov_b32_e32 v2, 0
	ds_store_b16 v1, v2
.LBB302_8:
	s_or_b32 exec_lo, exec_lo, s0
	v_mbcnt_lo_u32_b32 v7, -1, 0
	v_and_b32_e32 v3, 0xffff, v5
	s_mov_b32 s1, exec_lo
	s_waitcnt lgkmcnt(0)
	s_barrier
	v_cmp_gt_u32_e64 s0, 16, v7
	buffer_gl0_inv
	v_cndmask_b32_e64 v2, 0, 1, s0
	v_cmp_gt_u32_e64 s0, 24, v7
	s_delay_alu instid0(VALU_DEP_2) | instskip(NEXT) | instid1(VALU_DEP_1)
	v_lshlrev_b32_e32 v2, 4, v2
	v_add_lshl_u32 v2, v2, v7, 2
	ds_bpermute_b32 v4, v2, v3
	v_cndmask_b32_e64 v3, 0, 1, s0
	v_cmp_gt_u32_e64 s0, 28, v7
	s_delay_alu instid0(VALU_DEP_2) | instskip(NEXT) | instid1(VALU_DEP_1)
	v_lshlrev_b32_e32 v3, 3, v3
	v_add_lshl_u32 v3, v3, v7, 2
	s_waitcnt lgkmcnt(0)
	v_add_f16_e32 v5, v5, v4
	s_delay_alu instid0(VALU_DEP_1) | instskip(NEXT) | instid1(VALU_DEP_1)
	v_and_b32_e32 v8, 0xffff, v5
	v_and_or_b32 v4, 0xffff0000, v4, v8
	ds_bpermute_b32 v8, v3, v4
	v_cndmask_b32_e64 v4, 0, 1, s0
	v_cmp_gt_u32_e64 s0, 30, v7
	s_delay_alu instid0(VALU_DEP_2) | instskip(NEXT) | instid1(VALU_DEP_1)
	v_lshlrev_b32_e32 v4, 2, v4
	v_add_lshl_u32 v4, v4, v7, 2
	s_waitcnt lgkmcnt(0)
	v_add_f16_e32 v5, v5, v8
	s_delay_alu instid0(VALU_DEP_1) | instskip(NEXT) | instid1(VALU_DEP_1)
	v_and_b32_e32 v9, 0xffff, v5
	v_and_or_b32 v8, 0xffff0000, v8, v9
	v_cndmask_b32_e64 v9, 0, 1, s0
	v_cmp_ne_u32_e64 s0, 31, v7
	ds_bpermute_b32 v8, v4, v8
	s_waitcnt lgkmcnt(0)
	v_add_f16_e32 v10, v5, v8
	v_lshlrev_b32_e32 v5, 1, v9
	s_delay_alu instid0(VALU_DEP_2) | instskip(NEXT) | instid1(VALU_DEP_2)
	v_and_b32_e32 v9, 0xffff, v10
	v_add_lshl_u32 v5, v5, v7, 2
	v_add_co_ci_u32_e64 v7, s0, 0, v7, s0
	s_delay_alu instid0(VALU_DEP_3) | instskip(NEXT) | instid1(VALU_DEP_2)
	v_and_or_b32 v8, 0xffff0000, v8, v9
	v_lshlrev_b32_e32 v7, 2, v7
	ds_bpermute_b32 v9, v5, v8
	s_waitcnt lgkmcnt(0)
	v_add_f16_e32 v8, v10, v9
	s_delay_alu instid0(VALU_DEP_1) | instskip(NEXT) | instid1(VALU_DEP_1)
	v_and_b32_e32 v10, 0xffff, v8
	v_and_or_b32 v9, 0xffff0000, v9, v10
	ds_bpermute_b32 v9, v7, v9
	v_cmpx_eq_u32_e32 0, v6
	s_cbranch_execz .LBB302_10
; %bb.9:
	v_lshrrev_b32_e32 v6, 4, v0
	s_waitcnt lgkmcnt(0)
	v_add_f16_e32 v8, v8, v9
	s_delay_alu instid0(VALU_DEP_2)
	v_and_b32_e32 v6, 62, v6
	ds_store_b16 v6, v8
.LBB302_10:
	s_or_b32 exec_lo, exec_lo, s1
	v_mov_b32_e32 v6, 0
	s_waitcnt lgkmcnt(0)
	s_barrier
	buffer_gl0_inv
	s_and_saveexec_b32 s0, vcc_lo
	s_cbranch_execz .LBB302_12
; %bb.11:
	ds_load_u16 v6, v1
.LBB302_12:
	s_or_b32 exec_lo, exec_lo, s0
	s_and_saveexec_b32 s0, vcc_lo
	s_cbranch_execz .LBB302_14
; %bb.13:
	s_waitcnt lgkmcnt(0)
	v_and_b32_e32 v1, 0xffff, v6
	ds_bpermute_b32 v1, v2, v1
	s_waitcnt lgkmcnt(0)
	v_add_f16_e32 v2, v6, v1
	s_delay_alu instid0(VALU_DEP_1) | instskip(NEXT) | instid1(VALU_DEP_1)
	v_and_b32_e32 v6, 0xffff, v2
	v_and_or_b32 v1, 0xffff0000, v1, v6
	ds_bpermute_b32 v1, v3, v1
	s_waitcnt lgkmcnt(0)
	v_add_f16_e32 v2, v2, v1
	s_delay_alu instid0(VALU_DEP_1) | instskip(NEXT) | instid1(VALU_DEP_1)
	v_and_b32_e32 v3, 0xffff, v2
	v_and_or_b32 v1, 0xffff0000, v1, v3
	;; [unrolled: 6-line block ×4, first 2 shown]
	ds_bpermute_b32 v1, v7, v1
	s_waitcnt lgkmcnt(0)
	v_add_f16_e32 v6, v2, v1
.LBB302_14:
	s_or_b32 exec_lo, exec_lo, s0
	s_delay_alu instid0(SALU_CYCLE_1)
	s_mov_b32 s0, exec_lo
	v_cmpx_eq_u32_e32 0, v0
	s_cbranch_execz .LBB302_16
; %bb.15:
	s_waitcnt lgkmcnt(0)
	v_cvt_f32_f16_e32 v0, v6
	s_lshl_b64 s[0:1], s[2:3], 2
	v_mov_b32_e32 v1, 0
	s_add_u32 s0, s12, s0
	s_addc_u32 s1, s13, s1
	global_store_b32 v1, v0, s[0:1]
.LBB302_16:
	s_nop 0
	s_sendmsg sendmsg(MSG_DEALLOC_VGPRS)
	s_endpgm
	.section	.rodata,"a",@progbits
	.p2align	6, 0x0
	.amdhsa_kernel _ZL26rocblas_dot_kernel_inc1by2ILb1ELi1024ELi32ELb1EfPKPKDF16_DF16_EviT4_llS4_lliPT5_PT3_
		.amdhsa_group_segment_fixed_size 64
		.amdhsa_private_segment_fixed_size 0
		.amdhsa_kernarg_size 80
		.amdhsa_user_sgpr_count 14
		.amdhsa_user_sgpr_dispatch_ptr 0
		.amdhsa_user_sgpr_queue_ptr 0
		.amdhsa_user_sgpr_kernarg_segment_ptr 1
		.amdhsa_user_sgpr_dispatch_id 0
		.amdhsa_user_sgpr_private_segment_size 0
		.amdhsa_wavefront_size32 1
		.amdhsa_uses_dynamic_stack 0
		.amdhsa_enable_private_segment 0
		.amdhsa_system_sgpr_workgroup_id_x 1
		.amdhsa_system_sgpr_workgroup_id_y 0
		.amdhsa_system_sgpr_workgroup_id_z 1
		.amdhsa_system_sgpr_workgroup_info 0
		.amdhsa_system_vgpr_workitem_id 0
		.amdhsa_next_free_vgpr 11
		.amdhsa_next_free_sgpr 19
		.amdhsa_reserve_vcc 1
		.amdhsa_float_round_mode_32 0
		.amdhsa_float_round_mode_16_64 0
		.amdhsa_float_denorm_mode_32 3
		.amdhsa_float_denorm_mode_16_64 3
		.amdhsa_dx10_clamp 1
		.amdhsa_ieee_mode 1
		.amdhsa_fp16_overflow 0
		.amdhsa_workgroup_processor_mode 1
		.amdhsa_memory_ordered 1
		.amdhsa_forward_progress 0
		.amdhsa_shared_vgpr_count 0
		.amdhsa_exception_fp_ieee_invalid_op 0
		.amdhsa_exception_fp_denorm_src 0
		.amdhsa_exception_fp_ieee_div_zero 0
		.amdhsa_exception_fp_ieee_overflow 0
		.amdhsa_exception_fp_ieee_underflow 0
		.amdhsa_exception_fp_ieee_inexact 0
		.amdhsa_exception_int_div_zero 0
	.end_amdhsa_kernel
	.section	.text._ZL26rocblas_dot_kernel_inc1by2ILb1ELi1024ELi32ELb1EfPKPKDF16_DF16_EviT4_llS4_lliPT5_PT3_,"axG",@progbits,_ZL26rocblas_dot_kernel_inc1by2ILb1ELi1024ELi32ELb1EfPKPKDF16_DF16_EviT4_llS4_lliPT5_PT3_,comdat
.Lfunc_end302:
	.size	_ZL26rocblas_dot_kernel_inc1by2ILb1ELi1024ELi32ELb1EfPKPKDF16_DF16_EviT4_llS4_lliPT5_PT3_, .Lfunc_end302-_ZL26rocblas_dot_kernel_inc1by2ILb1ELi1024ELi32ELb1EfPKPKDF16_DF16_EviT4_llS4_lliPT5_PT3_
                                        ; -- End function
	.section	.AMDGPU.csdata,"",@progbits
; Kernel info:
; codeLenInByte = 1192
; NumSgprs: 21
; NumVgprs: 11
; ScratchSize: 0
; MemoryBound: 0
; FloatMode: 240
; IeeeMode: 1
; LDSByteSize: 64 bytes/workgroup (compile time only)
; SGPRBlocks: 2
; VGPRBlocks: 1
; NumSGPRsForWavesPerEU: 21
; NumVGPRsForWavesPerEU: 11
; Occupancy: 16
; WaveLimiterHint : 1
; COMPUTE_PGM_RSRC2:SCRATCH_EN: 0
; COMPUTE_PGM_RSRC2:USER_SGPR: 14
; COMPUTE_PGM_RSRC2:TRAP_HANDLER: 0
; COMPUTE_PGM_RSRC2:TGID_X_EN: 1
; COMPUTE_PGM_RSRC2:TGID_Y_EN: 0
; COMPUTE_PGM_RSRC2:TGID_Z_EN: 1
; COMPUTE_PGM_RSRC2:TIDIG_COMP_CNT: 0
	.section	.text._ZL18rocblas_dot_kernelIlLb1ELi1024ELi32ELb1EfPKPKDF16_DF16_EviT5_lT_lS4_lS5_liPT6_PT4_,"axG",@progbits,_ZL18rocblas_dot_kernelIlLb1ELi1024ELi32ELb1EfPKPKDF16_DF16_EviT5_lT_lS4_lS5_liPT6_PT4_,comdat
	.globl	_ZL18rocblas_dot_kernelIlLb1ELi1024ELi32ELb1EfPKPKDF16_DF16_EviT5_lT_lS4_lS5_liPT6_PT4_ ; -- Begin function _ZL18rocblas_dot_kernelIlLb1ELi1024ELi32ELb1EfPKPKDF16_DF16_EviT5_lT_lS4_lS5_liPT6_PT4_
	.p2align	8
	.type	_ZL18rocblas_dot_kernelIlLb1ELi1024ELi32ELb1EfPKPKDF16_DF16_EviT5_lT_lS4_lS5_liPT6_PT4_,@function
_ZL18rocblas_dot_kernelIlLb1ELi1024ELi32ELb1EfPKPKDF16_DF16_EviT5_lT_lS4_lS5_liPT6_PT4_: ; @_ZL18rocblas_dot_kernelIlLb1ELi1024ELi32ELb1EfPKPKDF16_DF16_EviT5_lT_lS4_lS5_liPT6_PT4_
; %bb.0:
	s_clause 0x1
	s_load_b32 s14, s[0:1], 0x0
	s_load_b64 s[2:3], s[0:1], 0x58
	v_mov_b32_e32 v5, 0
	s_mov_b32 s12, s15
	s_mov_b32 s13, 0
	s_mov_b32 s15, exec_lo
	s_waitcnt lgkmcnt(0)
	v_cmpx_gt_i32_e64 s14, v0
	s_cbranch_execz .LBB303_4
; %bb.1:
	s_clause 0x4
	s_load_b64 s[16:17], s[0:1], 0x8
	s_load_b128 s[8:11], s[0:1], 0x10
	s_load_b128 s[4:7], s[0:1], 0x30
	s_load_b64 s[18:19], s[0:1], 0x28
	s_load_b32 s20, s[0:1], 0x60
	s_lshl_b64 s[0:1], s[12:13], 3
	s_waitcnt lgkmcnt(0)
	s_add_u32 s16, s16, s0
	v_mad_u64_u32 v[1:2], null, s10, v0, 0
	v_mad_u64_u32 v[3:4], null, s6, v0, 0
	s_addc_u32 s17, s17, s1
	s_add_u32 s18, s18, s0
	s_load_b64 s[16:17], s[16:17], 0x0
	s_addc_u32 s19, s19, s1
	s_lshl_b64 s[8:9], s[8:9], 1
	s_load_b64 s[18:19], s[18:19], 0x0
	s_delay_alu instid0(VALU_DEP_1) | instskip(SKIP_2) | instid1(SALU_CYCLE_1)
	v_mad_u64_u32 v[7:8], null, s11, v0, v[2:3]
	v_mov_b32_e32 v5, 0
	s_lshl_b32 s1, s20, 10
	s_mul_hi_u32 s0, s10, s1
	s_mul_i32 s11, s11, s1
	s_mul_i32 s20, s10, s1
	s_delay_alu instid0(VALU_DEP_2) | instskip(SKIP_3) | instid1(VALU_DEP_2)
	v_mov_b32_e32 v2, v7
	v_mad_u64_u32 v[8:9], null, s7, v0, v[4:5]
	s_mul_hi_u32 s23, s6, s1
	s_mul_i32 s22, s6, s1
	v_lshlrev_b64 v[1:2], 1, v[1:2]
	s_mul_i32 s7, s7, s1
	v_or_b32_e32 v6, s1, v0
	s_waitcnt lgkmcnt(0)
	s_add_u32 s16, s16, s8
	v_mov_b32_e32 v4, v8
	s_addc_u32 s17, s17, s9
	s_ashr_i32 s24, s1, 31
	s_lshl_b64 s[8:9], s[4:5], 1
	s_mul_i32 s4, s10, s24
	v_lshlrev_b64 v[3:4], 1, v[3:4]
	s_add_i32 s0, s0, s4
	v_add_co_u32 v1, vcc_lo, s16, v1
	s_add_i32 s21, s0, s11
	s_mul_i32 s0, s6, s24
	s_lshl_b64 s[4:5], s[20:21], 1
	s_add_u32 s6, s18, s8
	v_add_co_ci_u32_e32 v2, vcc_lo, s17, v2, vcc_lo
	s_addc_u32 s8, s19, s9
	v_add_co_u32 v3, vcc_lo, s6, v3
	s_add_i32 s0, s23, s0
	v_add_co_ci_u32_e32 v4, vcc_lo, s8, v4, vcc_lo
	s_add_i32 s23, s0, s7
	s_mov_b32 s8, s13
	s_lshl_b64 s[6:7], s[22:23], 1
	s_mov_b32 s9, s13
	.p2align	6
.LBB303_2:                              ; =>This Inner Loop Header: Depth=1
	global_load_u16 v7, v[3:4], off
	global_load_u16 v8, v[1:2], off
	v_add_co_u32 v1, s0, v1, s4
	s_delay_alu instid0(VALU_DEP_1)
	v_add_co_ci_u32_e64 v2, s0, s5, v2, s0
	s_add_i32 s10, s9, 1
	v_cmp_le_i32_e32 vcc_lo, s14, v6
	v_add_co_u32 v3, s0, v3, s6
	s_cmp_gt_u32 s9, 30
	v_add_co_ci_u32_e64 v4, s0, s7, v4, s0
	s_cselect_b32 s0, -1, 0
	v_add_nc_u32_e32 v6, s1, v6
	s_or_b32 s0, s0, vcc_lo
	s_mov_b32 s9, s10
	s_and_b32 s0, exec_lo, s0
	s_delay_alu instid0(SALU_CYCLE_1)
	s_or_b32 s8, s0, s8
	s_waitcnt vmcnt(0)
	v_fmac_f16_e32 v5, v7, v8
	s_and_not1_b32 exec_lo, exec_lo, s8
	s_cbranch_execnz .LBB303_2
; %bb.3:
	s_or_b32 exec_lo, exec_lo, s8
.LBB303_4:
	s_delay_alu instid0(SALU_CYCLE_1) | instskip(SKIP_2) | instid1(VALU_DEP_2)
	s_or_b32 exec_lo, exec_lo, s15
	v_and_b32_e32 v6, 31, v0
	v_cmp_gt_u32_e32 vcc_lo, 32, v0
	v_lshlrev_b32_e32 v1, 1, v6
	s_and_saveexec_b32 s0, vcc_lo
	s_cbranch_execz .LBB303_6
; %bb.5:
	v_mov_b32_e32 v2, 0
	ds_store_b16 v1, v2
.LBB303_6:
	s_or_b32 exec_lo, exec_lo, s0
	v_mbcnt_lo_u32_b32 v7, -1, 0
	v_and_b32_e32 v3, 0xffff, v5
	s_mov_b32 s1, exec_lo
	s_waitcnt lgkmcnt(0)
	s_barrier
	v_cmp_gt_u32_e64 s0, 16, v7
	buffer_gl0_inv
	v_cndmask_b32_e64 v2, 0, 1, s0
	v_cmp_gt_u32_e64 s0, 24, v7
	s_delay_alu instid0(VALU_DEP_2) | instskip(NEXT) | instid1(VALU_DEP_1)
	v_lshlrev_b32_e32 v2, 4, v2
	v_add_lshl_u32 v2, v2, v7, 2
	ds_bpermute_b32 v4, v2, v3
	v_cndmask_b32_e64 v3, 0, 1, s0
	v_cmp_gt_u32_e64 s0, 28, v7
	s_delay_alu instid0(VALU_DEP_2) | instskip(NEXT) | instid1(VALU_DEP_1)
	v_lshlrev_b32_e32 v3, 3, v3
	v_add_lshl_u32 v3, v3, v7, 2
	s_waitcnt lgkmcnt(0)
	v_add_f16_e32 v5, v5, v4
	s_delay_alu instid0(VALU_DEP_1) | instskip(NEXT) | instid1(VALU_DEP_1)
	v_and_b32_e32 v8, 0xffff, v5
	v_and_or_b32 v4, 0xffff0000, v4, v8
	ds_bpermute_b32 v8, v3, v4
	v_cndmask_b32_e64 v4, 0, 1, s0
	v_cmp_gt_u32_e64 s0, 30, v7
	s_delay_alu instid0(VALU_DEP_2) | instskip(NEXT) | instid1(VALU_DEP_1)
	v_lshlrev_b32_e32 v4, 2, v4
	v_add_lshl_u32 v4, v4, v7, 2
	s_waitcnt lgkmcnt(0)
	v_add_f16_e32 v5, v5, v8
	s_delay_alu instid0(VALU_DEP_1) | instskip(NEXT) | instid1(VALU_DEP_1)
	v_and_b32_e32 v9, 0xffff, v5
	v_and_or_b32 v8, 0xffff0000, v8, v9
	v_cndmask_b32_e64 v9, 0, 1, s0
	v_cmp_ne_u32_e64 s0, 31, v7
	ds_bpermute_b32 v8, v4, v8
	s_waitcnt lgkmcnt(0)
	v_add_f16_e32 v10, v5, v8
	v_lshlrev_b32_e32 v5, 1, v9
	s_delay_alu instid0(VALU_DEP_2) | instskip(NEXT) | instid1(VALU_DEP_2)
	v_and_b32_e32 v9, 0xffff, v10
	v_add_lshl_u32 v5, v5, v7, 2
	v_add_co_ci_u32_e64 v7, s0, 0, v7, s0
	s_delay_alu instid0(VALU_DEP_3) | instskip(NEXT) | instid1(VALU_DEP_2)
	v_and_or_b32 v8, 0xffff0000, v8, v9
	v_lshlrev_b32_e32 v7, 2, v7
	ds_bpermute_b32 v9, v5, v8
	s_waitcnt lgkmcnt(0)
	v_add_f16_e32 v8, v10, v9
	s_delay_alu instid0(VALU_DEP_1) | instskip(NEXT) | instid1(VALU_DEP_1)
	v_and_b32_e32 v10, 0xffff, v8
	v_and_or_b32 v9, 0xffff0000, v9, v10
	ds_bpermute_b32 v9, v7, v9
	v_cmpx_eq_u32_e32 0, v6
	s_cbranch_execz .LBB303_8
; %bb.7:
	v_lshrrev_b32_e32 v6, 4, v0
	s_waitcnt lgkmcnt(0)
	v_add_f16_e32 v8, v8, v9
	s_delay_alu instid0(VALU_DEP_2)
	v_and_b32_e32 v6, 62, v6
	ds_store_b16 v6, v8
.LBB303_8:
	s_or_b32 exec_lo, exec_lo, s1
	v_mov_b32_e32 v6, 0
	s_waitcnt lgkmcnt(0)
	s_barrier
	buffer_gl0_inv
	s_and_saveexec_b32 s0, vcc_lo
	s_cbranch_execz .LBB303_10
; %bb.9:
	ds_load_u16 v6, v1
.LBB303_10:
	s_or_b32 exec_lo, exec_lo, s0
	s_and_saveexec_b32 s0, vcc_lo
	s_cbranch_execz .LBB303_12
; %bb.11:
	s_waitcnt lgkmcnt(0)
	v_and_b32_e32 v1, 0xffff, v6
	ds_bpermute_b32 v1, v2, v1
	s_waitcnt lgkmcnt(0)
	v_add_f16_e32 v2, v6, v1
	s_delay_alu instid0(VALU_DEP_1) | instskip(NEXT) | instid1(VALU_DEP_1)
	v_and_b32_e32 v6, 0xffff, v2
	v_and_or_b32 v1, 0xffff0000, v1, v6
	ds_bpermute_b32 v1, v3, v1
	s_waitcnt lgkmcnt(0)
	v_add_f16_e32 v2, v2, v1
	s_delay_alu instid0(VALU_DEP_1) | instskip(NEXT) | instid1(VALU_DEP_1)
	v_and_b32_e32 v3, 0xffff, v2
	v_and_or_b32 v1, 0xffff0000, v1, v3
	;; [unrolled: 6-line block ×4, first 2 shown]
	ds_bpermute_b32 v1, v7, v1
	s_waitcnt lgkmcnt(0)
	v_add_f16_e32 v6, v2, v1
.LBB303_12:
	s_or_b32 exec_lo, exec_lo, s0
	s_delay_alu instid0(SALU_CYCLE_1)
	s_mov_b32 s0, exec_lo
	v_cmpx_eq_u32_e32 0, v0
	s_cbranch_execz .LBB303_14
; %bb.13:
	s_waitcnt lgkmcnt(0)
	v_cvt_f32_f16_e32 v0, v6
	s_lshl_b64 s[0:1], s[12:13], 2
	v_mov_b32_e32 v1, 0
	s_add_u32 s0, s2, s0
	s_addc_u32 s1, s3, s1
	global_store_b32 v1, v0, s[0:1]
.LBB303_14:
	s_nop 0
	s_sendmsg sendmsg(MSG_DEALLOC_VGPRS)
	s_endpgm
	.section	.rodata,"a",@progbits
	.p2align	6, 0x0
	.amdhsa_kernel _ZL18rocblas_dot_kernelIlLb1ELi1024ELi32ELb1EfPKPKDF16_DF16_EviT5_lT_lS4_lS5_liPT6_PT4_
		.amdhsa_group_segment_fixed_size 64
		.amdhsa_private_segment_fixed_size 0
		.amdhsa_kernarg_size 352
		.amdhsa_user_sgpr_count 14
		.amdhsa_user_sgpr_dispatch_ptr 0
		.amdhsa_user_sgpr_queue_ptr 0
		.amdhsa_user_sgpr_kernarg_segment_ptr 1
		.amdhsa_user_sgpr_dispatch_id 0
		.amdhsa_user_sgpr_private_segment_size 0
		.amdhsa_wavefront_size32 1
		.amdhsa_uses_dynamic_stack 0
		.amdhsa_enable_private_segment 0
		.amdhsa_system_sgpr_workgroup_id_x 1
		.amdhsa_system_sgpr_workgroup_id_y 0
		.amdhsa_system_sgpr_workgroup_id_z 1
		.amdhsa_system_sgpr_workgroup_info 0
		.amdhsa_system_vgpr_workitem_id 0
		.amdhsa_next_free_vgpr 11
		.amdhsa_next_free_sgpr 25
		.amdhsa_reserve_vcc 1
		.amdhsa_float_round_mode_32 0
		.amdhsa_float_round_mode_16_64 0
		.amdhsa_float_denorm_mode_32 3
		.amdhsa_float_denorm_mode_16_64 3
		.amdhsa_dx10_clamp 1
		.amdhsa_ieee_mode 1
		.amdhsa_fp16_overflow 0
		.amdhsa_workgroup_processor_mode 1
		.amdhsa_memory_ordered 1
		.amdhsa_forward_progress 0
		.amdhsa_shared_vgpr_count 0
		.amdhsa_exception_fp_ieee_invalid_op 0
		.amdhsa_exception_fp_denorm_src 0
		.amdhsa_exception_fp_ieee_div_zero 0
		.amdhsa_exception_fp_ieee_overflow 0
		.amdhsa_exception_fp_ieee_underflow 0
		.amdhsa_exception_fp_ieee_inexact 0
		.amdhsa_exception_int_div_zero 0
	.end_amdhsa_kernel
	.section	.text._ZL18rocblas_dot_kernelIlLb1ELi1024ELi32ELb1EfPKPKDF16_DF16_EviT5_lT_lS4_lS5_liPT6_PT4_,"axG",@progbits,_ZL18rocblas_dot_kernelIlLb1ELi1024ELi32ELb1EfPKPKDF16_DF16_EviT5_lT_lS4_lS5_liPT6_PT4_,comdat
.Lfunc_end303:
	.size	_ZL18rocblas_dot_kernelIlLb1ELi1024ELi32ELb1EfPKPKDF16_DF16_EviT5_lT_lS4_lS5_liPT6_PT4_, .Lfunc_end303-_ZL18rocblas_dot_kernelIlLb1ELi1024ELi32ELb1EfPKPKDF16_DF16_EviT5_lT_lS4_lS5_liPT6_PT4_
                                        ; -- End function
	.section	.AMDGPU.csdata,"",@progbits
; Kernel info:
; codeLenInByte = 1180
; NumSgprs: 27
; NumVgprs: 11
; ScratchSize: 0
; MemoryBound: 0
; FloatMode: 240
; IeeeMode: 1
; LDSByteSize: 64 bytes/workgroup (compile time only)
; SGPRBlocks: 3
; VGPRBlocks: 1
; NumSGPRsForWavesPerEU: 27
; NumVGPRsForWavesPerEU: 11
; Occupancy: 16
; WaveLimiterHint : 0
; COMPUTE_PGM_RSRC2:SCRATCH_EN: 0
; COMPUTE_PGM_RSRC2:USER_SGPR: 14
; COMPUTE_PGM_RSRC2:TRAP_HANDLER: 0
; COMPUTE_PGM_RSRC2:TGID_X_EN: 1
; COMPUTE_PGM_RSRC2:TGID_Y_EN: 0
; COMPUTE_PGM_RSRC2:TGID_Z_EN: 1
; COMPUTE_PGM_RSRC2:TIDIG_COMP_CNT: 0
	.section	.text._ZL24rocblas_dot_kernel_magsqIlLb1ELi1024ELi32ELb1EfPKPKDF16_DF16_EviT5_lT_liPT6_PT4_,"axG",@progbits,_ZL24rocblas_dot_kernel_magsqIlLb1ELi1024ELi32ELb1EfPKPKDF16_DF16_EviT5_lT_liPT6_PT4_,comdat
	.globl	_ZL24rocblas_dot_kernel_magsqIlLb1ELi1024ELi32ELb1EfPKPKDF16_DF16_EviT5_lT_liPT6_PT4_ ; -- Begin function _ZL24rocblas_dot_kernel_magsqIlLb1ELi1024ELi32ELb1EfPKPKDF16_DF16_EviT5_lT_liPT6_PT4_
	.p2align	8
	.type	_ZL24rocblas_dot_kernel_magsqIlLb1ELi1024ELi32ELb1EfPKPKDF16_DF16_EviT5_lT_liPT6_PT4_,@function
_ZL24rocblas_dot_kernel_magsqIlLb1ELi1024ELi32ELb1EfPKPKDF16_DF16_EviT5_lT_liPT6_PT4_: ; @_ZL24rocblas_dot_kernel_magsqIlLb1ELi1024ELi32ELb1EfPKPKDF16_DF16_EviT5_lT_liPT6_PT4_
; %bb.0:
	s_clause 0x1
	s_load_b32 s8, s[0:1], 0x0
	s_load_b64 s[2:3], s[0:1], 0x38
	v_mov_b32_e32 v3, 0
	s_mov_b32 s4, s15
	s_mov_b32 s5, 0
	s_mov_b32 s9, exec_lo
	s_waitcnt lgkmcnt(0)
	v_cmpx_gt_i32_e64 s8, v0
	s_cbranch_execz .LBB304_4
; %bb.1:
	s_clause 0x1
	s_load_b64 s[6:7], s[0:1], 0x8
	s_load_b128 s[12:15], s[0:1], 0x10
	s_lshl_b64 s[10:11], s[4:5], 3
	s_load_b32 s16, s[0:1], 0x40
	s_waitcnt lgkmcnt(0)
	s_add_u32 s0, s6, s10
	v_mad_u64_u32 v[1:2], null, s14, v0, 0
	s_addc_u32 s1, s7, s11
	s_lshl_b64 s[10:11], s[12:13], 1
	s_load_b64 s[6:7], s[0:1], 0x0
	s_lshl_b32 s1, s16, 10
	s_delay_alu instid0(SALU_CYCLE_1) | instskip(NEXT) | instid1(VALU_DEP_1)
	s_mul_hi_u32 s0, s14, s1
	v_mad_u64_u32 v[3:4], null, s15, v0, v[2:3]
	v_or_b32_e32 v4, s1, v0
	s_delay_alu instid0(VALU_DEP_2) | instskip(NEXT) | instid1(VALU_DEP_1)
	v_dual_mov_b32 v2, v3 :: v_dual_mov_b32 v3, 0
	v_lshlrev_b64 v[1:2], 1, v[1:2]
	s_waitcnt lgkmcnt(0)
	s_add_u32 s10, s6, s10
	s_addc_u32 s11, s7, s11
	s_ashr_i32 s6, s1, 31
	s_delay_alu instid0(VALU_DEP_1)
	v_add_co_u32 v1, vcc_lo, s10, v1
	s_mul_i32 s6, s14, s6
	s_mul_i32 s7, s15, s1
	s_add_i32 s0, s0, s6
	v_add_co_ci_u32_e32 v2, vcc_lo, s11, v2, vcc_lo
	s_mul_i32 s6, s14, s1
	s_add_i32 s7, s0, s7
	s_mov_b32 s10, s5
	s_lshl_b64 s[6:7], s[6:7], 1
	s_mov_b32 s11, s5
	.p2align	6
.LBB304_2:                              ; =>This Inner Loop Header: Depth=1
	global_load_u16 v5, v[1:2], off
	s_add_i32 s12, s11, 1
	v_cmp_le_i32_e32 vcc_lo, s8, v4
	v_add_co_u32 v1, s0, v1, s6
	s_cmp_gt_u32 s11, 30
	v_add_co_ci_u32_e64 v2, s0, s7, v2, s0
	s_cselect_b32 s0, -1, 0
	v_add_nc_u32_e32 v4, s1, v4
	s_or_b32 s0, s0, vcc_lo
	s_mov_b32 s11, s12
	s_and_b32 s0, exec_lo, s0
	s_delay_alu instid0(SALU_CYCLE_1)
	s_or_b32 s10, s0, s10
	s_waitcnt vmcnt(0)
	v_fmac_f16_e32 v3, v5, v5
	s_and_not1_b32 exec_lo, exec_lo, s10
	s_cbranch_execnz .LBB304_2
; %bb.3:
	s_or_b32 exec_lo, exec_lo, s10
.LBB304_4:
	s_delay_alu instid0(SALU_CYCLE_1) | instskip(SKIP_2) | instid1(VALU_DEP_2)
	s_or_b32 exec_lo, exec_lo, s9
	v_and_b32_e32 v5, 31, v0
	v_cmp_gt_u32_e32 vcc_lo, 32, v0
	v_lshlrev_b32_e32 v1, 1, v5
	s_and_saveexec_b32 s0, vcc_lo
	s_cbranch_execz .LBB304_6
; %bb.5:
	v_mov_b32_e32 v2, 0
	ds_store_b16 v1, v2
.LBB304_6:
	s_or_b32 exec_lo, exec_lo, s0
	v_mbcnt_lo_u32_b32 v7, -1, 0
	v_and_b32_e32 v4, 0xffff, v3
	s_mov_b32 s1, exec_lo
	s_waitcnt lgkmcnt(0)
	s_barrier
	v_cmp_gt_u32_e64 s0, 16, v7
	buffer_gl0_inv
	v_cndmask_b32_e64 v2, 0, 1, s0
	v_cmp_gt_u32_e64 s0, 24, v7
	s_delay_alu instid0(VALU_DEP_2) | instskip(NEXT) | instid1(VALU_DEP_2)
	v_lshlrev_b32_e32 v2, 4, v2
	v_cndmask_b32_e64 v6, 0, 1, s0
	v_cmp_gt_u32_e64 s0, 28, v7
	s_delay_alu instid0(VALU_DEP_3) | instskip(SKIP_4) | instid1(VALU_DEP_2)
	v_add_lshl_u32 v2, v2, v7, 2
	ds_bpermute_b32 v4, v2, v4
	s_waitcnt lgkmcnt(0)
	v_add_f16_e32 v8, v3, v4
	v_lshlrev_b32_e32 v3, 3, v6
	v_and_b32_e32 v6, 0xffff, v8
	s_delay_alu instid0(VALU_DEP_2) | instskip(NEXT) | instid1(VALU_DEP_2)
	v_add_lshl_u32 v3, v3, v7, 2
	v_and_or_b32 v4, 0xffff0000, v4, v6
	ds_bpermute_b32 v6, v3, v4
	v_cndmask_b32_e64 v4, 0, 1, s0
	v_cmp_gt_u32_e64 s0, 30, v7
	s_delay_alu instid0(VALU_DEP_2) | instskip(NEXT) | instid1(VALU_DEP_1)
	v_lshlrev_b32_e32 v4, 2, v4
	v_add_lshl_u32 v4, v4, v7, 2
	s_waitcnt lgkmcnt(0)
	v_add_f16_e32 v8, v8, v6
	s_delay_alu instid0(VALU_DEP_1) | instskip(NEXT) | instid1(VALU_DEP_1)
	v_and_b32_e32 v9, 0xffff, v8
	v_and_or_b32 v6, 0xffff0000, v6, v9
	ds_bpermute_b32 v9, v4, v6
	v_cndmask_b32_e64 v6, 0, 1, s0
	v_cmp_ne_u32_e64 s0, 31, v7
	s_delay_alu instid0(VALU_DEP_2) | instskip(NEXT) | instid1(VALU_DEP_1)
	v_lshlrev_b32_e32 v6, 1, v6
	v_add_lshl_u32 v6, v6, v7, 2
	s_delay_alu instid0(VALU_DEP_3) | instskip(NEXT) | instid1(VALU_DEP_1)
	v_add_co_ci_u32_e64 v7, s0, 0, v7, s0
	v_lshlrev_b32_e32 v7, 2, v7
	s_waitcnt lgkmcnt(0)
	v_add_f16_e32 v8, v8, v9
	s_delay_alu instid0(VALU_DEP_1) | instskip(NEXT) | instid1(VALU_DEP_1)
	v_and_b32_e32 v10, 0xffff, v8
	v_and_or_b32 v9, 0xffff0000, v9, v10
	ds_bpermute_b32 v9, v6, v9
	s_waitcnt lgkmcnt(0)
	v_add_f16_e32 v8, v8, v9
	s_delay_alu instid0(VALU_DEP_1) | instskip(NEXT) | instid1(VALU_DEP_1)
	v_and_b32_e32 v10, 0xffff, v8
	v_and_or_b32 v9, 0xffff0000, v9, v10
	ds_bpermute_b32 v9, v7, v9
	v_cmpx_eq_u32_e32 0, v5
	s_cbranch_execz .LBB304_8
; %bb.7:
	v_lshrrev_b32_e32 v5, 4, v0
	s_waitcnt lgkmcnt(0)
	v_add_f16_e32 v8, v8, v9
	s_delay_alu instid0(VALU_DEP_2)
	v_and_b32_e32 v5, 62, v5
	ds_store_b16 v5, v8
.LBB304_8:
	s_or_b32 exec_lo, exec_lo, s1
	v_mov_b32_e32 v5, 0
	s_waitcnt lgkmcnt(0)
	s_barrier
	buffer_gl0_inv
	s_and_saveexec_b32 s0, vcc_lo
	s_cbranch_execz .LBB304_10
; %bb.9:
	ds_load_u16 v5, v1
.LBB304_10:
	s_or_b32 exec_lo, exec_lo, s0
	s_and_saveexec_b32 s0, vcc_lo
	s_cbranch_execz .LBB304_12
; %bb.11:
	s_waitcnt lgkmcnt(0)
	v_and_b32_e32 v1, 0xffff, v5
	ds_bpermute_b32 v1, v2, v1
	s_waitcnt lgkmcnt(0)
	v_add_f16_e32 v2, v5, v1
	s_delay_alu instid0(VALU_DEP_1) | instskip(NEXT) | instid1(VALU_DEP_1)
	v_and_b32_e32 v5, 0xffff, v2
	v_and_or_b32 v1, 0xffff0000, v1, v5
	ds_bpermute_b32 v1, v3, v1
	s_waitcnt lgkmcnt(0)
	v_add_f16_e32 v2, v2, v1
	s_delay_alu instid0(VALU_DEP_1) | instskip(NEXT) | instid1(VALU_DEP_1)
	v_and_b32_e32 v3, 0xffff, v2
	v_and_or_b32 v1, 0xffff0000, v1, v3
	;; [unrolled: 6-line block ×4, first 2 shown]
	ds_bpermute_b32 v1, v7, v1
	s_waitcnt lgkmcnt(0)
	v_add_f16_e32 v5, v2, v1
.LBB304_12:
	s_or_b32 exec_lo, exec_lo, s0
	s_delay_alu instid0(SALU_CYCLE_1)
	s_mov_b32 s0, exec_lo
	v_cmpx_eq_u32_e32 0, v0
	s_cbranch_execz .LBB304_14
; %bb.13:
	s_waitcnt lgkmcnt(0)
	v_cvt_f32_f16_e32 v0, v5
	s_lshl_b64 s[0:1], s[4:5], 2
	v_mov_b32_e32 v1, 0
	s_add_u32 s0, s2, s0
	s_addc_u32 s1, s3, s1
	global_store_b32 v1, v0, s[0:1]
.LBB304_14:
	s_nop 0
	s_sendmsg sendmsg(MSG_DEALLOC_VGPRS)
	s_endpgm
	.section	.rodata,"a",@progbits
	.p2align	6, 0x0
	.amdhsa_kernel _ZL24rocblas_dot_kernel_magsqIlLb1ELi1024ELi32ELb1EfPKPKDF16_DF16_EviT5_lT_liPT6_PT4_
		.amdhsa_group_segment_fixed_size 64
		.amdhsa_private_segment_fixed_size 0
		.amdhsa_kernarg_size 320
		.amdhsa_user_sgpr_count 14
		.amdhsa_user_sgpr_dispatch_ptr 0
		.amdhsa_user_sgpr_queue_ptr 0
		.amdhsa_user_sgpr_kernarg_segment_ptr 1
		.amdhsa_user_sgpr_dispatch_id 0
		.amdhsa_user_sgpr_private_segment_size 0
		.amdhsa_wavefront_size32 1
		.amdhsa_uses_dynamic_stack 0
		.amdhsa_enable_private_segment 0
		.amdhsa_system_sgpr_workgroup_id_x 1
		.amdhsa_system_sgpr_workgroup_id_y 0
		.amdhsa_system_sgpr_workgroup_id_z 1
		.amdhsa_system_sgpr_workgroup_info 0
		.amdhsa_system_vgpr_workitem_id 0
		.amdhsa_next_free_vgpr 11
		.amdhsa_next_free_sgpr 17
		.amdhsa_reserve_vcc 1
		.amdhsa_float_round_mode_32 0
		.amdhsa_float_round_mode_16_64 0
		.amdhsa_float_denorm_mode_32 3
		.amdhsa_float_denorm_mode_16_64 3
		.amdhsa_dx10_clamp 1
		.amdhsa_ieee_mode 1
		.amdhsa_fp16_overflow 0
		.amdhsa_workgroup_processor_mode 1
		.amdhsa_memory_ordered 1
		.amdhsa_forward_progress 0
		.amdhsa_shared_vgpr_count 0
		.amdhsa_exception_fp_ieee_invalid_op 0
		.amdhsa_exception_fp_denorm_src 0
		.amdhsa_exception_fp_ieee_div_zero 0
		.amdhsa_exception_fp_ieee_overflow 0
		.amdhsa_exception_fp_ieee_underflow 0
		.amdhsa_exception_fp_ieee_inexact 0
		.amdhsa_exception_int_div_zero 0
	.end_amdhsa_kernel
	.section	.text._ZL24rocblas_dot_kernel_magsqIlLb1ELi1024ELi32ELb1EfPKPKDF16_DF16_EviT5_lT_liPT6_PT4_,"axG",@progbits,_ZL24rocblas_dot_kernel_magsqIlLb1ELi1024ELi32ELb1EfPKPKDF16_DF16_EviT5_lT_liPT6_PT4_,comdat
.Lfunc_end304:
	.size	_ZL24rocblas_dot_kernel_magsqIlLb1ELi1024ELi32ELb1EfPKPKDF16_DF16_EviT5_lT_liPT6_PT4_, .Lfunc_end304-_ZL24rocblas_dot_kernel_magsqIlLb1ELi1024ELi32ELb1EfPKPKDF16_DF16_EviT5_lT_liPT6_PT4_
                                        ; -- End function
	.section	.AMDGPU.csdata,"",@progbits
; Kernel info:
; codeLenInByte = 1048
; NumSgprs: 19
; NumVgprs: 11
; ScratchSize: 0
; MemoryBound: 0
; FloatMode: 240
; IeeeMode: 1
; LDSByteSize: 64 bytes/workgroup (compile time only)
; SGPRBlocks: 2
; VGPRBlocks: 1
; NumSGPRsForWavesPerEU: 19
; NumVGPRsForWavesPerEU: 11
; Occupancy: 16
; WaveLimiterHint : 0
; COMPUTE_PGM_RSRC2:SCRATCH_EN: 0
; COMPUTE_PGM_RSRC2:USER_SGPR: 14
; COMPUTE_PGM_RSRC2:TRAP_HANDLER: 0
; COMPUTE_PGM_RSRC2:TGID_X_EN: 1
; COMPUTE_PGM_RSRC2:TGID_Y_EN: 0
; COMPUTE_PGM_RSRC2:TGID_Z_EN: 1
; COMPUTE_PGM_RSRC2:TIDIG_COMP_CNT: 0
	.section	.text._ZL38rocblas_dot_kernel_gfx942_float_doubleIlLi1024EfPKPKDF16_DF16_EviT2_lT_lS4_lS5_lPT3_PT1_,"axG",@progbits,_ZL38rocblas_dot_kernel_gfx942_float_doubleIlLi1024EfPKPKDF16_DF16_EviT2_lT_lS4_lS5_lPT3_PT1_,comdat
	.globl	_ZL38rocblas_dot_kernel_gfx942_float_doubleIlLi1024EfPKPKDF16_DF16_EviT2_lT_lS4_lS5_lPT3_PT1_ ; -- Begin function _ZL38rocblas_dot_kernel_gfx942_float_doubleIlLi1024EfPKPKDF16_DF16_EviT2_lT_lS4_lS5_lPT3_PT1_
	.p2align	8
	.type	_ZL38rocblas_dot_kernel_gfx942_float_doubleIlLi1024EfPKPKDF16_DF16_EviT2_lT_lS4_lS5_lPT3_PT1_,@function
_ZL38rocblas_dot_kernel_gfx942_float_doubleIlLi1024EfPKPKDF16_DF16_EviT2_lT_lS4_lS5_lPT3_PT1_: ; @_ZL38rocblas_dot_kernel_gfx942_float_doubleIlLi1024EfPKPKDF16_DF16_EviT2_lT_lS4_lS5_lPT3_PT1_
; %bb.0:
	s_endpgm
	.section	.rodata,"a",@progbits
	.p2align	6, 0x0
	.amdhsa_kernel _ZL38rocblas_dot_kernel_gfx942_float_doubleIlLi1024EfPKPKDF16_DF16_EviT2_lT_lS4_lS5_lPT3_PT1_
		.amdhsa_group_segment_fixed_size 0
		.amdhsa_private_segment_fixed_size 0
		.amdhsa_kernarg_size 88
		.amdhsa_user_sgpr_count 15
		.amdhsa_user_sgpr_dispatch_ptr 0
		.amdhsa_user_sgpr_queue_ptr 0
		.amdhsa_user_sgpr_kernarg_segment_ptr 1
		.amdhsa_user_sgpr_dispatch_id 0
		.amdhsa_user_sgpr_private_segment_size 0
		.amdhsa_wavefront_size32 1
		.amdhsa_uses_dynamic_stack 0
		.amdhsa_enable_private_segment 0
		.amdhsa_system_sgpr_workgroup_id_x 1
		.amdhsa_system_sgpr_workgroup_id_y 0
		.amdhsa_system_sgpr_workgroup_id_z 0
		.amdhsa_system_sgpr_workgroup_info 0
		.amdhsa_system_vgpr_workitem_id 0
		.amdhsa_next_free_vgpr 1
		.amdhsa_next_free_sgpr 1
		.amdhsa_reserve_vcc 0
		.amdhsa_float_round_mode_32 0
		.amdhsa_float_round_mode_16_64 0
		.amdhsa_float_denorm_mode_32 3
		.amdhsa_float_denorm_mode_16_64 3
		.amdhsa_dx10_clamp 1
		.amdhsa_ieee_mode 1
		.amdhsa_fp16_overflow 0
		.amdhsa_workgroup_processor_mode 1
		.amdhsa_memory_ordered 1
		.amdhsa_forward_progress 0
		.amdhsa_shared_vgpr_count 0
		.amdhsa_exception_fp_ieee_invalid_op 0
		.amdhsa_exception_fp_denorm_src 0
		.amdhsa_exception_fp_ieee_div_zero 0
		.amdhsa_exception_fp_ieee_overflow 0
		.amdhsa_exception_fp_ieee_underflow 0
		.amdhsa_exception_fp_ieee_inexact 0
		.amdhsa_exception_int_div_zero 0
	.end_amdhsa_kernel
	.section	.text._ZL38rocblas_dot_kernel_gfx942_float_doubleIlLi1024EfPKPKDF16_DF16_EviT2_lT_lS4_lS5_lPT3_PT1_,"axG",@progbits,_ZL38rocblas_dot_kernel_gfx942_float_doubleIlLi1024EfPKPKDF16_DF16_EviT2_lT_lS4_lS5_lPT3_PT1_,comdat
.Lfunc_end305:
	.size	_ZL38rocblas_dot_kernel_gfx942_float_doubleIlLi1024EfPKPKDF16_DF16_EviT2_lT_lS4_lS5_lPT3_PT1_, .Lfunc_end305-_ZL38rocblas_dot_kernel_gfx942_float_doubleIlLi1024EfPKPKDF16_DF16_EviT2_lT_lS4_lS5_lPT3_PT1_
                                        ; -- End function
	.section	.AMDGPU.csdata,"",@progbits
; Kernel info:
; codeLenInByte = 4
; NumSgprs: 0
; NumVgprs: 0
; ScratchSize: 0
; MemoryBound: 0
; FloatMode: 240
; IeeeMode: 1
; LDSByteSize: 0 bytes/workgroup (compile time only)
; SGPRBlocks: 0
; VGPRBlocks: 0
; NumSGPRsForWavesPerEU: 1
; NumVGPRsForWavesPerEU: 1
; Occupancy: 16
; WaveLimiterHint : 0
; COMPUTE_PGM_RSRC2:SCRATCH_EN: 0
; COMPUTE_PGM_RSRC2:USER_SGPR: 15
; COMPUTE_PGM_RSRC2:TRAP_HANDLER: 0
; COMPUTE_PGM_RSRC2:TGID_X_EN: 1
; COMPUTE_PGM_RSRC2:TGID_Y_EN: 0
; COMPUTE_PGM_RSRC2:TGID_Z_EN: 0
; COMPUTE_PGM_RSRC2:TIDIG_COMP_CNT: 0
	.section	.text._ZL23rocblas_dot_kernel_inc1ILb0ELi512ELi4ELb1EfPKPKDF16_DF16_EviT4_llS4_lliPT5_PT3_,"axG",@progbits,_ZL23rocblas_dot_kernel_inc1ILb0ELi512ELi4ELb1EfPKPKDF16_DF16_EviT4_llS4_lliPT5_PT3_,comdat
	.globl	_ZL23rocblas_dot_kernel_inc1ILb0ELi512ELi4ELb1EfPKPKDF16_DF16_EviT4_llS4_lliPT5_PT3_ ; -- Begin function _ZL23rocblas_dot_kernel_inc1ILb0ELi512ELi4ELb1EfPKPKDF16_DF16_EviT4_llS4_lliPT5_PT3_
	.p2align	8
	.type	_ZL23rocblas_dot_kernel_inc1ILb0ELi512ELi4ELb1EfPKPKDF16_DF16_EviT4_llS4_lliPT5_PT3_,@function
_ZL23rocblas_dot_kernel_inc1ILb0ELi512ELi4ELb1EfPKPKDF16_DF16_EviT4_llS4_lliPT5_PT3_: ; @_ZL23rocblas_dot_kernel_inc1ILb0ELi512ELi4ELb1EfPKPKDF16_DF16_EviT4_llS4_lliPT5_PT3_
; %bb.0:
	s_clause 0x2
	s_load_b32 s12, s[0:1], 0x50
	s_load_b32 s13, s[0:1], 0x0
	s_load_b128 s[4:7], s[0:1], 0x40
	v_lshl_or_b32 v3, s14, 9, v0
	v_mov_b32_e32 v5, 0
	s_mov_b32 s2, s15
	s_mov_b32 s3, 0
	s_mov_b32 s15, exec_lo
	s_waitcnt lgkmcnt(0)
	v_cmpx_gt_i32_e64 s13, v3
	s_cbranch_execz .LBB306_4
; %bb.1:
	s_clause 0x1
	s_load_b128 s[8:11], s[0:1], 0x8
	s_load_b128 s[20:23], s[0:1], 0x20
	s_lshl_b64 s[18:19], s[2:3], 3
	v_ashrrev_i32_e32 v4, 31, v3
	v_mov_b32_e32 v5, 0
	s_delay_alu instid0(VALU_DEP_2)
	v_lshlrev_b64 v[1:2], 1, v[3:4]
	s_waitcnt lgkmcnt(0)
	s_add_u32 s0, s8, s18
	s_addc_u32 s1, s9, s19
	s_lshl_b64 s[10:11], s[10:11], 1
	s_load_b64 s[8:9], s[0:1], 0x0
	s_waitcnt lgkmcnt(0)
	s_add_u32 s1, s8, s10
	s_addc_u32 s16, s9, s11
	s_add_u32 s8, s20, s18
	s_addc_u32 s9, s21, s19
	s_lshl_b64 s[10:11], s[22:23], 1
	s_load_b64 s[8:9], s[8:9], 0x0
	s_mov_b32 s19, s3
	s_waitcnt lgkmcnt(0)
	s_add_u32 s17, s8, s10
	s_addc_u32 s18, s9, s11
	s_lshl_b32 s8, s12, 9
	s_delay_alu instid0(SALU_CYCLE_1) | instskip(SKIP_1) | instid1(SALU_CYCLE_1)
	v_add_nc_u32_e32 v3, s8, v3
	s_ashr_i32 s9, s8, 31
	s_lshl_b64 s[10:11], s[8:9], 1
	s_mov_b32 s9, s3
	.p2align	6
.LBB306_2:                              ; =>This Inner Loop Header: Depth=1
	v_add_co_u32 v6, vcc_lo, s17, v1
	v_add_co_ci_u32_e32 v7, vcc_lo, s18, v2, vcc_lo
	v_add_co_u32 v8, vcc_lo, s1, v1
	v_add_co_ci_u32_e32 v9, vcc_lo, s16, v2, vcc_lo
	s_add_i32 s20, s19, 1
	global_load_u16 v4, v[6:7], off
	global_load_u16 v6, v[8:9], off
	v_cmp_le_i32_e32 vcc_lo, s13, v3
	v_add_co_u32 v1, s0, v1, s10
	s_cmp_gt_u32 s19, 2
	v_add_co_ci_u32_e64 v2, s0, s11, v2, s0
	s_cselect_b32 s0, -1, 0
	v_add_nc_u32_e32 v3, s8, v3
	s_or_b32 s0, s0, vcc_lo
	s_mov_b32 s19, s20
	s_and_b32 s0, exec_lo, s0
	s_delay_alu instid0(SALU_CYCLE_1)
	s_or_b32 s9, s0, s9
	s_waitcnt vmcnt(0)
	v_fmac_f16_e32 v5, v4, v6
	s_and_not1_b32 exec_lo, exec_lo, s9
	s_cbranch_execnz .LBB306_2
; %bb.3:
	s_or_b32 exec_lo, exec_lo, s9
.LBB306_4:
	s_delay_alu instid0(SALU_CYCLE_1) | instskip(SKIP_2) | instid1(VALU_DEP_2)
	s_or_b32 exec_lo, exec_lo, s15
	v_and_b32_e32 v3, 31, v0
	v_cmp_gt_u32_e32 vcc_lo, 32, v0
	v_lshlrev_b32_e32 v1, 1, v3
	s_and_saveexec_b32 s0, vcc_lo
	s_cbranch_execz .LBB306_6
; %bb.5:
	v_mov_b32_e32 v2, 0
	ds_store_b16 v1, v2
.LBB306_6:
	s_or_b32 exec_lo, exec_lo, s0
	v_mbcnt_lo_u32_b32 v6, -1, 0
	v_and_b32_e32 v4, 0xffff, v5
	s_mov_b32 s1, exec_lo
	s_waitcnt lgkmcnt(0)
	s_barrier
	v_cmp_gt_u32_e64 s0, 16, v6
	buffer_gl0_inv
	v_cndmask_b32_e64 v2, 0, 1, s0
	v_cmp_gt_u32_e64 s0, 24, v6
	s_delay_alu instid0(VALU_DEP_2) | instskip(NEXT) | instid1(VALU_DEP_1)
	v_lshlrev_b32_e32 v2, 4, v2
	v_add_lshl_u32 v2, v2, v6, 2
	ds_bpermute_b32 v4, v2, v4
	v_cndmask_b32_e64 v2, 0, 1, s0
	v_cmp_gt_u32_e64 s0, 28, v6
	s_delay_alu instid0(VALU_DEP_2) | instskip(NEXT) | instid1(VALU_DEP_1)
	v_lshlrev_b32_e32 v2, 3, v2
	v_add_lshl_u32 v2, v2, v6, 2
	s_waitcnt lgkmcnt(0)
	v_add_f16_e32 v5, v5, v4
	s_delay_alu instid0(VALU_DEP_1) | instskip(NEXT) | instid1(VALU_DEP_1)
	v_and_b32_e32 v7, 0xffff, v5
	v_and_or_b32 v4, 0xffff0000, v4, v7
	ds_bpermute_b32 v7, v2, v4
	v_cndmask_b32_e64 v4, 0, 1, s0
	v_cmp_gt_u32_e64 s0, 30, v6
	s_delay_alu instid0(VALU_DEP_2) | instskip(NEXT) | instid1(VALU_DEP_1)
	v_lshlrev_b32_e32 v4, 2, v4
	v_add_lshl_u32 v4, v4, v6, 2
	s_waitcnt lgkmcnt(0)
	v_add_f16_e32 v5, v5, v7
	s_delay_alu instid0(VALU_DEP_1) | instskip(NEXT) | instid1(VALU_DEP_1)
	v_and_b32_e32 v8, 0xffff, v5
	v_and_or_b32 v7, 0xffff0000, v7, v8
	v_cndmask_b32_e64 v8, 0, 1, s0
	v_cmp_ne_u32_e64 s0, 31, v6
	ds_bpermute_b32 v7, v4, v7
	s_waitcnt lgkmcnt(0)
	v_add_f16_e32 v9, v5, v7
	v_lshlrev_b32_e32 v5, 1, v8
	s_delay_alu instid0(VALU_DEP_2) | instskip(NEXT) | instid1(VALU_DEP_2)
	v_and_b32_e32 v8, 0xffff, v9
	v_add_lshl_u32 v5, v5, v6, 2
	v_add_co_ci_u32_e64 v6, s0, 0, v6, s0
	s_delay_alu instid0(VALU_DEP_3) | instskip(NEXT) | instid1(VALU_DEP_2)
	v_and_or_b32 v7, 0xffff0000, v7, v8
	v_lshlrev_b32_e32 v6, 2, v6
	ds_bpermute_b32 v8, v5, v7
	s_waitcnt lgkmcnt(0)
	v_add_f16_e32 v7, v9, v8
	s_delay_alu instid0(VALU_DEP_1) | instskip(NEXT) | instid1(VALU_DEP_1)
	v_and_b32_e32 v9, 0xffff, v7
	v_and_or_b32 v8, 0xffff0000, v8, v9
	ds_bpermute_b32 v8, v6, v8
	v_cmpx_eq_u32_e32 0, v3
	s_cbranch_execz .LBB306_8
; %bb.7:
	v_lshrrev_b32_e32 v3, 4, v0
	s_waitcnt lgkmcnt(0)
	v_add_f16_e32 v7, v7, v8
	s_delay_alu instid0(VALU_DEP_2)
	v_and_b32_e32 v3, 30, v3
	ds_store_b16 v3, v7
.LBB306_8:
	s_or_b32 exec_lo, exec_lo, s1
	v_mov_b32_e32 v3, 0
	s_mov_b32 s1, exec_lo
	s_waitcnt lgkmcnt(0)
	s_barrier
	buffer_gl0_inv
	v_cmpx_gt_u32_e32 16, v0
	s_cbranch_execz .LBB306_10
; %bb.9:
	ds_load_u16 v3, v1
.LBB306_10:
	s_or_b32 exec_lo, exec_lo, s1
	s_and_saveexec_b32 s0, vcc_lo
	s_cbranch_execz .LBB306_12
; %bb.11:
	s_waitcnt lgkmcnt(0)
	v_and_b32_e32 v1, 0xffff, v3
	ds_bpermute_b32 v1, v2, v1
	s_waitcnt lgkmcnt(0)
	v_add_f16_e32 v2, v3, v1
	s_delay_alu instid0(VALU_DEP_1) | instskip(NEXT) | instid1(VALU_DEP_1)
	v_and_b32_e32 v3, 0xffff, v2
	v_and_or_b32 v1, 0xffff0000, v1, v3
	ds_bpermute_b32 v1, v4, v1
	s_waitcnt lgkmcnt(0)
	v_add_f16_e32 v2, v2, v1
	s_delay_alu instid0(VALU_DEP_1) | instskip(NEXT) | instid1(VALU_DEP_1)
	v_and_b32_e32 v3, 0xffff, v2
	v_and_or_b32 v1, 0xffff0000, v1, v3
	;; [unrolled: 6-line block ×3, first 2 shown]
	ds_bpermute_b32 v1, v6, v1
	s_waitcnt lgkmcnt(0)
	v_add_f16_e32 v3, v2, v1
.LBB306_12:
	s_or_b32 exec_lo, exec_lo, s0
	s_delay_alu instid0(SALU_CYCLE_1)
	s_mov_b32 s0, exec_lo
	v_cmpx_eq_u32_e32 0, v0
	s_cbranch_execz .LBB306_17
; %bb.13:
	s_cmp_lg_u32 s12, 1
	s_mov_b32 s15, -1
	s_cbranch_scc0 .LBB306_15
; %bb.14:
	s_mul_hi_u32 s1, s12, s2
	s_mul_i32 s0, s12, s2
	s_mov_b32 s15, 0
	s_lshl_b64 s[0:1], s[0:1], 1
	v_mov_b32_e32 v0, 0
	s_add_u32 s4, s4, s0
	s_addc_u32 s5, s5, s1
	s_lshl_b64 s[0:1], s[14:15], 1
	s_delay_alu instid0(SALU_CYCLE_1)
	s_add_u32 s0, s4, s0
	s_addc_u32 s1, s5, s1
	s_waitcnt lgkmcnt(0)
	global_store_b16 v0, v3, s[0:1]
.LBB306_15:
	s_and_not1_b32 vcc_lo, exec_lo, s15
	s_cbranch_vccnz .LBB306_17
; %bb.16:
	s_waitcnt lgkmcnt(0)
	v_cvt_f32_f16_e32 v0, v3
	s_lshl_b64 s[0:1], s[2:3], 2
	v_mov_b32_e32 v1, 0
	s_add_u32 s0, s6, s0
	s_addc_u32 s1, s7, s1
	global_store_b32 v1, v0, s[0:1]
.LBB306_17:
	s_nop 0
	s_sendmsg sendmsg(MSG_DEALLOC_VGPRS)
	s_endpgm
	.section	.rodata,"a",@progbits
	.p2align	6, 0x0
	.amdhsa_kernel _ZL23rocblas_dot_kernel_inc1ILb0ELi512ELi4ELb1EfPKPKDF16_DF16_EviT4_llS4_lliPT5_PT3_
		.amdhsa_group_segment_fixed_size 64
		.amdhsa_private_segment_fixed_size 0
		.amdhsa_kernarg_size 336
		.amdhsa_user_sgpr_count 14
		.amdhsa_user_sgpr_dispatch_ptr 0
		.amdhsa_user_sgpr_queue_ptr 0
		.amdhsa_user_sgpr_kernarg_segment_ptr 1
		.amdhsa_user_sgpr_dispatch_id 0
		.amdhsa_user_sgpr_private_segment_size 0
		.amdhsa_wavefront_size32 1
		.amdhsa_uses_dynamic_stack 0
		.amdhsa_enable_private_segment 0
		.amdhsa_system_sgpr_workgroup_id_x 1
		.amdhsa_system_sgpr_workgroup_id_y 0
		.amdhsa_system_sgpr_workgroup_id_z 1
		.amdhsa_system_sgpr_workgroup_info 0
		.amdhsa_system_vgpr_workitem_id 0
		.amdhsa_next_free_vgpr 10
		.amdhsa_next_free_sgpr 24
		.amdhsa_reserve_vcc 1
		.amdhsa_float_round_mode_32 0
		.amdhsa_float_round_mode_16_64 0
		.amdhsa_float_denorm_mode_32 3
		.amdhsa_float_denorm_mode_16_64 3
		.amdhsa_dx10_clamp 1
		.amdhsa_ieee_mode 1
		.amdhsa_fp16_overflow 0
		.amdhsa_workgroup_processor_mode 1
		.amdhsa_memory_ordered 1
		.amdhsa_forward_progress 0
		.amdhsa_shared_vgpr_count 0
		.amdhsa_exception_fp_ieee_invalid_op 0
		.amdhsa_exception_fp_denorm_src 0
		.amdhsa_exception_fp_ieee_div_zero 0
		.amdhsa_exception_fp_ieee_overflow 0
		.amdhsa_exception_fp_ieee_underflow 0
		.amdhsa_exception_fp_ieee_inexact 0
		.amdhsa_exception_int_div_zero 0
	.end_amdhsa_kernel
	.section	.text._ZL23rocblas_dot_kernel_inc1ILb0ELi512ELi4ELb1EfPKPKDF16_DF16_EviT4_llS4_lliPT5_PT3_,"axG",@progbits,_ZL23rocblas_dot_kernel_inc1ILb0ELi512ELi4ELb1EfPKPKDF16_DF16_EviT4_llS4_lliPT5_PT3_,comdat
.Lfunc_end306:
	.size	_ZL23rocblas_dot_kernel_inc1ILb0ELi512ELi4ELb1EfPKPKDF16_DF16_EviT4_llS4_lliPT5_PT3_, .Lfunc_end306-_ZL23rocblas_dot_kernel_inc1ILb0ELi512ELi4ELb1EfPKPKDF16_DF16_EviT4_llS4_lliPT5_PT3_
                                        ; -- End function
	.section	.AMDGPU.csdata,"",@progbits
; Kernel info:
; codeLenInByte = 1100
; NumSgprs: 26
; NumVgprs: 10
; ScratchSize: 0
; MemoryBound: 0
; FloatMode: 240
; IeeeMode: 1
; LDSByteSize: 64 bytes/workgroup (compile time only)
; SGPRBlocks: 3
; VGPRBlocks: 1
; NumSGPRsForWavesPerEU: 26
; NumVGPRsForWavesPerEU: 10
; Occupancy: 16
; WaveLimiterHint : 1
; COMPUTE_PGM_RSRC2:SCRATCH_EN: 0
; COMPUTE_PGM_RSRC2:USER_SGPR: 14
; COMPUTE_PGM_RSRC2:TRAP_HANDLER: 0
; COMPUTE_PGM_RSRC2:TGID_X_EN: 1
; COMPUTE_PGM_RSRC2:TGID_Y_EN: 0
; COMPUTE_PGM_RSRC2:TGID_Z_EN: 1
; COMPUTE_PGM_RSRC2:TIDIG_COMP_CNT: 0
	.section	.text._ZL18rocblas_dot_kernelIlLb0ELi512ELi4ELb1EfPKPKDF16_DF16_EviT5_lT_lS4_lS5_liPT6_PT4_,"axG",@progbits,_ZL18rocblas_dot_kernelIlLb0ELi512ELi4ELb1EfPKPKDF16_DF16_EviT5_lT_lS4_lS5_liPT6_PT4_,comdat
	.globl	_ZL18rocblas_dot_kernelIlLb0ELi512ELi4ELb1EfPKPKDF16_DF16_EviT5_lT_lS4_lS5_liPT6_PT4_ ; -- Begin function _ZL18rocblas_dot_kernelIlLb0ELi512ELi4ELb1EfPKPKDF16_DF16_EviT5_lT_lS4_lS5_liPT6_PT4_
	.p2align	8
	.type	_ZL18rocblas_dot_kernelIlLb0ELi512ELi4ELb1EfPKPKDF16_DF16_EviT5_lT_lS4_lS5_liPT6_PT4_,@function
_ZL18rocblas_dot_kernelIlLb0ELi512ELi4ELb1EfPKPKDF16_DF16_EviT5_lT_lS4_lS5_liPT6_PT4_: ; @_ZL18rocblas_dot_kernelIlLb0ELi512ELi4ELb1EfPKPKDF16_DF16_EviT5_lT_lS4_lS5_liPT6_PT4_
; %bb.0:
	s_clause 0x2
	s_load_b32 s12, s[0:1], 0x60
	s_load_b32 s13, s[0:1], 0x0
	s_load_b128 s[4:7], s[0:1], 0x50
	v_lshl_or_b32 v1, s14, 9, v0
	v_mov_b32_e32 v5, 0
	s_mov_b32 s2, s15
	s_mov_b32 s3, 0
	s_mov_b32 s15, exec_lo
	s_waitcnt lgkmcnt(0)
	v_cmpx_gt_i32_e64 s13, v1
	s_cbranch_execz .LBB307_4
; %bb.1:
	s_clause 0x3
	s_load_b64 s[20:21], s[0:1], 0x8
	s_load_b128 s[16:19], s[0:1], 0x10
	s_load_b128 s[8:11], s[0:1], 0x30
	s_load_b64 s[0:1], s[0:1], 0x28
	s_lshl_b64 s[22:23], s[2:3], 3
	v_ashrrev_i32_e32 v4, 31, v1
	s_waitcnt lgkmcnt(0)
	s_add_u32 s20, s20, s22
	s_addc_u32 s21, s21, s23
	v_mul_lo_u32 v9, s19, v1
	s_load_b64 s[20:21], s[20:21], 0x0
	s_add_u32 s22, s0, s22
	s_addc_u32 s23, s1, s23
	v_mul_lo_u32 v10, s18, v4
	v_mad_u64_u32 v[2:3], null, s18, v1, 0
	s_load_b64 s[22:23], s[22:23], 0x0
	v_mul_lo_u32 v11, s11, v1
	v_mul_lo_u32 v4, s10, v4
	v_mad_u64_u32 v[7:8], null, s10, v1, 0
	s_lshl_b64 s[16:17], s[16:17], 1
	s_delay_alu instid0(VALU_DEP_4) | instskip(SKIP_1) | instid1(SALU_CYCLE_1)
	v_add3_u32 v3, v3, v10, v9
	s_lshl_b32 s1, s12, 9
	v_dual_mov_b32 v5, 0 :: v_dual_add_nc_u32 v6, s1, v1
	s_mul_hi_u32 s0, s18, s1
	s_delay_alu instid0(VALU_DEP_3)
	v_add3_u32 v8, v8, v4, v11
	v_lshlrev_b64 v[1:2], 1, v[2:3]
	s_mul_i32 s19, s19, s1
	s_waitcnt lgkmcnt(0)
	s_add_u32 s20, s20, s16
	s_addc_u32 s21, s21, s17
	s_ashr_i32 s28, s1, 31
	v_lshlrev_b64 v[3:4], 1, v[7:8]
	s_mul_i32 s16, s18, s28
	s_mul_i32 s24, s18, s1
	s_add_i32 s0, s0, s16
	s_lshl_b64 s[16:17], s[8:9], 1
	s_add_i32 s25, s0, s19
	v_add_co_u32 v1, vcc_lo, s20, v1
	s_lshl_b64 s[8:9], s[24:25], 1
	s_mul_hi_u32 s27, s10, s1
	s_mul_i32 s26, s10, s1
	s_mul_i32 s0, s10, s28
	s_add_u32 s10, s22, s16
	v_add_co_ci_u32_e32 v2, vcc_lo, s21, v2, vcc_lo
	s_addc_u32 s16, s23, s17
	v_add_co_u32 v3, vcc_lo, s10, v3
	s_mul_i32 s11, s11, s1
	s_add_i32 s0, s27, s0
	v_add_co_ci_u32_e32 v4, vcc_lo, s16, v4, vcc_lo
	s_add_i32 s27, s0, s11
	s_mov_b32 s16, s3
	s_lshl_b64 s[10:11], s[26:27], 1
	s_mov_b32 s17, s3
	.p2align	6
.LBB307_2:                              ; =>This Inner Loop Header: Depth=1
	global_load_u16 v7, v[3:4], off
	global_load_u16 v8, v[1:2], off
	v_add_co_u32 v1, s0, v1, s8
	s_delay_alu instid0(VALU_DEP_1)
	v_add_co_ci_u32_e64 v2, s0, s9, v2, s0
	s_add_i32 s18, s17, 1
	v_cmp_le_i32_e32 vcc_lo, s13, v6
	v_add_co_u32 v3, s0, v3, s10
	s_cmp_gt_u32 s17, 2
	v_add_co_ci_u32_e64 v4, s0, s11, v4, s0
	s_cselect_b32 s0, -1, 0
	v_add_nc_u32_e32 v6, s1, v6
	s_or_b32 s0, s0, vcc_lo
	s_mov_b32 s17, s18
	s_and_b32 s0, exec_lo, s0
	s_delay_alu instid0(SALU_CYCLE_1)
	s_or_b32 s16, s0, s16
	s_waitcnt vmcnt(0)
	v_fmac_f16_e32 v5, v7, v8
	s_and_not1_b32 exec_lo, exec_lo, s16
	s_cbranch_execnz .LBB307_2
; %bb.3:
	s_or_b32 exec_lo, exec_lo, s16
.LBB307_4:
	s_delay_alu instid0(SALU_CYCLE_1) | instskip(SKIP_2) | instid1(VALU_DEP_2)
	s_or_b32 exec_lo, exec_lo, s15
	v_and_b32_e32 v3, 31, v0
	v_cmp_gt_u32_e32 vcc_lo, 32, v0
	v_lshlrev_b32_e32 v1, 1, v3
	s_and_saveexec_b32 s0, vcc_lo
	s_cbranch_execz .LBB307_6
; %bb.5:
	v_mov_b32_e32 v2, 0
	ds_store_b16 v1, v2
.LBB307_6:
	s_or_b32 exec_lo, exec_lo, s0
	v_mbcnt_lo_u32_b32 v6, -1, 0
	v_and_b32_e32 v4, 0xffff, v5
	s_mov_b32 s1, exec_lo
	s_waitcnt lgkmcnt(0)
	s_barrier
	v_cmp_gt_u32_e64 s0, 16, v6
	buffer_gl0_inv
	v_cndmask_b32_e64 v2, 0, 1, s0
	v_cmp_gt_u32_e64 s0, 24, v6
	s_delay_alu instid0(VALU_DEP_2) | instskip(NEXT) | instid1(VALU_DEP_1)
	v_lshlrev_b32_e32 v2, 4, v2
	v_add_lshl_u32 v2, v2, v6, 2
	ds_bpermute_b32 v4, v2, v4
	v_cndmask_b32_e64 v2, 0, 1, s0
	v_cmp_gt_u32_e64 s0, 28, v6
	s_delay_alu instid0(VALU_DEP_2) | instskip(NEXT) | instid1(VALU_DEP_1)
	v_lshlrev_b32_e32 v2, 3, v2
	v_add_lshl_u32 v2, v2, v6, 2
	s_waitcnt lgkmcnt(0)
	v_add_f16_e32 v5, v5, v4
	s_delay_alu instid0(VALU_DEP_1) | instskip(NEXT) | instid1(VALU_DEP_1)
	v_and_b32_e32 v7, 0xffff, v5
	v_and_or_b32 v4, 0xffff0000, v4, v7
	ds_bpermute_b32 v7, v2, v4
	v_cndmask_b32_e64 v4, 0, 1, s0
	v_cmp_gt_u32_e64 s0, 30, v6
	s_delay_alu instid0(VALU_DEP_2) | instskip(NEXT) | instid1(VALU_DEP_1)
	v_lshlrev_b32_e32 v4, 2, v4
	v_add_lshl_u32 v4, v4, v6, 2
	s_waitcnt lgkmcnt(0)
	v_add_f16_e32 v5, v5, v7
	s_delay_alu instid0(VALU_DEP_1) | instskip(NEXT) | instid1(VALU_DEP_1)
	v_and_b32_e32 v8, 0xffff, v5
	v_and_or_b32 v7, 0xffff0000, v7, v8
	v_cndmask_b32_e64 v8, 0, 1, s0
	v_cmp_ne_u32_e64 s0, 31, v6
	ds_bpermute_b32 v7, v4, v7
	s_waitcnt lgkmcnt(0)
	v_add_f16_e32 v9, v5, v7
	v_lshlrev_b32_e32 v5, 1, v8
	s_delay_alu instid0(VALU_DEP_2) | instskip(NEXT) | instid1(VALU_DEP_2)
	v_and_b32_e32 v8, 0xffff, v9
	v_add_lshl_u32 v5, v5, v6, 2
	v_add_co_ci_u32_e64 v6, s0, 0, v6, s0
	s_delay_alu instid0(VALU_DEP_3) | instskip(NEXT) | instid1(VALU_DEP_2)
	v_and_or_b32 v7, 0xffff0000, v7, v8
	v_lshlrev_b32_e32 v6, 2, v6
	ds_bpermute_b32 v8, v5, v7
	s_waitcnt lgkmcnt(0)
	v_add_f16_e32 v7, v9, v8
	s_delay_alu instid0(VALU_DEP_1) | instskip(NEXT) | instid1(VALU_DEP_1)
	v_and_b32_e32 v9, 0xffff, v7
	v_and_or_b32 v8, 0xffff0000, v8, v9
	ds_bpermute_b32 v8, v6, v8
	v_cmpx_eq_u32_e32 0, v3
	s_cbranch_execz .LBB307_8
; %bb.7:
	v_lshrrev_b32_e32 v3, 4, v0
	s_waitcnt lgkmcnt(0)
	v_add_f16_e32 v7, v7, v8
	s_delay_alu instid0(VALU_DEP_2)
	v_and_b32_e32 v3, 30, v3
	ds_store_b16 v3, v7
.LBB307_8:
	s_or_b32 exec_lo, exec_lo, s1
	v_mov_b32_e32 v3, 0
	s_mov_b32 s1, exec_lo
	s_waitcnt lgkmcnt(0)
	s_barrier
	buffer_gl0_inv
	v_cmpx_gt_u32_e32 16, v0
	s_cbranch_execz .LBB307_10
; %bb.9:
	ds_load_u16 v3, v1
.LBB307_10:
	s_or_b32 exec_lo, exec_lo, s1
	s_and_saveexec_b32 s0, vcc_lo
	s_cbranch_execz .LBB307_12
; %bb.11:
	s_waitcnt lgkmcnt(0)
	v_and_b32_e32 v1, 0xffff, v3
	ds_bpermute_b32 v1, v2, v1
	s_waitcnt lgkmcnt(0)
	v_add_f16_e32 v2, v3, v1
	s_delay_alu instid0(VALU_DEP_1) | instskip(NEXT) | instid1(VALU_DEP_1)
	v_and_b32_e32 v3, 0xffff, v2
	v_and_or_b32 v1, 0xffff0000, v1, v3
	ds_bpermute_b32 v1, v4, v1
	s_waitcnt lgkmcnt(0)
	v_add_f16_e32 v2, v2, v1
	s_delay_alu instid0(VALU_DEP_1) | instskip(NEXT) | instid1(VALU_DEP_1)
	v_and_b32_e32 v3, 0xffff, v2
	v_and_or_b32 v1, 0xffff0000, v1, v3
	;; [unrolled: 6-line block ×3, first 2 shown]
	ds_bpermute_b32 v1, v6, v1
	s_waitcnt lgkmcnt(0)
	v_add_f16_e32 v3, v2, v1
.LBB307_12:
	s_or_b32 exec_lo, exec_lo, s0
	s_delay_alu instid0(SALU_CYCLE_1)
	s_mov_b32 s0, exec_lo
	v_cmpx_eq_u32_e32 0, v0
	s_cbranch_execz .LBB307_17
; %bb.13:
	s_cmp_lg_u32 s12, 1
	s_mov_b32 s15, -1
	s_cbranch_scc0 .LBB307_15
; %bb.14:
	s_mul_hi_u32 s1, s12, s2
	s_mul_i32 s0, s12, s2
	s_mov_b32 s15, 0
	s_lshl_b64 s[0:1], s[0:1], 1
	v_mov_b32_e32 v0, 0
	s_add_u32 s4, s4, s0
	s_addc_u32 s5, s5, s1
	s_lshl_b64 s[0:1], s[14:15], 1
	s_delay_alu instid0(SALU_CYCLE_1)
	s_add_u32 s0, s4, s0
	s_addc_u32 s1, s5, s1
	s_waitcnt lgkmcnt(0)
	global_store_b16 v0, v3, s[0:1]
.LBB307_15:
	s_and_not1_b32 vcc_lo, exec_lo, s15
	s_cbranch_vccnz .LBB307_17
; %bb.16:
	s_waitcnt lgkmcnt(0)
	v_cvt_f32_f16_e32 v0, v3
	s_lshl_b64 s[0:1], s[2:3], 2
	v_mov_b32_e32 v1, 0
	s_add_u32 s0, s6, s0
	s_addc_u32 s1, s7, s1
	global_store_b32 v1, v0, s[0:1]
.LBB307_17:
	s_nop 0
	s_sendmsg sendmsg(MSG_DEALLOC_VGPRS)
	s_endpgm
	.section	.rodata,"a",@progbits
	.p2align	6, 0x0
	.amdhsa_kernel _ZL18rocblas_dot_kernelIlLb0ELi512ELi4ELb1EfPKPKDF16_DF16_EviT5_lT_lS4_lS5_liPT6_PT4_
		.amdhsa_group_segment_fixed_size 64
		.amdhsa_private_segment_fixed_size 0
		.amdhsa_kernarg_size 352
		.amdhsa_user_sgpr_count 14
		.amdhsa_user_sgpr_dispatch_ptr 0
		.amdhsa_user_sgpr_queue_ptr 0
		.amdhsa_user_sgpr_kernarg_segment_ptr 1
		.amdhsa_user_sgpr_dispatch_id 0
		.amdhsa_user_sgpr_private_segment_size 0
		.amdhsa_wavefront_size32 1
		.amdhsa_uses_dynamic_stack 0
		.amdhsa_enable_private_segment 0
		.amdhsa_system_sgpr_workgroup_id_x 1
		.amdhsa_system_sgpr_workgroup_id_y 0
		.amdhsa_system_sgpr_workgroup_id_z 1
		.amdhsa_system_sgpr_workgroup_info 0
		.amdhsa_system_vgpr_workitem_id 0
		.amdhsa_next_free_vgpr 12
		.amdhsa_next_free_sgpr 29
		.amdhsa_reserve_vcc 1
		.amdhsa_float_round_mode_32 0
		.amdhsa_float_round_mode_16_64 0
		.amdhsa_float_denorm_mode_32 3
		.amdhsa_float_denorm_mode_16_64 3
		.amdhsa_dx10_clamp 1
		.amdhsa_ieee_mode 1
		.amdhsa_fp16_overflow 0
		.amdhsa_workgroup_processor_mode 1
		.amdhsa_memory_ordered 1
		.amdhsa_forward_progress 0
		.amdhsa_shared_vgpr_count 0
		.amdhsa_exception_fp_ieee_invalid_op 0
		.amdhsa_exception_fp_denorm_src 0
		.amdhsa_exception_fp_ieee_div_zero 0
		.amdhsa_exception_fp_ieee_overflow 0
		.amdhsa_exception_fp_ieee_underflow 0
		.amdhsa_exception_fp_ieee_inexact 0
		.amdhsa_exception_int_div_zero 0
	.end_amdhsa_kernel
	.section	.text._ZL18rocblas_dot_kernelIlLb0ELi512ELi4ELb1EfPKPKDF16_DF16_EviT5_lT_lS4_lS5_liPT6_PT4_,"axG",@progbits,_ZL18rocblas_dot_kernelIlLb0ELi512ELi4ELb1EfPKPKDF16_DF16_EviT5_lT_lS4_lS5_liPT6_PT4_,comdat
.Lfunc_end307:
	.size	_ZL18rocblas_dot_kernelIlLb0ELi512ELi4ELb1EfPKPKDF16_DF16_EviT5_lT_lS4_lS5_liPT6_PT4_, .Lfunc_end307-_ZL18rocblas_dot_kernelIlLb0ELi512ELi4ELb1EfPKPKDF16_DF16_EviT5_lT_lS4_lS5_liPT6_PT4_
                                        ; -- End function
	.section	.AMDGPU.csdata,"",@progbits
; Kernel info:
; codeLenInByte = 1256
; NumSgprs: 31
; NumVgprs: 12
; ScratchSize: 0
; MemoryBound: 0
; FloatMode: 240
; IeeeMode: 1
; LDSByteSize: 64 bytes/workgroup (compile time only)
; SGPRBlocks: 3
; VGPRBlocks: 1
; NumSGPRsForWavesPerEU: 31
; NumVGPRsForWavesPerEU: 12
; Occupancy: 16
; WaveLimiterHint : 0
; COMPUTE_PGM_RSRC2:SCRATCH_EN: 0
; COMPUTE_PGM_RSRC2:USER_SGPR: 14
; COMPUTE_PGM_RSRC2:TRAP_HANDLER: 0
; COMPUTE_PGM_RSRC2:TGID_X_EN: 1
; COMPUTE_PGM_RSRC2:TGID_Y_EN: 0
; COMPUTE_PGM_RSRC2:TGID_Z_EN: 1
; COMPUTE_PGM_RSRC2:TIDIG_COMP_CNT: 0
	.section	.text._ZL24rocblas_dot_kernel_magsqIlLb0ELi512ELi4ELb1EfPKPKDF16_DF16_EviT5_lT_liPT6_PT4_,"axG",@progbits,_ZL24rocblas_dot_kernel_magsqIlLb0ELi512ELi4ELb1EfPKPKDF16_DF16_EviT5_lT_liPT6_PT4_,comdat
	.globl	_ZL24rocblas_dot_kernel_magsqIlLb0ELi512ELi4ELb1EfPKPKDF16_DF16_EviT5_lT_liPT6_PT4_ ; -- Begin function _ZL24rocblas_dot_kernel_magsqIlLb0ELi512ELi4ELb1EfPKPKDF16_DF16_EviT5_lT_liPT6_PT4_
	.p2align	8
	.type	_ZL24rocblas_dot_kernel_magsqIlLb0ELi512ELi4ELb1EfPKPKDF16_DF16_EviT5_lT_liPT6_PT4_,@function
_ZL24rocblas_dot_kernel_magsqIlLb0ELi512ELi4ELb1EfPKPKDF16_DF16_EviT5_lT_liPT6_PT4_: ; @_ZL24rocblas_dot_kernel_magsqIlLb0ELi512ELi4ELb1EfPKPKDF16_DF16_EviT5_lT_liPT6_PT4_
; %bb.0:
	s_clause 0x2
	s_load_b32 s11, s[0:1], 0x0
	s_load_b128 s[4:7], s[0:1], 0x30
	s_load_b32 s10, s[0:1], 0x40
	v_lshl_or_b32 v1, s14, 9, v0
	v_mov_b32_e32 v3, 0
	s_mov_b32 s8, s15
	s_mov_b32 s9, 0
	s_mov_b32 s12, exec_lo
	s_waitcnt lgkmcnt(0)
	v_cmpx_gt_i32_e64 s11, v1
	s_cbranch_execz .LBB308_4
; %bb.1:
	s_clause 0x1
	s_load_b64 s[16:17], s[0:1], 0x8
	s_load_b128 s[0:3], s[0:1], 0x10
	s_lshl_b64 s[18:19], s[8:9], 3
	v_ashrrev_i32_e32 v2, 31, v1
	s_waitcnt lgkmcnt(0)
	s_add_u32 s16, s16, s18
	s_addc_u32 s17, s17, s19
	v_mul_lo_u32 v4, s3, v1
	s_load_b64 s[16:17], s[16:17], 0x0
	v_mul_lo_u32 v2, s2, v2
	v_mad_u64_u32 v[5:6], null, s2, v1, 0
	s_lshl_b32 s13, s10, 9
	v_mov_b32_e32 v3, 0
	s_lshl_b64 s[0:1], s[0:1], 1
	s_mul_hi_u32 s15, s2, s13
	s_mul_i32 s3, s3, s13
	s_delay_alu instid0(VALU_DEP_2) | instskip(SKIP_1) | instid1(VALU_DEP_2)
	v_add3_u32 v6, v6, v2, v4
	v_add_nc_u32_e32 v4, s13, v1
	v_lshlrev_b64 v[1:2], 1, v[5:6]
	s_waitcnt lgkmcnt(0)
	s_add_u32 s0, s16, s0
	s_addc_u32 s1, s17, s1
	s_ashr_i32 s16, s13, 31
	s_delay_alu instid0(VALU_DEP_1)
	v_add_co_u32 v1, vcc_lo, s0, v1
	s_mul_i32 s16, s2, s16
	v_add_co_ci_u32_e32 v2, vcc_lo, s1, v2, vcc_lo
	s_add_i32 s15, s15, s16
	s_mul_i32 s2, s2, s13
	s_add_i32 s3, s15, s3
	s_mov_b32 s1, s9
	s_lshl_b64 s[2:3], s[2:3], 1
	s_mov_b32 s15, s9
	.p2align	6
.LBB308_2:                              ; =>This Inner Loop Header: Depth=1
	global_load_u16 v5, v[1:2], off
	s_add_i32 s16, s15, 1
	v_cmp_le_i32_e32 vcc_lo, s11, v4
	v_add_co_u32 v1, s0, v1, s2
	s_cmp_gt_u32 s15, 2
	v_add_co_ci_u32_e64 v2, s0, s3, v2, s0
	s_cselect_b32 s0, -1, 0
	v_add_nc_u32_e32 v4, s13, v4
	s_or_b32 s0, s0, vcc_lo
	s_mov_b32 s15, s16
	s_and_b32 s0, exec_lo, s0
	s_delay_alu instid0(SALU_CYCLE_1)
	s_or_b32 s1, s0, s1
	s_waitcnt vmcnt(0)
	v_fmac_f16_e32 v3, v5, v5
	s_and_not1_b32 exec_lo, exec_lo, s1
	s_cbranch_execnz .LBB308_2
; %bb.3:
	s_or_b32 exec_lo, exec_lo, s1
.LBB308_4:
	s_delay_alu instid0(SALU_CYCLE_1) | instskip(SKIP_2) | instid1(VALU_DEP_2)
	s_or_b32 exec_lo, exec_lo, s12
	v_and_b32_e32 v5, 31, v0
	v_cmp_gt_u32_e32 vcc_lo, 32, v0
	v_lshlrev_b32_e32 v1, 1, v5
	s_and_saveexec_b32 s0, vcc_lo
	s_cbranch_execz .LBB308_6
; %bb.5:
	v_mov_b32_e32 v2, 0
	ds_store_b16 v1, v2
.LBB308_6:
	s_or_b32 exec_lo, exec_lo, s0
	v_mbcnt_lo_u32_b32 v7, -1, 0
	v_and_b32_e32 v4, 0xffff, v3
	s_mov_b32 s1, exec_lo
	s_waitcnt lgkmcnt(0)
	s_barrier
	v_cmp_gt_u32_e64 s0, 16, v7
	buffer_gl0_inv
	v_cndmask_b32_e64 v2, 0, 1, s0
	v_cmp_gt_u32_e64 s0, 24, v7
	s_delay_alu instid0(VALU_DEP_2) | instskip(NEXT) | instid1(VALU_DEP_1)
	v_lshlrev_b32_e32 v2, 4, v2
	v_add_lshl_u32 v2, v2, v7, 2
	ds_bpermute_b32 v4, v2, v4
	v_cndmask_b32_e64 v2, 0, 1, s0
	v_cmp_gt_u32_e64 s0, 28, v7
	s_delay_alu instid0(VALU_DEP_2) | instskip(NEXT) | instid1(VALU_DEP_1)
	v_lshlrev_b32_e32 v2, 3, v2
	v_add_lshl_u32 v2, v2, v7, 2
	s_waitcnt lgkmcnt(0)
	v_add_f16_e32 v3, v3, v4
	s_delay_alu instid0(VALU_DEP_1) | instskip(NEXT) | instid1(VALU_DEP_1)
	v_and_b32_e32 v6, 0xffff, v3
	v_and_or_b32 v4, 0xffff0000, v4, v6
	ds_bpermute_b32 v6, v2, v4
	v_cndmask_b32_e64 v4, 0, 1, s0
	v_cmp_gt_u32_e64 s0, 30, v7
	s_delay_alu instid0(VALU_DEP_2) | instskip(NEXT) | instid1(VALU_DEP_1)
	v_lshlrev_b32_e32 v4, 2, v4
	v_add_lshl_u32 v4, v4, v7, 2
	s_waitcnt lgkmcnt(0)
	v_add_f16_e32 v3, v3, v6
	s_delay_alu instid0(VALU_DEP_1) | instskip(NEXT) | instid1(VALU_DEP_1)
	v_and_b32_e32 v8, 0xffff, v3
	v_and_or_b32 v6, 0xffff0000, v6, v8
	ds_bpermute_b32 v8, v4, v6
	v_cndmask_b32_e64 v6, 0, 1, s0
	v_cmp_ne_u32_e64 s0, 31, v7
	s_delay_alu instid0(VALU_DEP_2) | instskip(NEXT) | instid1(VALU_DEP_1)
	v_lshlrev_b32_e32 v6, 1, v6
	v_add_lshl_u32 v6, v6, v7, 2
	s_delay_alu instid0(VALU_DEP_3) | instskip(NEXT) | instid1(VALU_DEP_1)
	v_add_co_ci_u32_e64 v7, s0, 0, v7, s0
	v_lshlrev_b32_e32 v7, 2, v7
	s_waitcnt lgkmcnt(0)
	v_add_f16_e32 v3, v3, v8
	s_delay_alu instid0(VALU_DEP_1) | instskip(NEXT) | instid1(VALU_DEP_1)
	v_and_b32_e32 v9, 0xffff, v3
	v_and_or_b32 v8, 0xffff0000, v8, v9
	ds_bpermute_b32 v8, v6, v8
	s_waitcnt lgkmcnt(0)
	v_add_f16_e32 v3, v3, v8
	s_delay_alu instid0(VALU_DEP_1) | instskip(NEXT) | instid1(VALU_DEP_1)
	v_and_b32_e32 v9, 0xffff, v3
	v_and_or_b32 v8, 0xffff0000, v8, v9
	ds_bpermute_b32 v8, v7, v8
	v_cmpx_eq_u32_e32 0, v5
	s_cbranch_execz .LBB308_8
; %bb.7:
	v_lshrrev_b32_e32 v5, 4, v0
	s_waitcnt lgkmcnt(0)
	v_add_f16_e32 v3, v3, v8
	s_delay_alu instid0(VALU_DEP_2)
	v_and_b32_e32 v5, 30, v5
	ds_store_b16 v5, v3
.LBB308_8:
	s_or_b32 exec_lo, exec_lo, s1
	v_mov_b32_e32 v3, 0
	s_mov_b32 s1, exec_lo
	s_waitcnt lgkmcnt(0)
	s_barrier
	buffer_gl0_inv
	v_cmpx_gt_u32_e32 16, v0
	s_cbranch_execz .LBB308_10
; %bb.9:
	ds_load_u16 v3, v1
.LBB308_10:
	s_or_b32 exec_lo, exec_lo, s1
	s_and_saveexec_b32 s0, vcc_lo
	s_cbranch_execz .LBB308_12
; %bb.11:
	s_waitcnt lgkmcnt(0)
	v_and_b32_e32 v1, 0xffff, v3
	ds_bpermute_b32 v1, v2, v1
	s_waitcnt lgkmcnt(0)
	v_add_f16_e32 v2, v3, v1
	s_delay_alu instid0(VALU_DEP_1) | instskip(NEXT) | instid1(VALU_DEP_1)
	v_and_b32_e32 v3, 0xffff, v2
	v_and_or_b32 v1, 0xffff0000, v1, v3
	ds_bpermute_b32 v1, v4, v1
	s_waitcnt lgkmcnt(0)
	v_add_f16_e32 v2, v2, v1
	s_delay_alu instid0(VALU_DEP_1) | instskip(NEXT) | instid1(VALU_DEP_1)
	v_and_b32_e32 v3, 0xffff, v2
	v_and_or_b32 v1, 0xffff0000, v1, v3
	;; [unrolled: 6-line block ×3, first 2 shown]
	ds_bpermute_b32 v1, v7, v1
	s_waitcnt lgkmcnt(0)
	v_add_f16_e32 v3, v2, v1
.LBB308_12:
	s_or_b32 exec_lo, exec_lo, s0
	s_delay_alu instid0(SALU_CYCLE_1)
	s_mov_b32 s0, exec_lo
	v_cmpx_eq_u32_e32 0, v0
	s_cbranch_execz .LBB308_17
; %bb.13:
	s_cmp_lg_u32 s10, 1
	s_mov_b32 s15, -1
	s_cbranch_scc0 .LBB308_15
; %bb.14:
	s_mul_hi_u32 s1, s10, s8
	s_mul_i32 s0, s10, s8
	s_mov_b32 s15, 0
	s_lshl_b64 s[0:1], s[0:1], 1
	v_mov_b32_e32 v0, 0
	s_add_u32 s2, s4, s0
	s_addc_u32 s3, s5, s1
	s_lshl_b64 s[0:1], s[14:15], 1
	s_delay_alu instid0(SALU_CYCLE_1)
	s_add_u32 s0, s2, s0
	s_addc_u32 s1, s3, s1
	s_waitcnt lgkmcnt(0)
	global_store_b16 v0, v3, s[0:1]
.LBB308_15:
	s_and_not1_b32 vcc_lo, exec_lo, s15
	s_cbranch_vccnz .LBB308_17
; %bb.16:
	s_waitcnt lgkmcnt(0)
	v_cvt_f32_f16_e32 v0, v3
	s_lshl_b64 s[0:1], s[8:9], 2
	v_mov_b32_e32 v1, 0
	s_add_u32 s0, s6, s0
	s_addc_u32 s1, s7, s1
	global_store_b32 v1, v0, s[0:1]
.LBB308_17:
	s_nop 0
	s_sendmsg sendmsg(MSG_DEALLOC_VGPRS)
	s_endpgm
	.section	.rodata,"a",@progbits
	.p2align	6, 0x0
	.amdhsa_kernel _ZL24rocblas_dot_kernel_magsqIlLb0ELi512ELi4ELb1EfPKPKDF16_DF16_EviT5_lT_liPT6_PT4_
		.amdhsa_group_segment_fixed_size 64
		.amdhsa_private_segment_fixed_size 0
		.amdhsa_kernarg_size 320
		.amdhsa_user_sgpr_count 14
		.amdhsa_user_sgpr_dispatch_ptr 0
		.amdhsa_user_sgpr_queue_ptr 0
		.amdhsa_user_sgpr_kernarg_segment_ptr 1
		.amdhsa_user_sgpr_dispatch_id 0
		.amdhsa_user_sgpr_private_segment_size 0
		.amdhsa_wavefront_size32 1
		.amdhsa_uses_dynamic_stack 0
		.amdhsa_enable_private_segment 0
		.amdhsa_system_sgpr_workgroup_id_x 1
		.amdhsa_system_sgpr_workgroup_id_y 0
		.amdhsa_system_sgpr_workgroup_id_z 1
		.amdhsa_system_sgpr_workgroup_info 0
		.amdhsa_system_vgpr_workitem_id 0
		.amdhsa_next_free_vgpr 10
		.amdhsa_next_free_sgpr 20
		.amdhsa_reserve_vcc 1
		.amdhsa_float_round_mode_32 0
		.amdhsa_float_round_mode_16_64 0
		.amdhsa_float_denorm_mode_32 3
		.amdhsa_float_denorm_mode_16_64 3
		.amdhsa_dx10_clamp 1
		.amdhsa_ieee_mode 1
		.amdhsa_fp16_overflow 0
		.amdhsa_workgroup_processor_mode 1
		.amdhsa_memory_ordered 1
		.amdhsa_forward_progress 0
		.amdhsa_shared_vgpr_count 0
		.amdhsa_exception_fp_ieee_invalid_op 0
		.amdhsa_exception_fp_denorm_src 0
		.amdhsa_exception_fp_ieee_div_zero 0
		.amdhsa_exception_fp_ieee_overflow 0
		.amdhsa_exception_fp_ieee_underflow 0
		.amdhsa_exception_fp_ieee_inexact 0
		.amdhsa_exception_int_div_zero 0
	.end_amdhsa_kernel
	.section	.text._ZL24rocblas_dot_kernel_magsqIlLb0ELi512ELi4ELb1EfPKPKDF16_DF16_EviT5_lT_liPT6_PT4_,"axG",@progbits,_ZL24rocblas_dot_kernel_magsqIlLb0ELi512ELi4ELb1EfPKPKDF16_DF16_EviT5_lT_liPT6_PT4_,comdat
.Lfunc_end308:
	.size	_ZL24rocblas_dot_kernel_magsqIlLb0ELi512ELi4ELb1EfPKPKDF16_DF16_EviT5_lT_liPT6_PT4_, .Lfunc_end308-_ZL24rocblas_dot_kernel_magsqIlLb0ELi512ELi4ELb1EfPKPKDF16_DF16_EviT5_lT_liPT6_PT4_
                                        ; -- End function
	.section	.AMDGPU.csdata,"",@progbits
; Kernel info:
; codeLenInByte = 1108
; NumSgprs: 22
; NumVgprs: 10
; ScratchSize: 0
; MemoryBound: 0
; FloatMode: 240
; IeeeMode: 1
; LDSByteSize: 64 bytes/workgroup (compile time only)
; SGPRBlocks: 2
; VGPRBlocks: 1
; NumSGPRsForWavesPerEU: 22
; NumVGPRsForWavesPerEU: 10
; Occupancy: 16
; WaveLimiterHint : 0
; COMPUTE_PGM_RSRC2:SCRATCH_EN: 0
; COMPUTE_PGM_RSRC2:USER_SGPR: 14
; COMPUTE_PGM_RSRC2:TRAP_HANDLER: 0
; COMPUTE_PGM_RSRC2:TGID_X_EN: 1
; COMPUTE_PGM_RSRC2:TGID_Y_EN: 0
; COMPUTE_PGM_RSRC2:TGID_Z_EN: 1
; COMPUTE_PGM_RSRC2:TIDIG_COMP_CNT: 0
	.section	.text._ZL28rocblas_dot_batched_4_kernelIlLi32ELi4ELb1EffPK16rocblas_bfloat16EviT5_lT_lS3_lS4_liPT4_,"axG",@progbits,_ZL28rocblas_dot_batched_4_kernelIlLi32ELi4ELb1EffPK16rocblas_bfloat16EviT5_lT_lS3_lS4_liPT4_,comdat
	.globl	_ZL28rocblas_dot_batched_4_kernelIlLi32ELi4ELb1EffPK16rocblas_bfloat16EviT5_lT_lS3_lS4_liPT4_ ; -- Begin function _ZL28rocblas_dot_batched_4_kernelIlLi32ELi4ELb1EffPK16rocblas_bfloat16EviT5_lT_lS3_lS4_liPT4_
	.p2align	8
	.type	_ZL28rocblas_dot_batched_4_kernelIlLi32ELi4ELb1EffPK16rocblas_bfloat16EviT5_lT_lS3_lS4_liPT4_,@function
_ZL28rocblas_dot_batched_4_kernelIlLi32ELi4ELb1EffPK16rocblas_bfloat16EviT5_lT_lS3_lS4_liPT4_: ; @_ZL28rocblas_dot_batched_4_kernelIlLi32ELi4ELb1EffPK16rocblas_bfloat16EviT5_lT_lS3_lS4_liPT4_
; %bb.0:
	s_load_b32 s2, s[0:1], 0x48
	v_bfe_u32 v1, v0, 10, 10
	s_delay_alu instid0(VALU_DEP_1) | instskip(SKIP_1) | instid1(VALU_DEP_1)
	v_lshl_add_u32 v1, s15, 2, v1
	s_waitcnt lgkmcnt(0)
	v_cmp_gt_u32_e32 vcc_lo, s2, v1
	s_and_saveexec_b32 s2, vcc_lo
	s_cbranch_execz .LBB309_7
; %bb.1:
	s_clause 0x1
	s_load_b32 s16, s[0:1], 0x0
	s_load_b64 s[2:3], s[0:1], 0x50
	v_mov_b32_e32 v2, 0
	v_and_b32_e32 v0, 0x3ff, v0
	s_mov_b32 s17, exec_lo
	s_delay_alu instid0(VALU_DEP_2) | instskip(SKIP_1) | instid1(VALU_DEP_2)
	v_mov_b32_e32 v7, v2
	s_waitcnt lgkmcnt(0)
	v_cmpx_gt_i32_e64 s16, v0
	s_cbranch_execz .LBB309_5
; %bb.2:
	s_clause 0x3
	s_load_b128 s[12:15], s[0:1], 0x10
	s_load_b256 s[4:11], s[0:1], 0x20
	s_load_b64 s[18:19], s[0:1], 0x40
	s_load_b64 s[0:1], s[0:1], 0x8
	s_waitcnt lgkmcnt(0)
	v_mad_u64_u32 v[3:4], null, s14, v0, 0
	v_mad_u64_u32 v[5:6], null, s4, v1, 0
	v_mad_u64_u32 v[8:9], null, s10, v0, 0
	v_mad_u64_u32 v[10:11], null, s18, v1, 0
	s_lshl_b64 s[12:13], s[12:13], 1
	s_delay_alu instid0(VALU_DEP_3) | instskip(SKIP_4) | instid1(VALU_DEP_2)
	v_mad_u64_u32 v[12:13], null, s15, v0, v[4:5]
	v_mov_b32_e32 v7, 0
	s_add_u32 s12, s0, s12
	s_addc_u32 s13, s1, s13
	s_lshl_b64 s[0:1], s[8:9], 1
	v_mov_b32_e32 v4, v12
	v_mad_u64_u32 v[13:14], null, s5, v1, v[6:7]
	v_mad_u64_u32 v[14:15], null, s11, v0, v[9:10]
	;; [unrolled: 1-line block ×3, first 2 shown]
	s_delay_alu instid0(VALU_DEP_4) | instskip(SKIP_1) | instid1(VALU_DEP_4)
	v_lshlrev_b64 v[3:4], 1, v[3:4]
	s_lshl_b64 s[4:5], s[14:15], 6
	v_mov_b32_e32 v6, v13
	s_add_u32 s0, s6, s0
	s_delay_alu instid0(VALU_DEP_4) | instskip(SKIP_1) | instid1(VALU_DEP_4)
	v_mov_b32_e32 v9, v14
	s_addc_u32 s1, s7, s1
	v_mov_b32_e32 v11, v15
	v_lshlrev_b64 v[5:6], 1, v[5:6]
	s_lshl_b64 s[6:7], s[10:11], 6
	v_lshlrev_b64 v[8:9], 1, v[8:9]
	s_delay_alu instid0(VALU_DEP_3) | instskip(NEXT) | instid1(VALU_DEP_3)
	v_lshlrev_b64 v[10:11], 1, v[10:11]
	v_add_co_u32 v3, vcc_lo, v3, v5
	s_delay_alu instid0(VALU_DEP_4) | instskip(NEXT) | instid1(VALU_DEP_3)
	v_add_co_ci_u32_e32 v4, vcc_lo, v4, v6, vcc_lo
	v_add_co_u32 v5, vcc_lo, v8, v10
	v_mov_b32_e32 v8, v0
	v_add_co_ci_u32_e32 v6, vcc_lo, v9, v11, vcc_lo
	v_add_co_u32 v3, vcc_lo, s12, v3
	v_add_co_ci_u32_e32 v4, vcc_lo, s13, v4, vcc_lo
	v_add_co_u32 v5, vcc_lo, s0, v5
	s_delay_alu instid0(VALU_DEP_4)
	v_add_co_ci_u32_e32 v6, vcc_lo, s1, v6, vcc_lo
	s_mov_b32 s1, 0
	.p2align	6
.LBB309_3:                              ; =>This Inner Loop Header: Depth=1
	global_load_u16 v9, v[5:6], off
	global_load_u16 v10, v[3:4], off
	v_add_co_u32 v3, vcc_lo, v3, s4
	v_add_co_ci_u32_e32 v4, vcc_lo, s5, v4, vcc_lo
	v_add_co_u32 v5, vcc_lo, v5, s6
	v_add_co_ci_u32_e32 v6, vcc_lo, s7, v6, vcc_lo
	s_waitcnt vmcnt(1)
	v_lshlrev_b32_e32 v9, 16, v9
	s_waitcnt vmcnt(0)
	v_lshlrev_b32_e32 v10, 16, v10
	s_delay_alu instid0(VALU_DEP_1) | instskip(NEXT) | instid1(VALU_DEP_1)
	v_dual_fmac_f32 v7, v10, v9 :: v_dual_add_nc_u32 v8, 32, v8
	v_cmp_le_i32_e64 s0, s16, v8
	s_delay_alu instid0(VALU_DEP_1) | instskip(NEXT) | instid1(SALU_CYCLE_1)
	s_or_b32 s1, s0, s1
	s_and_not1_b32 exec_lo, exec_lo, s1
	s_cbranch_execnz .LBB309_3
; %bb.4:
	s_or_b32 exec_lo, exec_lo, s1
.LBB309_5:
	s_delay_alu instid0(SALU_CYCLE_1)
	s_or_b32 exec_lo, exec_lo, s17
	v_mbcnt_lo_u32_b32 v3, -1, 0
	s_barrier
	buffer_gl0_inv
	v_cmp_gt_u32_e32 vcc_lo, 16, v3
	v_cndmask_b32_e64 v4, 0, 1, vcc_lo
	v_cmp_gt_u32_e32 vcc_lo, 24, v3
	s_delay_alu instid0(VALU_DEP_2) | instskip(SKIP_2) | instid1(VALU_DEP_3)
	v_lshlrev_b32_e32 v4, 4, v4
	v_cndmask_b32_e64 v5, 0, 1, vcc_lo
	v_cmp_gt_u32_e32 vcc_lo, 28, v3
	v_add_lshl_u32 v4, v4, v3, 2
	v_cndmask_b32_e64 v6, 0, 1, vcc_lo
	v_cmp_gt_u32_e32 vcc_lo, 30, v3
	ds_bpermute_b32 v4, v4, v7
	v_lshlrev_b32_e32 v5, 3, v5
	v_lshlrev_b32_e32 v6, 2, v6
	s_delay_alu instid0(VALU_DEP_1)
	v_add_lshl_u32 v6, v6, v3, 2
	s_waitcnt lgkmcnt(0)
	v_add_f32_e32 v4, v7, v4
	v_add_lshl_u32 v5, v5, v3, 2
	ds_bpermute_b32 v5, v5, v4
	s_waitcnt lgkmcnt(0)
	v_add_f32_e32 v4, v4, v5
	ds_bpermute_b32 v5, v6, v4
	v_cndmask_b32_e64 v6, 0, 1, vcc_lo
	v_cmp_ne_u32_e32 vcc_lo, 31, v3
	s_delay_alu instid0(VALU_DEP_2) | instskip(NEXT) | instid1(VALU_DEP_1)
	v_lshlrev_b32_e32 v6, 1, v6
	v_add_lshl_u32 v6, v6, v3, 2
	s_waitcnt lgkmcnt(0)
	v_add_f32_e32 v4, v4, v5
	ds_bpermute_b32 v5, v6, v4
	v_add_co_ci_u32_e32 v6, vcc_lo, 0, v3, vcc_lo
	v_cmp_eq_u32_e32 vcc_lo, 0, v0
	s_waitcnt lgkmcnt(0)
	s_delay_alu instid0(VALU_DEP_2)
	v_dual_add_f32 v3, v4, v5 :: v_dual_lshlrev_b32 v4, 2, v6
	ds_bpermute_b32 v4, v4, v3
	s_and_b32 exec_lo, exec_lo, vcc_lo
	s_cbranch_execz .LBB309_7
; %bb.6:
	v_lshlrev_b64 v[0:1], 2, v[1:2]
	s_waitcnt lgkmcnt(0)
	v_add_f32_e32 v2, v3, v4
	s_delay_alu instid0(VALU_DEP_2) | instskip(NEXT) | instid1(VALU_DEP_3)
	v_add_co_u32 v0, vcc_lo, s2, v0
	v_add_co_ci_u32_e32 v1, vcc_lo, s3, v1, vcc_lo
	global_store_b32 v[0:1], v2, off
.LBB309_7:
	s_nop 0
	s_sendmsg sendmsg(MSG_DEALLOC_VGPRS)
	s_endpgm
	.section	.rodata,"a",@progbits
	.p2align	6, 0x0
	.amdhsa_kernel _ZL28rocblas_dot_batched_4_kernelIlLi32ELi4ELb1EffPK16rocblas_bfloat16EviT5_lT_lS3_lS4_liPT4_
		.amdhsa_group_segment_fixed_size 0
		.amdhsa_private_segment_fixed_size 0
		.amdhsa_kernarg_size 88
		.amdhsa_user_sgpr_count 15
		.amdhsa_user_sgpr_dispatch_ptr 0
		.amdhsa_user_sgpr_queue_ptr 0
		.amdhsa_user_sgpr_kernarg_segment_ptr 1
		.amdhsa_user_sgpr_dispatch_id 0
		.amdhsa_user_sgpr_private_segment_size 0
		.amdhsa_wavefront_size32 1
		.amdhsa_uses_dynamic_stack 0
		.amdhsa_enable_private_segment 0
		.amdhsa_system_sgpr_workgroup_id_x 1
		.amdhsa_system_sgpr_workgroup_id_y 0
		.amdhsa_system_sgpr_workgroup_id_z 0
		.amdhsa_system_sgpr_workgroup_info 0
		.amdhsa_system_vgpr_workitem_id 1
		.amdhsa_next_free_vgpr 17
		.amdhsa_next_free_sgpr 20
		.amdhsa_reserve_vcc 1
		.amdhsa_float_round_mode_32 0
		.amdhsa_float_round_mode_16_64 0
		.amdhsa_float_denorm_mode_32 3
		.amdhsa_float_denorm_mode_16_64 3
		.amdhsa_dx10_clamp 1
		.amdhsa_ieee_mode 1
		.amdhsa_fp16_overflow 0
		.amdhsa_workgroup_processor_mode 1
		.amdhsa_memory_ordered 1
		.amdhsa_forward_progress 0
		.amdhsa_shared_vgpr_count 0
		.amdhsa_exception_fp_ieee_invalid_op 0
		.amdhsa_exception_fp_denorm_src 0
		.amdhsa_exception_fp_ieee_div_zero 0
		.amdhsa_exception_fp_ieee_overflow 0
		.amdhsa_exception_fp_ieee_underflow 0
		.amdhsa_exception_fp_ieee_inexact 0
		.amdhsa_exception_int_div_zero 0
	.end_amdhsa_kernel
	.section	.text._ZL28rocblas_dot_batched_4_kernelIlLi32ELi4ELb1EffPK16rocblas_bfloat16EviT5_lT_lS3_lS4_liPT4_,"axG",@progbits,_ZL28rocblas_dot_batched_4_kernelIlLi32ELi4ELb1EffPK16rocblas_bfloat16EviT5_lT_lS3_lS4_liPT4_,comdat
.Lfunc_end309:
	.size	_ZL28rocblas_dot_batched_4_kernelIlLi32ELi4ELb1EffPK16rocblas_bfloat16EviT5_lT_lS3_lS4_liPT4_, .Lfunc_end309-_ZL28rocblas_dot_batched_4_kernelIlLi32ELi4ELb1EffPK16rocblas_bfloat16EviT5_lT_lS3_lS4_liPT4_
                                        ; -- End function
	.section	.AMDGPU.csdata,"",@progbits
; Kernel info:
; codeLenInByte = 756
; NumSgprs: 22
; NumVgprs: 17
; ScratchSize: 0
; MemoryBound: 0
; FloatMode: 240
; IeeeMode: 1
; LDSByteSize: 0 bytes/workgroup (compile time only)
; SGPRBlocks: 2
; VGPRBlocks: 2
; NumSGPRsForWavesPerEU: 22
; NumVGPRsForWavesPerEU: 17
; Occupancy: 16
; WaveLimiterHint : 0
; COMPUTE_PGM_RSRC2:SCRATCH_EN: 0
; COMPUTE_PGM_RSRC2:USER_SGPR: 15
; COMPUTE_PGM_RSRC2:TRAP_HANDLER: 0
; COMPUTE_PGM_RSRC2:TGID_X_EN: 1
; COMPUTE_PGM_RSRC2:TGID_Y_EN: 0
; COMPUTE_PGM_RSRC2:TGID_Z_EN: 0
; COMPUTE_PGM_RSRC2:TIDIG_COMP_CNT: 1
	.section	.text._ZL28rocblas_dot_batched_4_kernelIlLi64ELi4ELb1EffPK16rocblas_bfloat16EviT5_lT_lS3_lS4_liPT4_,"axG",@progbits,_ZL28rocblas_dot_batched_4_kernelIlLi64ELi4ELb1EffPK16rocblas_bfloat16EviT5_lT_lS3_lS4_liPT4_,comdat
	.globl	_ZL28rocblas_dot_batched_4_kernelIlLi64ELi4ELb1EffPK16rocblas_bfloat16EviT5_lT_lS3_lS4_liPT4_ ; -- Begin function _ZL28rocblas_dot_batched_4_kernelIlLi64ELi4ELb1EffPK16rocblas_bfloat16EviT5_lT_lS3_lS4_liPT4_
	.p2align	8
	.type	_ZL28rocblas_dot_batched_4_kernelIlLi64ELi4ELb1EffPK16rocblas_bfloat16EviT5_lT_lS3_lS4_liPT4_,@function
_ZL28rocblas_dot_batched_4_kernelIlLi64ELi4ELb1EffPK16rocblas_bfloat16EviT5_lT_lS3_lS4_liPT4_: ; @_ZL28rocblas_dot_batched_4_kernelIlLi64ELi4ELb1EffPK16rocblas_bfloat16EviT5_lT_lS3_lS4_liPT4_
; %bb.0:
	s_load_b32 s2, s[0:1], 0x48
	v_bfe_u32 v1, v0, 10, 10
	s_delay_alu instid0(VALU_DEP_1) | instskip(SKIP_1) | instid1(VALU_DEP_1)
	v_lshl_add_u32 v1, s15, 2, v1
	s_waitcnt lgkmcnt(0)
	v_cmp_gt_u32_e32 vcc_lo, s2, v1
	s_and_saveexec_b32 s2, vcc_lo
	s_cbranch_execz .LBB310_7
; %bb.1:
	s_clause 0x1
	s_load_b32 s16, s[0:1], 0x0
	s_load_b64 s[2:3], s[0:1], 0x50
	v_mov_b32_e32 v2, 0
	v_and_b32_e32 v0, 0x3ff, v0
	s_mov_b32 s17, exec_lo
	s_delay_alu instid0(VALU_DEP_2) | instskip(SKIP_1) | instid1(VALU_DEP_2)
	v_mov_b32_e32 v7, v2
	s_waitcnt lgkmcnt(0)
	v_cmpx_gt_i32_e64 s16, v0
	s_cbranch_execz .LBB310_5
; %bb.2:
	s_clause 0x3
	s_load_b128 s[12:15], s[0:1], 0x10
	s_load_b256 s[4:11], s[0:1], 0x20
	s_load_b64 s[18:19], s[0:1], 0x40
	s_load_b64 s[0:1], s[0:1], 0x8
	s_waitcnt lgkmcnt(0)
	v_mad_u64_u32 v[3:4], null, s14, v0, 0
	v_mad_u64_u32 v[5:6], null, s4, v1, 0
	;; [unrolled: 1-line block ×4, first 2 shown]
	s_lshl_b64 s[12:13], s[12:13], 1
	s_delay_alu instid0(VALU_DEP_3) | instskip(SKIP_4) | instid1(VALU_DEP_2)
	v_mad_u64_u32 v[12:13], null, s15, v0, v[4:5]
	v_mov_b32_e32 v7, 0
	s_add_u32 s12, s0, s12
	s_addc_u32 s13, s1, s13
	s_lshl_b64 s[0:1], s[8:9], 1
	v_mov_b32_e32 v4, v12
	v_mad_u64_u32 v[13:14], null, s5, v1, v[6:7]
	v_mad_u64_u32 v[14:15], null, s11, v0, v[9:10]
	;; [unrolled: 1-line block ×3, first 2 shown]
	s_delay_alu instid0(VALU_DEP_4) | instskip(SKIP_1) | instid1(VALU_DEP_4)
	v_lshlrev_b64 v[3:4], 1, v[3:4]
	s_lshl_b64 s[4:5], s[14:15], 7
	v_mov_b32_e32 v6, v13
	s_add_u32 s0, s6, s0
	s_delay_alu instid0(VALU_DEP_4) | instskip(SKIP_1) | instid1(VALU_DEP_4)
	v_mov_b32_e32 v9, v14
	s_addc_u32 s1, s7, s1
	v_mov_b32_e32 v11, v15
	v_lshlrev_b64 v[5:6], 1, v[5:6]
	s_lshl_b64 s[6:7], s[10:11], 7
	v_lshlrev_b64 v[8:9], 1, v[8:9]
	s_delay_alu instid0(VALU_DEP_3) | instskip(NEXT) | instid1(VALU_DEP_3)
	v_lshlrev_b64 v[10:11], 1, v[10:11]
	v_add_co_u32 v3, vcc_lo, v3, v5
	s_delay_alu instid0(VALU_DEP_4) | instskip(NEXT) | instid1(VALU_DEP_3)
	v_add_co_ci_u32_e32 v4, vcc_lo, v4, v6, vcc_lo
	v_add_co_u32 v5, vcc_lo, v8, v10
	v_mov_b32_e32 v8, v0
	v_add_co_ci_u32_e32 v6, vcc_lo, v9, v11, vcc_lo
	v_add_co_u32 v3, vcc_lo, s12, v3
	v_add_co_ci_u32_e32 v4, vcc_lo, s13, v4, vcc_lo
	v_add_co_u32 v5, vcc_lo, s0, v5
	s_delay_alu instid0(VALU_DEP_4)
	v_add_co_ci_u32_e32 v6, vcc_lo, s1, v6, vcc_lo
	s_mov_b32 s1, 0
	.p2align	6
.LBB310_3:                              ; =>This Inner Loop Header: Depth=1
	global_load_u16 v9, v[5:6], off
	global_load_u16 v10, v[3:4], off
	v_add_co_u32 v3, vcc_lo, v3, s4
	v_add_co_ci_u32_e32 v4, vcc_lo, s5, v4, vcc_lo
	v_add_co_u32 v5, vcc_lo, v5, s6
	v_add_co_ci_u32_e32 v6, vcc_lo, s7, v6, vcc_lo
	s_waitcnt vmcnt(1)
	v_lshlrev_b32_e32 v9, 16, v9
	s_waitcnt vmcnt(0)
	v_lshlrev_b32_e32 v10, 16, v10
	s_delay_alu instid0(VALU_DEP_1) | instskip(NEXT) | instid1(VALU_DEP_1)
	v_dual_fmac_f32 v7, v10, v9 :: v_dual_add_nc_u32 v8, 64, v8
	v_cmp_le_i32_e64 s0, s16, v8
	s_delay_alu instid0(VALU_DEP_1) | instskip(NEXT) | instid1(SALU_CYCLE_1)
	s_or_b32 s1, s0, s1
	s_and_not1_b32 exec_lo, exec_lo, s1
	s_cbranch_execnz .LBB310_3
; %bb.4:
	s_or_b32 exec_lo, exec_lo, s1
.LBB310_5:
	s_delay_alu instid0(SALU_CYCLE_1)
	s_or_b32 exec_lo, exec_lo, s17
	v_mbcnt_lo_u32_b32 v3, -1, 0
	s_barrier
	buffer_gl0_inv
	v_lshlrev_b32_e32 v4, 2, v3
	v_cmp_gt_u32_e32 vcc_lo, 16, v3
	ds_bpermute_b32 v4, v4, v7
	v_cndmask_b32_e64 v5, 0, 1, vcc_lo
	v_cmp_gt_u32_e32 vcc_lo, 24, v3
	s_delay_alu instid0(VALU_DEP_2) | instskip(SKIP_2) | instid1(VALU_DEP_2)
	v_lshlrev_b32_e32 v5, 4, v5
	v_cndmask_b32_e64 v6, 0, 1, vcc_lo
	v_cmp_gt_u32_e32 vcc_lo, 28, v3
	v_lshlrev_b32_e32 v6, 3, v6
	s_delay_alu instid0(VALU_DEP_1)
	v_add_lshl_u32 v6, v6, v3, 2
	s_waitcnt lgkmcnt(0)
	v_add_f32_e32 v4, v7, v4
	v_add_lshl_u32 v5, v5, v3, 2
	ds_bpermute_b32 v5, v5, v4
	s_waitcnt lgkmcnt(0)
	v_add_f32_e32 v4, v4, v5
	ds_bpermute_b32 v5, v6, v4
	v_cndmask_b32_e64 v6, 0, 1, vcc_lo
	v_cmp_gt_u32_e32 vcc_lo, 30, v3
	s_delay_alu instid0(VALU_DEP_2) | instskip(NEXT) | instid1(VALU_DEP_1)
	v_lshlrev_b32_e32 v6, 2, v6
	v_add_lshl_u32 v6, v6, v3, 2
	s_waitcnt lgkmcnt(0)
	v_add_f32_e32 v4, v4, v5
	ds_bpermute_b32 v5, v6, v4
	v_cndmask_b32_e64 v6, 0, 1, vcc_lo
	v_cmp_ne_u32_e32 vcc_lo, 31, v3
	s_delay_alu instid0(VALU_DEP_2) | instskip(NEXT) | instid1(VALU_DEP_1)
	v_lshlrev_b32_e32 v6, 1, v6
	v_add_lshl_u32 v6, v6, v3, 2
	s_waitcnt lgkmcnt(0)
	v_add_f32_e32 v4, v4, v5
	ds_bpermute_b32 v5, v6, v4
	v_add_co_ci_u32_e32 v6, vcc_lo, 0, v3, vcc_lo
	v_cmp_eq_u32_e32 vcc_lo, 0, v0
	s_waitcnt lgkmcnt(0)
	s_delay_alu instid0(VALU_DEP_2)
	v_dual_add_f32 v3, v4, v5 :: v_dual_lshlrev_b32 v4, 2, v6
	ds_bpermute_b32 v4, v4, v3
	s_and_b32 exec_lo, exec_lo, vcc_lo
	s_cbranch_execz .LBB310_7
; %bb.6:
	v_lshlrev_b64 v[0:1], 2, v[1:2]
	s_waitcnt lgkmcnt(0)
	v_add_f32_e32 v2, v3, v4
	s_delay_alu instid0(VALU_DEP_2) | instskip(NEXT) | instid1(VALU_DEP_3)
	v_add_co_u32 v0, vcc_lo, s2, v0
	v_add_co_ci_u32_e32 v1, vcc_lo, s3, v1, vcc_lo
	global_store_b32 v[0:1], v2, off
.LBB310_7:
	s_nop 0
	s_sendmsg sendmsg(MSG_DEALLOC_VGPRS)
	s_endpgm
	.section	.rodata,"a",@progbits
	.p2align	6, 0x0
	.amdhsa_kernel _ZL28rocblas_dot_batched_4_kernelIlLi64ELi4ELb1EffPK16rocblas_bfloat16EviT5_lT_lS3_lS4_liPT4_
		.amdhsa_group_segment_fixed_size 0
		.amdhsa_private_segment_fixed_size 0
		.amdhsa_kernarg_size 88
		.amdhsa_user_sgpr_count 15
		.amdhsa_user_sgpr_dispatch_ptr 0
		.amdhsa_user_sgpr_queue_ptr 0
		.amdhsa_user_sgpr_kernarg_segment_ptr 1
		.amdhsa_user_sgpr_dispatch_id 0
		.amdhsa_user_sgpr_private_segment_size 0
		.amdhsa_wavefront_size32 1
		.amdhsa_uses_dynamic_stack 0
		.amdhsa_enable_private_segment 0
		.amdhsa_system_sgpr_workgroup_id_x 1
		.amdhsa_system_sgpr_workgroup_id_y 0
		.amdhsa_system_sgpr_workgroup_id_z 0
		.amdhsa_system_sgpr_workgroup_info 0
		.amdhsa_system_vgpr_workitem_id 1
		.amdhsa_next_free_vgpr 17
		.amdhsa_next_free_sgpr 20
		.amdhsa_reserve_vcc 1
		.amdhsa_float_round_mode_32 0
		.amdhsa_float_round_mode_16_64 0
		.amdhsa_float_denorm_mode_32 3
		.amdhsa_float_denorm_mode_16_64 3
		.amdhsa_dx10_clamp 1
		.amdhsa_ieee_mode 1
		.amdhsa_fp16_overflow 0
		.amdhsa_workgroup_processor_mode 1
		.amdhsa_memory_ordered 1
		.amdhsa_forward_progress 0
		.amdhsa_shared_vgpr_count 0
		.amdhsa_exception_fp_ieee_invalid_op 0
		.amdhsa_exception_fp_denorm_src 0
		.amdhsa_exception_fp_ieee_div_zero 0
		.amdhsa_exception_fp_ieee_overflow 0
		.amdhsa_exception_fp_ieee_underflow 0
		.amdhsa_exception_fp_ieee_inexact 0
		.amdhsa_exception_int_div_zero 0
	.end_amdhsa_kernel
	.section	.text._ZL28rocblas_dot_batched_4_kernelIlLi64ELi4ELb1EffPK16rocblas_bfloat16EviT5_lT_lS3_lS4_liPT4_,"axG",@progbits,_ZL28rocblas_dot_batched_4_kernelIlLi64ELi4ELb1EffPK16rocblas_bfloat16EviT5_lT_lS3_lS4_liPT4_,comdat
.Lfunc_end310:
	.size	_ZL28rocblas_dot_batched_4_kernelIlLi64ELi4ELb1EffPK16rocblas_bfloat16EviT5_lT_lS3_lS4_liPT4_, .Lfunc_end310-_ZL28rocblas_dot_batched_4_kernelIlLi64ELi4ELb1EffPK16rocblas_bfloat16EviT5_lT_lS3_lS4_liPT4_
                                        ; -- End function
	.section	.AMDGPU.csdata,"",@progbits
; Kernel info:
; codeLenInByte = 780
; NumSgprs: 22
; NumVgprs: 17
; ScratchSize: 0
; MemoryBound: 0
; FloatMode: 240
; IeeeMode: 1
; LDSByteSize: 0 bytes/workgroup (compile time only)
; SGPRBlocks: 2
; VGPRBlocks: 2
; NumSGPRsForWavesPerEU: 22
; NumVGPRsForWavesPerEU: 17
; Occupancy: 16
; WaveLimiterHint : 0
; COMPUTE_PGM_RSRC2:SCRATCH_EN: 0
; COMPUTE_PGM_RSRC2:USER_SGPR: 15
; COMPUTE_PGM_RSRC2:TRAP_HANDLER: 0
; COMPUTE_PGM_RSRC2:TGID_X_EN: 1
; COMPUTE_PGM_RSRC2:TGID_Y_EN: 0
; COMPUTE_PGM_RSRC2:TGID_Z_EN: 0
; COMPUTE_PGM_RSRC2:TIDIG_COMP_CNT: 1
	.section	.text._ZL26rocblas_dot_kernel_inc1by2ILb1ELi1024ELi32ELb1EfPK16rocblas_bfloat16fEviT4_llS3_lliPT5_PT3_,"axG",@progbits,_ZL26rocblas_dot_kernel_inc1by2ILb1ELi1024ELi32ELb1EfPK16rocblas_bfloat16fEviT4_llS3_lliPT5_PT3_,comdat
	.globl	_ZL26rocblas_dot_kernel_inc1by2ILb1ELi1024ELi32ELb1EfPK16rocblas_bfloat16fEviT4_llS3_lliPT5_PT3_ ; -- Begin function _ZL26rocblas_dot_kernel_inc1by2ILb1ELi1024ELi32ELb1EfPK16rocblas_bfloat16fEviT4_llS3_lliPT5_PT3_
	.p2align	8
	.type	_ZL26rocblas_dot_kernel_inc1by2ILb1ELi1024ELi32ELb1EfPK16rocblas_bfloat16fEviT4_llS3_lliPT5_PT3_,@function
_ZL26rocblas_dot_kernel_inc1by2ILb1ELi1024ELi32ELb1EfPK16rocblas_bfloat16fEviT4_llS3_lliPT5_PT3_: ; @_ZL26rocblas_dot_kernel_inc1by2ILb1ELi1024ELi32ELb1EfPK16rocblas_bfloat16fEviT4_llS3_lliPT5_PT3_
; %bb.0:
	s_mov_b32 s2, s15
	s_clause 0x5
	s_load_b128 s[8:11], s[0:1], 0x10
	s_load_b128 s[4:7], s[0:1], 0x28
	s_load_b32 s17, s[0:1], 0x0
	s_load_b64 s[12:13], s[0:1], 0x48
	s_load_b64 s[14:15], s[0:1], 0x8
	s_load_b64 s[0:1], s[0:1], 0x20
	v_dual_mov_b32 v5, 0 :: v_dual_lshlrev_b32 v6, 1, v0
	s_mov_b32 s3, 0
	s_waitcnt lgkmcnt(0)
	s_mul_i32 s11, s2, s11
	s_mul_hi_u32 s18, s2, s10
	s_mul_i32 s7, s2, s7
	s_mul_hi_u32 s19, s2, s6
	s_add_i32 s16, s17, -1
	s_add_i32 s11, s18, s11
	s_mul_i32 s10, s2, s10
	s_add_i32 s7, s19, s7
	s_mul_i32 s6, s2, s6
	s_mov_b32 s18, exec_lo
	v_cmpx_gt_i32_e64 s16, v6
	s_cbranch_execz .LBB311_4
; %bb.1:
	s_lshl_b64 s[22:23], s[4:5], 1
	s_lshl_b64 s[20:21], s[6:7], 1
	v_lshlrev_b32_e32 v3, 2, v0
	s_add_u32 s19, s0, s22
	s_addc_u32 s22, s1, s23
	s_add_u32 s19, s19, s20
	s_addc_u32 s20, s22, s21
	v_add_co_u32 v1, s19, s19, v3
	s_delay_alu instid0(VALU_DEP_1)
	v_add_co_ci_u32_e64 v2, null, s20, 0, s19
	s_lshl_b64 s[20:21], s[8:9], 1
	s_lshl_b64 s[22:23], s[10:11], 1
	s_add_u32 s19, s14, s20
	s_addc_u32 s20, s15, s21
	s_add_u32 s19, s19, s22
	s_addc_u32 s20, s20, s23
	v_add_co_u32 v3, s19, s19, v3
	v_mov_b32_e32 v5, 0
	v_add_co_ci_u32_e64 v4, null, s20, 0, s19
	s_mov_b32 s19, s3
	s_mov_b32 s20, s3
	.p2align	6
.LBB311_2:                              ; =>This Inner Loop Header: Depth=1
	global_load_b32 v7, v[1:2], off
	global_load_b32 v8, v[3:4], off
	v_add_co_u32 v1, vcc_lo, 0x1000, v1
	v_add_co_ci_u32_e32 v2, vcc_lo, 0, v2, vcc_lo
	v_add_co_u32 v3, vcc_lo, 0x1000, v3
	v_add_co_ci_u32_e32 v4, vcc_lo, 0, v4, vcc_lo
	s_add_i32 s21, s20, 1
	s_cmp_gt_u32 s20, 30
	s_cselect_b32 s20, -1, 0
	s_waitcnt vmcnt(1)
	v_lshlrev_b32_e32 v9, 16, v7
	s_waitcnt vmcnt(0)
	v_lshlrev_b32_e32 v10, 16, v8
	v_and_b32_e32 v7, 0xffff0000, v7
	s_delay_alu instid0(VALU_DEP_2) | instskip(NEXT) | instid1(VALU_DEP_1)
	v_dual_fmac_f32 v5, v9, v10 :: v_dual_and_b32 v8, 0xffff0000, v8
	v_dual_fmac_f32 v5, v7, v8 :: v_dual_add_nc_u32 v6, 0x800, v6
	s_delay_alu instid0(VALU_DEP_1) | instskip(SKIP_1) | instid1(SALU_CYCLE_1)
	v_cmp_le_i32_e32 vcc_lo, s16, v6
	s_or_b32 s20, s20, vcc_lo
	s_and_b32 s20, exec_lo, s20
	s_delay_alu instid0(SALU_CYCLE_1)
	s_or_b32 s19, s20, s19
	s_mov_b32 s20, s21
	s_and_not1_b32 exec_lo, exec_lo, s19
	s_cbranch_execnz .LBB311_2
; %bb.3:
	s_or_b32 exec_lo, exec_lo, s19
.LBB311_4:
	s_delay_alu instid0(SALU_CYCLE_1) | instskip(SKIP_3) | instid1(SALU_CYCLE_1)
	s_or_b32 exec_lo, exec_lo, s18
	v_cmp_eq_u32_e32 vcc_lo, s16, v6
	s_bitcmp1_b32 s17, 0
	s_cselect_b32 s17, -1, 0
	s_and_b32 s17, s17, vcc_lo
	s_delay_alu instid0(SALU_CYCLE_1)
	s_and_saveexec_b32 s18, s17
	s_cbranch_execz .LBB311_6
; %bb.5:
	s_lshl_b64 s[10:11], s[10:11], 1
	s_mov_b32 s17, 0
	s_add_u32 s10, s14, s10
	s_addc_u32 s11, s15, s11
	s_lshl_b64 s[8:9], s[8:9], 1
	v_mov_b32_e32 v1, 0
	s_add_u32 s8, s10, s8
	s_addc_u32 s9, s11, s9
	s_lshl_b64 s[6:7], s[6:7], 1
	s_delay_alu instid0(SALU_CYCLE_1) | instskip(SKIP_2) | instid1(SALU_CYCLE_1)
	s_add_u32 s6, s0, s6
	s_addc_u32 s7, s1, s7
	s_lshl_b64 s[0:1], s[4:5], 1
	s_add_u32 s4, s6, s0
	s_addc_u32 s5, s7, s1
	s_lshl_b64 s[0:1], s[16:17], 1
	s_delay_alu instid0(SALU_CYCLE_1)
	s_add_u32 s4, s4, s0
	s_addc_u32 s5, s5, s1
	s_add_u32 s0, s8, s0
	s_addc_u32 s1, s9, s1
	s_clause 0x1
	global_load_u16 v2, v1, s[0:1]
	global_load_u16 v1, v1, s[4:5]
	s_waitcnt vmcnt(1)
	v_lshlrev_b32_e32 v2, 16, v2
	s_waitcnt vmcnt(0)
	v_lshlrev_b32_e32 v1, 16, v1
	s_delay_alu instid0(VALU_DEP_1)
	v_fmac_f32_e32 v5, v1, v2
.LBB311_6:
	s_or_b32 exec_lo, exec_lo, s18
	v_and_b32_e32 v7, 31, v0
	v_cmp_gt_u32_e32 vcc_lo, 32, v0
	s_delay_alu instid0(VALU_DEP_2)
	v_lshlrev_b32_e32 v1, 2, v7
	s_and_saveexec_b32 s0, vcc_lo
	s_cbranch_execz .LBB311_8
; %bb.7:
	v_mov_b32_e32 v2, 0
	ds_store_b32 v1, v2
.LBB311_8:
	s_or_b32 exec_lo, exec_lo, s0
	v_mbcnt_lo_u32_b32 v6, -1, 0
	s_mov_b32 s1, exec_lo
	s_waitcnt lgkmcnt(0)
	s_barrier
	buffer_gl0_inv
	v_cmp_gt_u32_e64 s0, 16, v6
	s_delay_alu instid0(VALU_DEP_1) | instskip(SKIP_1) | instid1(VALU_DEP_2)
	v_cndmask_b32_e64 v2, 0, 1, s0
	v_cmp_gt_u32_e64 s0, 24, v6
	v_lshlrev_b32_e32 v2, 4, v2
	s_delay_alu instid0(VALU_DEP_2) | instskip(SKIP_1) | instid1(VALU_DEP_3)
	v_cndmask_b32_e64 v3, 0, 1, s0
	v_cmp_gt_u32_e64 s0, 28, v6
	v_add_lshl_u32 v2, v2, v6, 2
	ds_bpermute_b32 v4, v2, v5
	s_waitcnt lgkmcnt(0)
	v_add_f32_e32 v5, v5, v4
	v_lshlrev_b32_e32 v3, 3, v3
	v_cndmask_b32_e64 v4, 0, 1, s0
	v_cmp_gt_u32_e64 s0, 30, v6
	s_delay_alu instid0(VALU_DEP_3) | instskip(NEXT) | instid1(VALU_DEP_3)
	v_add_lshl_u32 v3, v3, v6, 2
	v_lshlrev_b32_e32 v4, 2, v4
	ds_bpermute_b32 v8, v3, v5
	v_add_lshl_u32 v4, v4, v6, 2
	s_waitcnt lgkmcnt(0)
	v_add_f32_e32 v8, v5, v8
	v_cndmask_b32_e64 v5, 0, 1, s0
	v_cmp_ne_u32_e64 s0, 31, v6
	ds_bpermute_b32 v9, v4, v8
	v_lshlrev_b32_e32 v5, 1, v5
	s_delay_alu instid0(VALU_DEP_1) | instskip(SKIP_1) | instid1(VALU_DEP_1)
	v_add_lshl_u32 v5, v5, v6, 2
	v_add_co_ci_u32_e64 v6, s0, 0, v6, s0
	v_lshlrev_b32_e32 v6, 2, v6
	s_waitcnt lgkmcnt(0)
	v_add_f32_e32 v8, v8, v9
	ds_bpermute_b32 v9, v5, v8
	s_waitcnt lgkmcnt(0)
	v_add_f32_e32 v8, v8, v9
	ds_bpermute_b32 v9, v6, v8
	v_cmpx_eq_u32_e32 0, v7
	s_cbranch_execz .LBB311_10
; %bb.9:
	v_lshrrev_b32_e32 v7, 3, v0
	s_waitcnt lgkmcnt(0)
	s_delay_alu instid0(VALU_DEP_1)
	v_dual_add_f32 v8, v8, v9 :: v_dual_and_b32 v7, 0x7c, v7
	ds_store_b32 v7, v8
.LBB311_10:
	s_or_b32 exec_lo, exec_lo, s1
	v_mov_b32_e32 v7, 0
	s_waitcnt lgkmcnt(0)
	s_barrier
	buffer_gl0_inv
	s_and_saveexec_b32 s0, vcc_lo
	s_cbranch_execz .LBB311_12
; %bb.11:
	ds_load_b32 v7, v1
.LBB311_12:
	s_or_b32 exec_lo, exec_lo, s0
	s_and_saveexec_b32 s0, vcc_lo
	s_cbranch_execz .LBB311_14
; %bb.13:
	s_waitcnt lgkmcnt(0)
	ds_bpermute_b32 v1, v2, v7
	s_waitcnt lgkmcnt(0)
	v_add_f32_e32 v1, v7, v1
	ds_bpermute_b32 v2, v3, v1
	s_waitcnt lgkmcnt(0)
	v_add_f32_e32 v1, v1, v2
	ds_bpermute_b32 v2, v4, v1
	s_waitcnt lgkmcnt(0)
	v_add_f32_e32 v1, v1, v2
	ds_bpermute_b32 v2, v5, v1
	s_waitcnt lgkmcnt(0)
	v_add_f32_e32 v1, v1, v2
	ds_bpermute_b32 v2, v6, v1
	s_waitcnt lgkmcnt(0)
	v_add_f32_e32 v7, v1, v2
.LBB311_14:
	s_or_b32 exec_lo, exec_lo, s0
	s_delay_alu instid0(SALU_CYCLE_1)
	s_mov_b32 s0, exec_lo
	v_cmpx_eq_u32_e32 0, v0
	s_cbranch_execz .LBB311_16
; %bb.15:
	s_lshl_b64 s[0:1], s[2:3], 2
	v_mov_b32_e32 v0, 0
	s_add_u32 s0, s12, s0
	s_addc_u32 s1, s13, s1
	s_waitcnt lgkmcnt(0)
	global_store_b32 v0, v7, s[0:1]
.LBB311_16:
	s_nop 0
	s_sendmsg sendmsg(MSG_DEALLOC_VGPRS)
	s_endpgm
	.section	.rodata,"a",@progbits
	.p2align	6, 0x0
	.amdhsa_kernel _ZL26rocblas_dot_kernel_inc1by2ILb1ELi1024ELi32ELb1EfPK16rocblas_bfloat16fEviT4_llS3_lliPT5_PT3_
		.amdhsa_group_segment_fixed_size 128
		.amdhsa_private_segment_fixed_size 0
		.amdhsa_kernarg_size 80
		.amdhsa_user_sgpr_count 14
		.amdhsa_user_sgpr_dispatch_ptr 0
		.amdhsa_user_sgpr_queue_ptr 0
		.amdhsa_user_sgpr_kernarg_segment_ptr 1
		.amdhsa_user_sgpr_dispatch_id 0
		.amdhsa_user_sgpr_private_segment_size 0
		.amdhsa_wavefront_size32 1
		.amdhsa_uses_dynamic_stack 0
		.amdhsa_enable_private_segment 0
		.amdhsa_system_sgpr_workgroup_id_x 1
		.amdhsa_system_sgpr_workgroup_id_y 0
		.amdhsa_system_sgpr_workgroup_id_z 1
		.amdhsa_system_sgpr_workgroup_info 0
		.amdhsa_system_vgpr_workitem_id 0
		.amdhsa_next_free_vgpr 11
		.amdhsa_next_free_sgpr 24
		.amdhsa_reserve_vcc 1
		.amdhsa_float_round_mode_32 0
		.amdhsa_float_round_mode_16_64 0
		.amdhsa_float_denorm_mode_32 3
		.amdhsa_float_denorm_mode_16_64 3
		.amdhsa_dx10_clamp 1
		.amdhsa_ieee_mode 1
		.amdhsa_fp16_overflow 0
		.amdhsa_workgroup_processor_mode 1
		.amdhsa_memory_ordered 1
		.amdhsa_forward_progress 0
		.amdhsa_shared_vgpr_count 0
		.amdhsa_exception_fp_ieee_invalid_op 0
		.amdhsa_exception_fp_denorm_src 0
		.amdhsa_exception_fp_ieee_div_zero 0
		.amdhsa_exception_fp_ieee_overflow 0
		.amdhsa_exception_fp_ieee_underflow 0
		.amdhsa_exception_fp_ieee_inexact 0
		.amdhsa_exception_int_div_zero 0
	.end_amdhsa_kernel
	.section	.text._ZL26rocblas_dot_kernel_inc1by2ILb1ELi1024ELi32ELb1EfPK16rocblas_bfloat16fEviT4_llS3_lliPT5_PT3_,"axG",@progbits,_ZL26rocblas_dot_kernel_inc1by2ILb1ELi1024ELi32ELb1EfPK16rocblas_bfloat16fEviT4_llS3_lliPT5_PT3_,comdat
.Lfunc_end311:
	.size	_ZL26rocblas_dot_kernel_inc1by2ILb1ELi1024ELi32ELb1EfPK16rocblas_bfloat16fEviT4_llS3_lliPT5_PT3_, .Lfunc_end311-_ZL26rocblas_dot_kernel_inc1by2ILb1ELi1024ELi32ELb1EfPK16rocblas_bfloat16fEviT4_llS3_lliPT5_PT3_
                                        ; -- End function
	.section	.AMDGPU.csdata,"",@progbits
; Kernel info:
; codeLenInByte = 1068
; NumSgprs: 26
; NumVgprs: 11
; ScratchSize: 0
; MemoryBound: 0
; FloatMode: 240
; IeeeMode: 1
; LDSByteSize: 128 bytes/workgroup (compile time only)
; SGPRBlocks: 3
; VGPRBlocks: 1
; NumSGPRsForWavesPerEU: 26
; NumVGPRsForWavesPerEU: 11
; Occupancy: 16
; WaveLimiterHint : 0
; COMPUTE_PGM_RSRC2:SCRATCH_EN: 0
; COMPUTE_PGM_RSRC2:USER_SGPR: 14
; COMPUTE_PGM_RSRC2:TRAP_HANDLER: 0
; COMPUTE_PGM_RSRC2:TGID_X_EN: 1
; COMPUTE_PGM_RSRC2:TGID_Y_EN: 0
; COMPUTE_PGM_RSRC2:TGID_Z_EN: 1
; COMPUTE_PGM_RSRC2:TIDIG_COMP_CNT: 0
	.section	.text._ZL18rocblas_dot_kernelIlLb1ELi1024ELi32ELb1EfPK16rocblas_bfloat16fEviT5_lT_lS3_lS4_liPT6_PT4_,"axG",@progbits,_ZL18rocblas_dot_kernelIlLb1ELi1024ELi32ELb1EfPK16rocblas_bfloat16fEviT5_lT_lS3_lS4_liPT6_PT4_,comdat
	.globl	_ZL18rocblas_dot_kernelIlLb1ELi1024ELi32ELb1EfPK16rocblas_bfloat16fEviT5_lT_lS3_lS4_liPT6_PT4_ ; -- Begin function _ZL18rocblas_dot_kernelIlLb1ELi1024ELi32ELb1EfPK16rocblas_bfloat16fEviT5_lT_lS3_lS4_liPT6_PT4_
	.p2align	8
	.type	_ZL18rocblas_dot_kernelIlLb1ELi1024ELi32ELb1EfPK16rocblas_bfloat16fEviT5_lT_lS3_lS4_liPT6_PT4_,@function
_ZL18rocblas_dot_kernelIlLb1ELi1024ELi32ELb1EfPK16rocblas_bfloat16fEviT5_lT_lS3_lS4_liPT6_PT4_: ; @_ZL18rocblas_dot_kernelIlLb1ELi1024ELi32ELb1EfPK16rocblas_bfloat16fEviT5_lT_lS3_lS4_liPT6_PT4_
; %bb.0:
	s_clause 0x1
	s_load_b32 s18, s[0:1], 0x0
	s_load_b64 s[2:3], s[0:1], 0x58
	v_mov_b32_e32 v6, 0
	s_mov_b32 s16, s15
	s_mov_b32 s17, 0
	s_mov_b32 s19, exec_lo
	s_waitcnt lgkmcnt(0)
	v_cmpx_gt_i32_e64 s18, v0
	s_cbranch_execz .LBB312_4
; %bb.1:
	s_clause 0x4
	s_load_b32 s24, s[0:1], 0x60
	s_load_b256 s[4:11], s[0:1], 0x20
	s_load_b128 s[12:15], s[0:1], 0x10
	s_load_b64 s[20:21], s[0:1], 0x40
	s_load_b64 s[22:23], s[0:1], 0x8
	s_waitcnt lgkmcnt(0)
	s_lshl_b32 s1, s24, 10
	v_mad_u64_u32 v[3:4], null, s10, v0, 0
	v_mad_u64_u32 v[1:2], null, s14, v0, 0
	v_or_b32_e32 v5, s1, v0
	s_mul_i32 s0, s5, s16
	s_mul_hi_u32 s5, s4, s16
	s_mul_i32 s4, s4, s16
	s_add_i32 s5, s5, s0
	s_lshl_b64 s[12:13], s[12:13], 1
	s_delay_alu instid0(VALU_DEP_2)
	v_mad_u64_u32 v[6:7], null, s15, v0, v[2:3]
	v_mad_u64_u32 v[7:8], null, s11, v0, v[4:5]
	s_lshl_b64 s[4:5], s[4:5], 1
	s_add_u32 s12, s22, s12
	s_addc_u32 s13, s23, s13
	s_add_u32 s22, s12, s4
	s_delay_alu instid0(VALU_DEP_2)
	v_mov_b32_e32 v2, v6
	s_addc_u32 s23, s13, s5
	s_ashr_i32 s4, s1, 31
	s_mul_hi_u32 s0, s14, s1
	s_mul_i32 s5, s14, s4
	v_mov_b32_e32 v4, v7
	s_mul_i32 s21, s21, s16
	s_mul_hi_u32 s25, s20, s16
	s_mul_i32 s26, s15, s1
	s_add_i32 s0, s0, s5
	v_lshlrev_b64 v[1:2], 1, v[1:2]
	s_mul_i32 s20, s20, s16
	s_mul_i32 s24, s14, s1
	s_add_i32 s21, s25, s21
	s_add_i32 s25, s0, s26
	s_lshl_b64 s[8:9], s[8:9], 1
	v_lshlrev_b64 v[3:4], 1, v[3:4]
	s_lshl_b64 s[12:13], s[20:21], 1
	s_mul_i32 s0, s10, s4
	s_lshl_b64 s[4:5], s[24:25], 1
	s_add_u32 s6, s6, s8
	s_addc_u32 s7, s7, s9
	v_add_co_u32 v1, vcc_lo, s22, v1
	s_add_u32 s6, s6, s12
	v_add_co_ci_u32_e32 v2, vcc_lo, s23, v2, vcc_lo
	s_mul_hi_u32 s8, s10, s1
	s_addc_u32 s7, s7, s13
	v_add_co_u32 v3, vcc_lo, s6, v3
	s_add_i32 s0, s8, s0
	s_mul_i32 s8, s11, s1
	v_add_co_ci_u32_e32 v4, vcc_lo, s7, v4, vcc_lo
	v_mov_b32_e32 v6, 0
	s_add_i32 s7, s0, s8
	s_mul_i32 s6, s10, s1
	s_mov_b32 s8, s17
	s_lshl_b64 s[6:7], s[6:7], 1
	s_mov_b32 s9, s17
	.p2align	6
.LBB312_2:                              ; =>This Inner Loop Header: Depth=1
	global_load_u16 v7, v[1:2], off
	global_load_u16 v8, v[3:4], off
	v_add_co_u32 v1, s0, v1, s4
	s_delay_alu instid0(VALU_DEP_1)
	v_add_co_ci_u32_e64 v2, s0, s5, v2, s0
	s_add_i32 s10, s9, 1
	v_cmp_le_i32_e32 vcc_lo, s18, v5
	v_add_co_u32 v3, s0, v3, s6
	s_cmp_gt_u32 s9, 30
	v_add_co_ci_u32_e64 v4, s0, s7, v4, s0
	s_cselect_b32 s0, -1, 0
	s_mov_b32 s9, s10
	s_or_b32 s0, s0, vcc_lo
	s_delay_alu instid0(SALU_CYCLE_1) | instskip(NEXT) | instid1(SALU_CYCLE_1)
	s_and_b32 s0, exec_lo, s0
	s_or_b32 s8, s0, s8
	s_waitcnt vmcnt(1)
	v_lshlrev_b32_e32 v7, 16, v7
	s_waitcnt vmcnt(0)
	v_lshlrev_b32_e32 v8, 16, v8
	s_delay_alu instid0(VALU_DEP_1)
	v_dual_fmac_f32 v6, v8, v7 :: v_dual_add_nc_u32 v5, s1, v5
	s_and_not1_b32 exec_lo, exec_lo, s8
	s_cbranch_execnz .LBB312_2
; %bb.3:
	s_or_b32 exec_lo, exec_lo, s8
.LBB312_4:
	s_delay_alu instid0(SALU_CYCLE_1) | instskip(SKIP_2) | instid1(VALU_DEP_2)
	s_or_b32 exec_lo, exec_lo, s19
	v_and_b32_e32 v7, 31, v0
	v_cmp_gt_u32_e32 vcc_lo, 32, v0
	v_lshlrev_b32_e32 v1, 2, v7
	s_and_saveexec_b32 s0, vcc_lo
	s_cbranch_execz .LBB312_6
; %bb.5:
	v_mov_b32_e32 v2, 0
	ds_store_b32 v1, v2
.LBB312_6:
	s_or_b32 exec_lo, exec_lo, s0
	v_mbcnt_lo_u32_b32 v8, -1, 0
	s_mov_b32 s1, exec_lo
	s_waitcnt lgkmcnt(0)
	s_barrier
	buffer_gl0_inv
	v_cmp_gt_u32_e64 s0, 16, v8
	s_delay_alu instid0(VALU_DEP_1) | instskip(SKIP_1) | instid1(VALU_DEP_2)
	v_cndmask_b32_e64 v2, 0, 1, s0
	v_cmp_gt_u32_e64 s0, 24, v8
	v_lshlrev_b32_e32 v2, 4, v2
	s_delay_alu instid0(VALU_DEP_2) | instskip(SKIP_1) | instid1(VALU_DEP_3)
	v_cndmask_b32_e64 v3, 0, 1, s0
	v_cmp_gt_u32_e64 s0, 28, v8
	v_add_lshl_u32 v2, v2, v8, 2
	ds_bpermute_b32 v4, v2, v6
	s_waitcnt lgkmcnt(0)
	v_add_f32_e32 v5, v6, v4
	v_lshlrev_b32_e32 v3, 3, v3
	v_cndmask_b32_e64 v4, 0, 1, s0
	v_cmp_gt_u32_e64 s0, 30, v8
	s_delay_alu instid0(VALU_DEP_3) | instskip(NEXT) | instid1(VALU_DEP_3)
	v_add_lshl_u32 v3, v3, v8, 2
	v_lshlrev_b32_e32 v4, 2, v4
	ds_bpermute_b32 v6, v3, v5
	v_add_lshl_u32 v4, v4, v8, 2
	s_waitcnt lgkmcnt(0)
	v_add_f32_e32 v6, v5, v6
	v_cndmask_b32_e64 v5, 0, 1, s0
	v_cmp_ne_u32_e64 s0, 31, v8
	ds_bpermute_b32 v9, v4, v6
	v_lshlrev_b32_e32 v5, 1, v5
	v_add_co_ci_u32_e64 v10, s0, 0, v8, s0
	s_delay_alu instid0(VALU_DEP_2)
	v_add_lshl_u32 v5, v5, v8, 2
	s_waitcnt lgkmcnt(0)
	v_add_f32_e32 v6, v6, v9
	ds_bpermute_b32 v9, v5, v6
	s_waitcnt lgkmcnt(0)
	v_add_f32_e32 v8, v6, v9
	v_lshlrev_b32_e32 v6, 2, v10
	ds_bpermute_b32 v9, v6, v8
	v_cmpx_eq_u32_e32 0, v7
	s_cbranch_execz .LBB312_8
; %bb.7:
	v_lshrrev_b32_e32 v7, 3, v0
	s_waitcnt lgkmcnt(0)
	s_delay_alu instid0(VALU_DEP_1)
	v_dual_add_f32 v8, v8, v9 :: v_dual_and_b32 v7, 0x7c, v7
	ds_store_b32 v7, v8
.LBB312_8:
	s_or_b32 exec_lo, exec_lo, s1
	v_mov_b32_e32 v7, 0
	s_waitcnt lgkmcnt(0)
	s_barrier
	buffer_gl0_inv
	s_and_saveexec_b32 s0, vcc_lo
	s_cbranch_execz .LBB312_10
; %bb.9:
	ds_load_b32 v7, v1
.LBB312_10:
	s_or_b32 exec_lo, exec_lo, s0
	s_and_saveexec_b32 s0, vcc_lo
	s_cbranch_execz .LBB312_12
; %bb.11:
	s_waitcnt lgkmcnt(0)
	ds_bpermute_b32 v1, v2, v7
	s_waitcnt lgkmcnt(0)
	v_add_f32_e32 v1, v7, v1
	ds_bpermute_b32 v2, v3, v1
	s_waitcnt lgkmcnt(0)
	v_add_f32_e32 v1, v1, v2
	;; [unrolled: 3-line block ×5, first 2 shown]
.LBB312_12:
	s_or_b32 exec_lo, exec_lo, s0
	s_delay_alu instid0(SALU_CYCLE_1)
	s_mov_b32 s0, exec_lo
	v_cmpx_eq_u32_e32 0, v0
	s_cbranch_execz .LBB312_14
; %bb.13:
	s_lshl_b64 s[0:1], s[16:17], 2
	v_mov_b32_e32 v0, 0
	s_add_u32 s0, s2, s0
	s_addc_u32 s1, s3, s1
	s_waitcnt lgkmcnt(0)
	global_store_b32 v0, v7, s[0:1]
.LBB312_14:
	s_nop 0
	s_sendmsg sendmsg(MSG_DEALLOC_VGPRS)
	s_endpgm
	.section	.rodata,"a",@progbits
	.p2align	6, 0x0
	.amdhsa_kernel _ZL18rocblas_dot_kernelIlLb1ELi1024ELi32ELb1EfPK16rocblas_bfloat16fEviT5_lT_lS3_lS4_liPT6_PT4_
		.amdhsa_group_segment_fixed_size 128
		.amdhsa_private_segment_fixed_size 0
		.amdhsa_kernarg_size 352
		.amdhsa_user_sgpr_count 14
		.amdhsa_user_sgpr_dispatch_ptr 0
		.amdhsa_user_sgpr_queue_ptr 0
		.amdhsa_user_sgpr_kernarg_segment_ptr 1
		.amdhsa_user_sgpr_dispatch_id 0
		.amdhsa_user_sgpr_private_segment_size 0
		.amdhsa_wavefront_size32 1
		.amdhsa_uses_dynamic_stack 0
		.amdhsa_enable_private_segment 0
		.amdhsa_system_sgpr_workgroup_id_x 1
		.amdhsa_system_sgpr_workgroup_id_y 0
		.amdhsa_system_sgpr_workgroup_id_z 1
		.amdhsa_system_sgpr_workgroup_info 0
		.amdhsa_system_vgpr_workitem_id 0
		.amdhsa_next_free_vgpr 11
		.amdhsa_next_free_sgpr 27
		.amdhsa_reserve_vcc 1
		.amdhsa_float_round_mode_32 0
		.amdhsa_float_round_mode_16_64 0
		.amdhsa_float_denorm_mode_32 3
		.amdhsa_float_denorm_mode_16_64 3
		.amdhsa_dx10_clamp 1
		.amdhsa_ieee_mode 1
		.amdhsa_fp16_overflow 0
		.amdhsa_workgroup_processor_mode 1
		.amdhsa_memory_ordered 1
		.amdhsa_forward_progress 0
		.amdhsa_shared_vgpr_count 0
		.amdhsa_exception_fp_ieee_invalid_op 0
		.amdhsa_exception_fp_denorm_src 0
		.amdhsa_exception_fp_ieee_div_zero 0
		.amdhsa_exception_fp_ieee_overflow 0
		.amdhsa_exception_fp_ieee_underflow 0
		.amdhsa_exception_fp_ieee_inexact 0
		.amdhsa_exception_int_div_zero 0
	.end_amdhsa_kernel
	.section	.text._ZL18rocblas_dot_kernelIlLb1ELi1024ELi32ELb1EfPK16rocblas_bfloat16fEviT5_lT_lS3_lS4_liPT6_PT4_,"axG",@progbits,_ZL18rocblas_dot_kernelIlLb1ELi1024ELi32ELb1EfPK16rocblas_bfloat16fEviT5_lT_lS3_lS4_liPT6_PT4_,comdat
.Lfunc_end312:
	.size	_ZL18rocblas_dot_kernelIlLb1ELi1024ELi32ELb1EfPK16rocblas_bfloat16fEviT5_lT_lS3_lS4_liPT6_PT4_, .Lfunc_end312-_ZL18rocblas_dot_kernelIlLb1ELi1024ELi32ELb1EfPK16rocblas_bfloat16fEviT5_lT_lS3_lS4_liPT6_PT4_
                                        ; -- End function
	.section	.AMDGPU.csdata,"",@progbits
; Kernel info:
; codeLenInByte = 1004
; NumSgprs: 29
; NumVgprs: 11
; ScratchSize: 0
; MemoryBound: 0
; FloatMode: 240
; IeeeMode: 1
; LDSByteSize: 128 bytes/workgroup (compile time only)
; SGPRBlocks: 3
; VGPRBlocks: 1
; NumSGPRsForWavesPerEU: 29
; NumVGPRsForWavesPerEU: 11
; Occupancy: 16
; WaveLimiterHint : 0
; COMPUTE_PGM_RSRC2:SCRATCH_EN: 0
; COMPUTE_PGM_RSRC2:USER_SGPR: 14
; COMPUTE_PGM_RSRC2:TRAP_HANDLER: 0
; COMPUTE_PGM_RSRC2:TGID_X_EN: 1
; COMPUTE_PGM_RSRC2:TGID_Y_EN: 0
; COMPUTE_PGM_RSRC2:TGID_Z_EN: 1
; COMPUTE_PGM_RSRC2:TIDIG_COMP_CNT: 0
	.section	.text._ZL24rocblas_dot_kernel_magsqIlLb1ELi1024ELi32ELb1EfPK16rocblas_bfloat16fEviT5_lT_liPT6_PT4_,"axG",@progbits,_ZL24rocblas_dot_kernel_magsqIlLb1ELi1024ELi32ELb1EfPK16rocblas_bfloat16fEviT5_lT_liPT6_PT4_,comdat
	.globl	_ZL24rocblas_dot_kernel_magsqIlLb1ELi1024ELi32ELb1EfPK16rocblas_bfloat16fEviT5_lT_liPT6_PT4_ ; -- Begin function _ZL24rocblas_dot_kernel_magsqIlLb1ELi1024ELi32ELb1EfPK16rocblas_bfloat16fEviT5_lT_liPT6_PT4_
	.p2align	8
	.type	_ZL24rocblas_dot_kernel_magsqIlLb1ELi1024ELi32ELb1EfPK16rocblas_bfloat16fEviT5_lT_liPT6_PT4_,@function
_ZL24rocblas_dot_kernel_magsqIlLb1ELi1024ELi32ELb1EfPK16rocblas_bfloat16fEviT5_lT_liPT6_PT4_: ; @_ZL24rocblas_dot_kernel_magsqIlLb1ELi1024ELi32ELb1EfPK16rocblas_bfloat16fEviT5_lT_liPT6_PT4_
; %bb.0:
	s_clause 0x1
	s_load_b32 s8, s[0:1], 0x0
	s_load_b64 s[2:3], s[0:1], 0x38
	v_mov_b32_e32 v3, 0
	s_mov_b32 s4, s15
	s_mov_b32 s5, 0
	s_mov_b32 s9, exec_lo
	s_waitcnt lgkmcnt(0)
	v_cmpx_gt_i32_e64 s8, v0
	s_cbranch_execz .LBB313_4
; %bb.1:
	s_clause 0x3
	s_load_b128 s[12:15], s[0:1], 0x10
	s_load_b32 s16, s[0:1], 0x40
	s_load_b64 s[6:7], s[0:1], 0x20
	s_load_b64 s[10:11], s[0:1], 0x8
	s_waitcnt lgkmcnt(0)
	v_mad_u64_u32 v[1:2], null, s14, v0, 0
	s_mul_i32 s0, s7, s4
	s_mul_hi_u32 s7, s6, s4
	s_mul_i32 s6, s6, s4
	s_add_i32 s7, s7, s0
	s_lshl_b64 s[12:13], s[12:13], 1
	s_lshl_b32 s1, s16, 10
	s_delay_alu instid0(VALU_DEP_1)
	v_mad_u64_u32 v[3:4], null, s15, v0, v[2:3]
	s_lshl_b64 s[6:7], s[6:7], 1
	s_add_u32 s0, s10, s12
	s_addc_u32 s10, s11, s13
	s_add_u32 s0, s0, s6
	s_addc_u32 s10, s10, s7
	s_ashr_i32 s6, s1, 31
	s_delay_alu instid0(VALU_DEP_1) | instskip(SKIP_3) | instid1(VALU_DEP_1)
	v_dual_mov_b32 v2, v3 :: v_dual_mov_b32 v3, 0
	s_mul_hi_u32 s7, s14, s1
	s_mul_i32 s6, s14, s6
	s_mul_i32 s11, s15, s1
	v_lshlrev_b64 v[1:2], 1, v[1:2]
	s_add_i32 s7, s7, s6
	v_or_b32_e32 v4, s1, v0
	s_mul_i32 s6, s14, s1
	s_add_i32 s7, s7, s11
	s_mov_b32 s11, s5
	v_add_co_u32 v1, vcc_lo, s0, v1
	v_add_co_ci_u32_e32 v2, vcc_lo, s10, v2, vcc_lo
	s_lshl_b64 s[6:7], s[6:7], 1
	s_mov_b32 s10, s5
	.p2align	6
.LBB313_2:                              ; =>This Inner Loop Header: Depth=1
	global_load_u16 v5, v[1:2], off
	s_add_i32 s12, s11, 1
	v_cmp_le_i32_e32 vcc_lo, s8, v4
	v_add_co_u32 v1, s0, v1, s6
	s_cmp_gt_u32 s11, 30
	v_add_co_ci_u32_e64 v2, s0, s7, v2, s0
	s_cselect_b32 s0, -1, 0
	s_mov_b32 s11, s12
	s_or_b32 s0, s0, vcc_lo
	s_delay_alu instid0(SALU_CYCLE_1) | instskip(NEXT) | instid1(SALU_CYCLE_1)
	s_and_b32 s0, exec_lo, s0
	s_or_b32 s10, s0, s10
	s_waitcnt vmcnt(0)
	v_lshlrev_b32_e32 v5, 16, v5
	s_delay_alu instid0(VALU_DEP_1)
	v_dual_fmac_f32 v3, v5, v5 :: v_dual_add_nc_u32 v4, s1, v4
	s_and_not1_b32 exec_lo, exec_lo, s10
	s_cbranch_execnz .LBB313_2
; %bb.3:
	s_or_b32 exec_lo, exec_lo, s10
.LBB313_4:
	s_delay_alu instid0(SALU_CYCLE_1) | instskip(SKIP_2) | instid1(VALU_DEP_2)
	s_or_b32 exec_lo, exec_lo, s9
	v_and_b32_e32 v7, 31, v0
	v_cmp_gt_u32_e32 vcc_lo, 32, v0
	v_lshlrev_b32_e32 v1, 2, v7
	s_and_saveexec_b32 s0, vcc_lo
	s_cbranch_execz .LBB313_6
; %bb.5:
	v_mov_b32_e32 v2, 0
	ds_store_b32 v1, v2
.LBB313_6:
	s_or_b32 exec_lo, exec_lo, s0
	v_mbcnt_lo_u32_b32 v6, -1, 0
	s_mov_b32 s1, exec_lo
	s_waitcnt lgkmcnt(0)
	s_barrier
	buffer_gl0_inv
	v_cmp_gt_u32_e64 s0, 16, v6
	s_delay_alu instid0(VALU_DEP_1) | instskip(SKIP_1) | instid1(VALU_DEP_2)
	v_cndmask_b32_e64 v2, 0, 1, s0
	v_cmp_gt_u32_e64 s0, 24, v6
	v_lshlrev_b32_e32 v2, 4, v2
	s_delay_alu instid0(VALU_DEP_2) | instskip(SKIP_1) | instid1(VALU_DEP_3)
	v_cndmask_b32_e64 v4, 0, 1, s0
	v_cmp_gt_u32_e64 s0, 28, v6
	v_add_lshl_u32 v2, v2, v6, 2
	s_delay_alu instid0(VALU_DEP_3)
	v_lshlrev_b32_e32 v4, 3, v4
	ds_bpermute_b32 v5, v2, v3
	v_add_lshl_u32 v4, v4, v6, 2
	s_waitcnt lgkmcnt(0)
	v_add_f32_e32 v5, v3, v5
	v_cndmask_b32_e64 v3, 0, 1, s0
	v_cmp_gt_u32_e64 s0, 30, v6
	ds_bpermute_b32 v8, v4, v5
	s_waitcnt lgkmcnt(0)
	v_dual_add_f32 v8, v5, v8 :: v_dual_lshlrev_b32 v3, 2, v3
	s_delay_alu instid0(VALU_DEP_1) | instskip(SKIP_4) | instid1(VALU_DEP_1)
	v_add_lshl_u32 v3, v3, v6, 2
	v_cndmask_b32_e64 v5, 0, 1, s0
	v_cmp_ne_u32_e64 s0, 31, v6
	ds_bpermute_b32 v9, v3, v8
	v_lshlrev_b32_e32 v5, 1, v5
	v_add_lshl_u32 v5, v5, v6, 2
	v_add_co_ci_u32_e64 v6, s0, 0, v6, s0
	s_delay_alu instid0(VALU_DEP_1)
	v_lshlrev_b32_e32 v6, 2, v6
	s_waitcnt lgkmcnt(0)
	v_add_f32_e32 v8, v8, v9
	ds_bpermute_b32 v9, v5, v8
	s_waitcnt lgkmcnt(0)
	v_add_f32_e32 v8, v8, v9
	ds_bpermute_b32 v9, v6, v8
	v_cmpx_eq_u32_e32 0, v7
	s_cbranch_execz .LBB313_8
; %bb.7:
	v_lshrrev_b32_e32 v7, 3, v0
	s_waitcnt lgkmcnt(0)
	s_delay_alu instid0(VALU_DEP_1)
	v_dual_add_f32 v8, v8, v9 :: v_dual_and_b32 v7, 0x7c, v7
	ds_store_b32 v7, v8
.LBB313_8:
	s_or_b32 exec_lo, exec_lo, s1
	v_mov_b32_e32 v7, 0
	s_waitcnt lgkmcnt(0)
	s_barrier
	buffer_gl0_inv
	s_and_saveexec_b32 s0, vcc_lo
	s_cbranch_execz .LBB313_10
; %bb.9:
	ds_load_b32 v7, v1
.LBB313_10:
	s_or_b32 exec_lo, exec_lo, s0
	s_and_saveexec_b32 s0, vcc_lo
	s_cbranch_execz .LBB313_12
; %bb.11:
	s_waitcnt lgkmcnt(0)
	ds_bpermute_b32 v1, v2, v7
	s_waitcnt lgkmcnt(0)
	v_add_f32_e32 v1, v7, v1
	ds_bpermute_b32 v2, v4, v1
	s_waitcnt lgkmcnt(0)
	v_add_f32_e32 v1, v1, v2
	;; [unrolled: 3-line block ×5, first 2 shown]
.LBB313_12:
	s_or_b32 exec_lo, exec_lo, s0
	s_delay_alu instid0(SALU_CYCLE_1)
	s_mov_b32 s0, exec_lo
	v_cmpx_eq_u32_e32 0, v0
	s_cbranch_execz .LBB313_14
; %bb.13:
	s_lshl_b64 s[0:1], s[4:5], 2
	v_mov_b32_e32 v0, 0
	s_add_u32 s0, s2, s0
	s_addc_u32 s1, s3, s1
	s_waitcnt lgkmcnt(0)
	global_store_b32 v0, v7, s[0:1]
.LBB313_14:
	s_nop 0
	s_sendmsg sendmsg(MSG_DEALLOC_VGPRS)
	s_endpgm
	.section	.rodata,"a",@progbits
	.p2align	6, 0x0
	.amdhsa_kernel _ZL24rocblas_dot_kernel_magsqIlLb1ELi1024ELi32ELb1EfPK16rocblas_bfloat16fEviT5_lT_liPT6_PT4_
		.amdhsa_group_segment_fixed_size 128
		.amdhsa_private_segment_fixed_size 0
		.amdhsa_kernarg_size 320
		.amdhsa_user_sgpr_count 14
		.amdhsa_user_sgpr_dispatch_ptr 0
		.amdhsa_user_sgpr_queue_ptr 0
		.amdhsa_user_sgpr_kernarg_segment_ptr 1
		.amdhsa_user_sgpr_dispatch_id 0
		.amdhsa_user_sgpr_private_segment_size 0
		.amdhsa_wavefront_size32 1
		.amdhsa_uses_dynamic_stack 0
		.amdhsa_enable_private_segment 0
		.amdhsa_system_sgpr_workgroup_id_x 1
		.amdhsa_system_sgpr_workgroup_id_y 0
		.amdhsa_system_sgpr_workgroup_id_z 1
		.amdhsa_system_sgpr_workgroup_info 0
		.amdhsa_system_vgpr_workitem_id 0
		.amdhsa_next_free_vgpr 10
		.amdhsa_next_free_sgpr 17
		.amdhsa_reserve_vcc 1
		.amdhsa_float_round_mode_32 0
		.amdhsa_float_round_mode_16_64 0
		.amdhsa_float_denorm_mode_32 3
		.amdhsa_float_denorm_mode_16_64 3
		.amdhsa_dx10_clamp 1
		.amdhsa_ieee_mode 1
		.amdhsa_fp16_overflow 0
		.amdhsa_workgroup_processor_mode 1
		.amdhsa_memory_ordered 1
		.amdhsa_forward_progress 0
		.amdhsa_shared_vgpr_count 0
		.amdhsa_exception_fp_ieee_invalid_op 0
		.amdhsa_exception_fp_denorm_src 0
		.amdhsa_exception_fp_ieee_div_zero 0
		.amdhsa_exception_fp_ieee_overflow 0
		.amdhsa_exception_fp_ieee_underflow 0
		.amdhsa_exception_fp_ieee_inexact 0
		.amdhsa_exception_int_div_zero 0
	.end_amdhsa_kernel
	.section	.text._ZL24rocblas_dot_kernel_magsqIlLb1ELi1024ELi32ELb1EfPK16rocblas_bfloat16fEviT5_lT_liPT6_PT4_,"axG",@progbits,_ZL24rocblas_dot_kernel_magsqIlLb1ELi1024ELi32ELb1EfPK16rocblas_bfloat16fEviT5_lT_liPT6_PT4_,comdat
.Lfunc_end313:
	.size	_ZL24rocblas_dot_kernel_magsqIlLb1ELi1024ELi32ELb1EfPK16rocblas_bfloat16fEviT5_lT_liPT6_PT4_, .Lfunc_end313-_ZL24rocblas_dot_kernel_magsqIlLb1ELi1024ELi32ELb1EfPK16rocblas_bfloat16fEviT5_lT_liPT6_PT4_
                                        ; -- End function
	.section	.AMDGPU.csdata,"",@progbits
; Kernel info:
; codeLenInByte = 856
; NumSgprs: 19
; NumVgprs: 10
; ScratchSize: 0
; MemoryBound: 0
; FloatMode: 240
; IeeeMode: 1
; LDSByteSize: 128 bytes/workgroup (compile time only)
; SGPRBlocks: 2
; VGPRBlocks: 1
; NumSGPRsForWavesPerEU: 19
; NumVGPRsForWavesPerEU: 10
; Occupancy: 16
; WaveLimiterHint : 0
; COMPUTE_PGM_RSRC2:SCRATCH_EN: 0
; COMPUTE_PGM_RSRC2:USER_SGPR: 14
; COMPUTE_PGM_RSRC2:TRAP_HANDLER: 0
; COMPUTE_PGM_RSRC2:TGID_X_EN: 1
; COMPUTE_PGM_RSRC2:TGID_Y_EN: 0
; COMPUTE_PGM_RSRC2:TGID_Z_EN: 1
; COMPUTE_PGM_RSRC2:TIDIG_COMP_CNT: 0
	.section	.text._ZL38rocblas_dot_kernel_gfx942_float_doubleIlLi1024EfPK16rocblas_bfloat16fEviT2_lT_lS3_lS4_lPT3_PT1_,"axG",@progbits,_ZL38rocblas_dot_kernel_gfx942_float_doubleIlLi1024EfPK16rocblas_bfloat16fEviT2_lT_lS3_lS4_lPT3_PT1_,comdat
	.globl	_ZL38rocblas_dot_kernel_gfx942_float_doubleIlLi1024EfPK16rocblas_bfloat16fEviT2_lT_lS3_lS4_lPT3_PT1_ ; -- Begin function _ZL38rocblas_dot_kernel_gfx942_float_doubleIlLi1024EfPK16rocblas_bfloat16fEviT2_lT_lS3_lS4_lPT3_PT1_
	.p2align	8
	.type	_ZL38rocblas_dot_kernel_gfx942_float_doubleIlLi1024EfPK16rocblas_bfloat16fEviT2_lT_lS3_lS4_lPT3_PT1_,@function
_ZL38rocblas_dot_kernel_gfx942_float_doubleIlLi1024EfPK16rocblas_bfloat16fEviT2_lT_lS3_lS4_lPT3_PT1_: ; @_ZL38rocblas_dot_kernel_gfx942_float_doubleIlLi1024EfPK16rocblas_bfloat16fEviT2_lT_lS3_lS4_lPT3_PT1_
; %bb.0:
	s_endpgm
	.section	.rodata,"a",@progbits
	.p2align	6, 0x0
	.amdhsa_kernel _ZL38rocblas_dot_kernel_gfx942_float_doubleIlLi1024EfPK16rocblas_bfloat16fEviT2_lT_lS3_lS4_lPT3_PT1_
		.amdhsa_group_segment_fixed_size 0
		.amdhsa_private_segment_fixed_size 0
		.amdhsa_kernarg_size 88
		.amdhsa_user_sgpr_count 15
		.amdhsa_user_sgpr_dispatch_ptr 0
		.amdhsa_user_sgpr_queue_ptr 0
		.amdhsa_user_sgpr_kernarg_segment_ptr 1
		.amdhsa_user_sgpr_dispatch_id 0
		.amdhsa_user_sgpr_private_segment_size 0
		.amdhsa_wavefront_size32 1
		.amdhsa_uses_dynamic_stack 0
		.amdhsa_enable_private_segment 0
		.amdhsa_system_sgpr_workgroup_id_x 1
		.amdhsa_system_sgpr_workgroup_id_y 0
		.amdhsa_system_sgpr_workgroup_id_z 0
		.amdhsa_system_sgpr_workgroup_info 0
		.amdhsa_system_vgpr_workitem_id 0
		.amdhsa_next_free_vgpr 1
		.amdhsa_next_free_sgpr 1
		.amdhsa_reserve_vcc 0
		.amdhsa_float_round_mode_32 0
		.amdhsa_float_round_mode_16_64 0
		.amdhsa_float_denorm_mode_32 3
		.amdhsa_float_denorm_mode_16_64 3
		.amdhsa_dx10_clamp 1
		.amdhsa_ieee_mode 1
		.amdhsa_fp16_overflow 0
		.amdhsa_workgroup_processor_mode 1
		.amdhsa_memory_ordered 1
		.amdhsa_forward_progress 0
		.amdhsa_shared_vgpr_count 0
		.amdhsa_exception_fp_ieee_invalid_op 0
		.amdhsa_exception_fp_denorm_src 0
		.amdhsa_exception_fp_ieee_div_zero 0
		.amdhsa_exception_fp_ieee_overflow 0
		.amdhsa_exception_fp_ieee_underflow 0
		.amdhsa_exception_fp_ieee_inexact 0
		.amdhsa_exception_int_div_zero 0
	.end_amdhsa_kernel
	.section	.text._ZL38rocblas_dot_kernel_gfx942_float_doubleIlLi1024EfPK16rocblas_bfloat16fEviT2_lT_lS3_lS4_lPT3_PT1_,"axG",@progbits,_ZL38rocblas_dot_kernel_gfx942_float_doubleIlLi1024EfPK16rocblas_bfloat16fEviT2_lT_lS3_lS4_lPT3_PT1_,comdat
.Lfunc_end314:
	.size	_ZL38rocblas_dot_kernel_gfx942_float_doubleIlLi1024EfPK16rocblas_bfloat16fEviT2_lT_lS3_lS4_lPT3_PT1_, .Lfunc_end314-_ZL38rocblas_dot_kernel_gfx942_float_doubleIlLi1024EfPK16rocblas_bfloat16fEviT2_lT_lS3_lS4_lPT3_PT1_
                                        ; -- End function
	.section	.AMDGPU.csdata,"",@progbits
; Kernel info:
; codeLenInByte = 4
; NumSgprs: 0
; NumVgprs: 0
; ScratchSize: 0
; MemoryBound: 0
; FloatMode: 240
; IeeeMode: 1
; LDSByteSize: 0 bytes/workgroup (compile time only)
; SGPRBlocks: 0
; VGPRBlocks: 0
; NumSGPRsForWavesPerEU: 1
; NumVGPRsForWavesPerEU: 1
; Occupancy: 16
; WaveLimiterHint : 0
; COMPUTE_PGM_RSRC2:SCRATCH_EN: 0
; COMPUTE_PGM_RSRC2:USER_SGPR: 15
; COMPUTE_PGM_RSRC2:TRAP_HANDLER: 0
; COMPUTE_PGM_RSRC2:TGID_X_EN: 1
; COMPUTE_PGM_RSRC2:TGID_Y_EN: 0
; COMPUTE_PGM_RSRC2:TGID_Z_EN: 0
; COMPUTE_PGM_RSRC2:TIDIG_COMP_CNT: 0
	.section	.text._ZL23rocblas_dot_kernel_inc1ILb0ELi512ELi4ELb1EfPK16rocblas_bfloat16fEviT4_llS3_lliPT5_PT3_,"axG",@progbits,_ZL23rocblas_dot_kernel_inc1ILb0ELi512ELi4ELb1EfPK16rocblas_bfloat16fEviT4_llS3_lliPT5_PT3_,comdat
	.globl	_ZL23rocblas_dot_kernel_inc1ILb0ELi512ELi4ELb1EfPK16rocblas_bfloat16fEviT4_llS3_lliPT5_PT3_ ; -- Begin function _ZL23rocblas_dot_kernel_inc1ILb0ELi512ELi4ELb1EfPK16rocblas_bfloat16fEviT4_llS3_lliPT5_PT3_
	.p2align	8
	.type	_ZL23rocblas_dot_kernel_inc1ILb0ELi512ELi4ELb1EfPK16rocblas_bfloat16fEviT4_llS3_lliPT5_PT3_,@function
_ZL23rocblas_dot_kernel_inc1ILb0ELi512ELi4ELb1EfPK16rocblas_bfloat16fEviT4_llS3_lliPT5_PT3_: ; @_ZL23rocblas_dot_kernel_inc1ILb0ELi512ELi4ELb1EfPK16rocblas_bfloat16fEviT4_llS3_lliPT5_PT3_
; %bb.0:
	s_clause 0x2
	s_load_b32 s12, s[0:1], 0x50
	s_load_b32 s13, s[0:1], 0x0
	s_load_b128 s[4:7], s[0:1], 0x40
	v_lshl_or_b32 v1, s14, 9, v0
	v_mov_b32_e32 v4, 0
	s_mov_b32 s2, s15
	s_mov_b32 s3, 0
	s_mov_b32 s15, exec_lo
	s_waitcnt lgkmcnt(0)
	v_cmpx_gt_i32_e64 s13, v1
	s_cbranch_execz .LBB315_4
; %bb.1:
	s_clause 0x3
	s_load_b128 s[8:11], s[0:1], 0x10
	s_load_b128 s[20:23], s[0:1], 0x28
	s_load_b64 s[16:17], s[0:1], 0x8
	s_load_b64 s[18:19], s[0:1], 0x20
	v_ashrrev_i32_e32 v2, 31, v1
	s_delay_alu instid0(VALU_DEP_1)
	v_lshlrev_b64 v[2:3], 1, v[1:2]
	s_waitcnt lgkmcnt(0)
	s_mul_i32 s1, s2, s11
	s_mul_hi_u32 s11, s2, s10
	s_mul_i32 s0, s2, s10
	s_add_i32 s1, s11, s1
	s_mul_i32 s11, s2, s23
	s_lshl_b64 s[0:1], s[0:1], 1
	s_mul_hi_u32 s23, s2, s22
	s_add_u32 s0, s16, s0
	s_addc_u32 s16, s17, s1
	s_lshl_b64 s[8:9], s[8:9], 1
	s_mul_i32 s10, s2, s22
	s_add_u32 s1, s0, s8
	s_addc_u32 s16, s16, s9
	s_add_i32 s11, s23, s11
	s_delay_alu instid0(SALU_CYCLE_1) | instskip(NEXT) | instid1(SALU_CYCLE_1)
	s_lshl_b64 s[8:9], s[10:11], 1
	s_add_u32 s0, s18, s8
	s_addc_u32 s10, s19, s9
	s_lshl_b64 s[8:9], s[20:21], 1
	s_mov_b32 s19, s3
	s_add_u32 s17, s0, s8
	s_addc_u32 s18, s10, s9
	s_lshl_b32 s8, s12, 9
	s_delay_alu instid0(SALU_CYCLE_1) | instskip(SKIP_1) | instid1(SALU_CYCLE_1)
	v_dual_mov_b32 v4, 0 :: v_dual_add_nc_u32 v1, s8, v1
	s_ashr_i32 s9, s8, 31
	s_lshl_b64 s[10:11], s[8:9], 1
	s_mov_b32 s9, s3
	.p2align	6
.LBB315_2:                              ; =>This Inner Loop Header: Depth=1
	v_add_co_u32 v5, vcc_lo, s1, v2
	v_add_co_ci_u32_e32 v6, vcc_lo, s16, v3, vcc_lo
	v_add_co_u32 v7, vcc_lo, s17, v2
	v_add_co_ci_u32_e32 v8, vcc_lo, s18, v3, vcc_lo
	s_add_i32 s20, s19, 1
	global_load_u16 v5, v[5:6], off
	global_load_u16 v6, v[7:8], off
	v_cmp_le_i32_e32 vcc_lo, s13, v1
	v_add_co_u32 v2, s0, v2, s10
	s_cmp_gt_u32 s19, 2
	v_add_co_ci_u32_e64 v3, s0, s11, v3, s0
	s_cselect_b32 s0, -1, 0
	v_add_nc_u32_e32 v1, s8, v1
	s_or_b32 s0, s0, vcc_lo
	s_mov_b32 s19, s20
	s_and_b32 s0, exec_lo, s0
	s_delay_alu instid0(SALU_CYCLE_1) | instskip(SKIP_4) | instid1(VALU_DEP_1)
	s_or_b32 s9, s0, s9
	s_waitcnt vmcnt(1)
	v_lshlrev_b32_e32 v5, 16, v5
	s_waitcnt vmcnt(0)
	v_lshlrev_b32_e32 v6, 16, v6
	v_fmac_f32_e32 v4, v6, v5
	s_and_not1_b32 exec_lo, exec_lo, s9
	s_cbranch_execnz .LBB315_2
; %bb.3:
	s_or_b32 exec_lo, exec_lo, s9
.LBB315_4:
	s_delay_alu instid0(SALU_CYCLE_1) | instskip(SKIP_2) | instid1(VALU_DEP_2)
	s_or_b32 exec_lo, exec_lo, s15
	v_and_b32_e32 v2, 31, v0
	v_cmp_gt_u32_e32 vcc_lo, 32, v0
	v_lshlrev_b32_e32 v1, 2, v2
	s_and_saveexec_b32 s0, vcc_lo
	s_cbranch_execz .LBB315_6
; %bb.5:
	v_mov_b32_e32 v3, 0
	ds_store_b32 v1, v3
.LBB315_6:
	s_or_b32 exec_lo, exec_lo, s0
	v_mbcnt_lo_u32_b32 v6, -1, 0
	s_mov_b32 s1, exec_lo
	s_waitcnt lgkmcnt(0)
	s_barrier
	buffer_gl0_inv
	v_cmp_gt_u32_e64 s0, 16, v6
	s_delay_alu instid0(VALU_DEP_1) | instskip(SKIP_1) | instid1(VALU_DEP_2)
	v_cndmask_b32_e64 v3, 0, 1, s0
	v_cmp_gt_u32_e64 s0, 24, v6
	v_lshlrev_b32_e32 v3, 4, v3
	s_delay_alu instid0(VALU_DEP_1) | instskip(SKIP_3) | instid1(VALU_DEP_2)
	v_add_lshl_u32 v3, v3, v6, 2
	ds_bpermute_b32 v5, v3, v4
	v_cndmask_b32_e64 v3, 0, 1, s0
	v_cmp_gt_u32_e64 s0, 28, v6
	v_lshlrev_b32_e32 v3, 3, v3
	s_delay_alu instid0(VALU_DEP_1) | instskip(SKIP_4) | instid1(VALU_DEP_2)
	v_add_lshl_u32 v3, v3, v6, 2
	s_waitcnt lgkmcnt(0)
	v_add_f32_e32 v5, v4, v5
	v_cndmask_b32_e64 v4, 0, 1, s0
	v_cmp_gt_u32_e64 s0, 30, v6
	v_lshlrev_b32_e32 v4, 2, v4
	ds_bpermute_b32 v7, v3, v5
	v_add_lshl_u32 v4, v4, v6, 2
	s_waitcnt lgkmcnt(0)
	v_add_f32_e32 v7, v5, v7
	v_cndmask_b32_e64 v5, 0, 1, s0
	v_cmp_ne_u32_e64 s0, 31, v6
	s_delay_alu instid0(VALU_DEP_2) | instskip(NEXT) | instid1(VALU_DEP_1)
	v_lshlrev_b32_e32 v5, 1, v5
	v_add_lshl_u32 v5, v5, v6, 2
	s_delay_alu instid0(VALU_DEP_3) | instskip(NEXT) | instid1(VALU_DEP_1)
	v_add_co_ci_u32_e64 v6, s0, 0, v6, s0
	v_lshlrev_b32_e32 v6, 2, v6
	ds_bpermute_b32 v8, v4, v7
	s_waitcnt lgkmcnt(0)
	v_add_f32_e32 v7, v7, v8
	ds_bpermute_b32 v8, v5, v7
	s_waitcnt lgkmcnt(0)
	v_add_f32_e32 v7, v7, v8
	ds_bpermute_b32 v8, v6, v7
	v_cmpx_eq_u32_e32 0, v2
	s_cbranch_execz .LBB315_8
; %bb.7:
	v_lshrrev_b32_e32 v2, 3, v0
	s_waitcnt lgkmcnt(0)
	s_delay_alu instid0(VALU_DEP_1)
	v_dual_add_f32 v7, v7, v8 :: v_dual_and_b32 v2, 60, v2
	ds_store_b32 v2, v7
.LBB315_8:
	s_or_b32 exec_lo, exec_lo, s1
	v_mov_b32_e32 v2, 0
	s_mov_b32 s1, exec_lo
	s_waitcnt lgkmcnt(0)
	s_barrier
	buffer_gl0_inv
	v_cmpx_gt_u32_e32 16, v0
	s_cbranch_execz .LBB315_10
; %bb.9:
	ds_load_b32 v2, v1
.LBB315_10:
	s_or_b32 exec_lo, exec_lo, s1
	s_and_saveexec_b32 s0, vcc_lo
	s_cbranch_execz .LBB315_12
; %bb.11:
	s_waitcnt lgkmcnt(0)
	ds_bpermute_b32 v1, v3, v2
	s_waitcnt lgkmcnt(0)
	v_add_f32_e32 v1, v2, v1
	ds_bpermute_b32 v2, v4, v1
	s_waitcnt lgkmcnt(0)
	v_add_f32_e32 v1, v1, v2
	;; [unrolled: 3-line block ×4, first 2 shown]
.LBB315_12:
	s_or_b32 exec_lo, exec_lo, s0
	s_delay_alu instid0(SALU_CYCLE_1)
	s_mov_b32 s0, exec_lo
	v_cmpx_eq_u32_e32 0, v0
	s_cbranch_execz .LBB315_18
; %bb.13:
	s_cmp_lg_u32 s12, 1
	s_cbranch_scc0 .LBB315_15
; %bb.14:
	s_mul_hi_u32 s1, s12, s2
	s_mul_i32 s0, s12, s2
	s_mov_b32 s15, 0
	s_lshl_b64 s[0:1], s[0:1], 2
	s_delay_alu instid0(SALU_CYCLE_1) | instskip(SKIP_2) | instid1(SALU_CYCLE_1)
	s_add_u32 s4, s4, s0
	s_addc_u32 s5, s5, s1
	s_lshl_b64 s[0:1], s[14:15], 2
	s_add_u32 s0, s4, s0
	s_addc_u32 s1, s5, s1
	s_cbranch_execz .LBB315_16
	s_branch .LBB315_17
.LBB315_15:
                                        ; implicit-def: $sgpr0_sgpr1
.LBB315_16:
	s_lshl_b64 s[0:1], s[2:3], 2
	s_delay_alu instid0(SALU_CYCLE_1)
	s_add_u32 s0, s6, s0
	s_addc_u32 s1, s7, s1
.LBB315_17:
	v_mov_b32_e32 v0, 0
	s_waitcnt lgkmcnt(0)
	global_store_b32 v0, v2, s[0:1]
.LBB315_18:
	s_nop 0
	s_sendmsg sendmsg(MSG_DEALLOC_VGPRS)
	s_endpgm
	.section	.rodata,"a",@progbits
	.p2align	6, 0x0
	.amdhsa_kernel _ZL23rocblas_dot_kernel_inc1ILb0ELi512ELi4ELb1EfPK16rocblas_bfloat16fEviT4_llS3_lliPT5_PT3_
		.amdhsa_group_segment_fixed_size 128
		.amdhsa_private_segment_fixed_size 0
		.amdhsa_kernarg_size 336
		.amdhsa_user_sgpr_count 14
		.amdhsa_user_sgpr_dispatch_ptr 0
		.amdhsa_user_sgpr_queue_ptr 0
		.amdhsa_user_sgpr_kernarg_segment_ptr 1
		.amdhsa_user_sgpr_dispatch_id 0
		.amdhsa_user_sgpr_private_segment_size 0
		.amdhsa_wavefront_size32 1
		.amdhsa_uses_dynamic_stack 0
		.amdhsa_enable_private_segment 0
		.amdhsa_system_sgpr_workgroup_id_x 1
		.amdhsa_system_sgpr_workgroup_id_y 0
		.amdhsa_system_sgpr_workgroup_id_z 1
		.amdhsa_system_sgpr_workgroup_info 0
		.amdhsa_system_vgpr_workitem_id 0
		.amdhsa_next_free_vgpr 9
		.amdhsa_next_free_sgpr 24
		.amdhsa_reserve_vcc 1
		.amdhsa_float_round_mode_32 0
		.amdhsa_float_round_mode_16_64 0
		.amdhsa_float_denorm_mode_32 3
		.amdhsa_float_denorm_mode_16_64 3
		.amdhsa_dx10_clamp 1
		.amdhsa_ieee_mode 1
		.amdhsa_fp16_overflow 0
		.amdhsa_workgroup_processor_mode 1
		.amdhsa_memory_ordered 1
		.amdhsa_forward_progress 0
		.amdhsa_shared_vgpr_count 0
		.amdhsa_exception_fp_ieee_invalid_op 0
		.amdhsa_exception_fp_denorm_src 0
		.amdhsa_exception_fp_ieee_div_zero 0
		.amdhsa_exception_fp_ieee_overflow 0
		.amdhsa_exception_fp_ieee_underflow 0
		.amdhsa_exception_fp_ieee_inexact 0
		.amdhsa_exception_int_div_zero 0
	.end_amdhsa_kernel
	.section	.text._ZL23rocblas_dot_kernel_inc1ILb0ELi512ELi4ELb1EfPK16rocblas_bfloat16fEviT4_llS3_lliPT5_PT3_,"axG",@progbits,_ZL23rocblas_dot_kernel_inc1ILb0ELi512ELi4ELb1EfPK16rocblas_bfloat16fEviT4_llS3_lliPT5_PT3_,comdat
.Lfunc_end315:
	.size	_ZL23rocblas_dot_kernel_inc1ILb0ELi512ELi4ELb1EfPK16rocblas_bfloat16fEviT4_llS3_lliPT5_PT3_, .Lfunc_end315-_ZL23rocblas_dot_kernel_inc1ILb0ELi512ELi4ELb1EfPK16rocblas_bfloat16fEviT4_llS3_lliPT5_PT3_
                                        ; -- End function
	.section	.AMDGPU.csdata,"",@progbits
; Kernel info:
; codeLenInByte = 944
; NumSgprs: 26
; NumVgprs: 9
; ScratchSize: 0
; MemoryBound: 0
; FloatMode: 240
; IeeeMode: 1
; LDSByteSize: 128 bytes/workgroup (compile time only)
; SGPRBlocks: 3
; VGPRBlocks: 1
; NumSGPRsForWavesPerEU: 26
; NumVGPRsForWavesPerEU: 9
; Occupancy: 16
; WaveLimiterHint : 0
; COMPUTE_PGM_RSRC2:SCRATCH_EN: 0
; COMPUTE_PGM_RSRC2:USER_SGPR: 14
; COMPUTE_PGM_RSRC2:TRAP_HANDLER: 0
; COMPUTE_PGM_RSRC2:TGID_X_EN: 1
; COMPUTE_PGM_RSRC2:TGID_Y_EN: 0
; COMPUTE_PGM_RSRC2:TGID_Z_EN: 1
; COMPUTE_PGM_RSRC2:TIDIG_COMP_CNT: 0
	.section	.text._ZL18rocblas_dot_kernelIlLb0ELi512ELi4ELb1EfPK16rocblas_bfloat16fEviT5_lT_lS3_lS4_liPT6_PT4_,"axG",@progbits,_ZL18rocblas_dot_kernelIlLb0ELi512ELi4ELb1EfPK16rocblas_bfloat16fEviT5_lT_lS3_lS4_liPT6_PT4_,comdat
	.globl	_ZL18rocblas_dot_kernelIlLb0ELi512ELi4ELb1EfPK16rocblas_bfloat16fEviT5_lT_lS3_lS4_liPT6_PT4_ ; -- Begin function _ZL18rocblas_dot_kernelIlLb0ELi512ELi4ELb1EfPK16rocblas_bfloat16fEviT5_lT_lS3_lS4_liPT6_PT4_
	.p2align	8
	.type	_ZL18rocblas_dot_kernelIlLb0ELi512ELi4ELb1EfPK16rocblas_bfloat16fEviT5_lT_lS3_lS4_liPT6_PT4_,@function
_ZL18rocblas_dot_kernelIlLb0ELi512ELi4ELb1EfPK16rocblas_bfloat16fEviT5_lT_lS3_lS4_liPT6_PT4_: ; @_ZL18rocblas_dot_kernelIlLb0ELi512ELi4ELb1EfPK16rocblas_bfloat16fEviT5_lT_lS3_lS4_liPT6_PT4_
; %bb.0:
	s_clause 0x2
	s_load_b32 s12, s[0:1], 0x60
	s_load_b32 s13, s[0:1], 0x0
	s_load_b128 s[16:19], s[0:1], 0x50
	v_lshl_or_b32 v1, s14, 9, v0
	v_mov_b32_e32 v6, 0
	s_mov_b32 s2, s15
	s_mov_b32 s3, 0
	s_mov_b32 s15, exec_lo
	s_waitcnt lgkmcnt(0)
	v_cmpx_gt_i32_e64 s13, v1
	s_cbranch_execz .LBB316_4
; %bb.1:
	s_clause 0x2
	s_load_b128 s[20:23], s[0:1], 0x10
	s_load_b256 s[4:11], s[0:1], 0x20
	s_load_b64 s[26:27], s[0:1], 0x8
	v_ashrrev_i32_e32 v4, 31, v1
	s_load_b64 s[0:1], s[0:1], 0x40
	s_lshl_b32 s24, s12, 9
	s_delay_alu instid0(SALU_CYCLE_1)
	v_add_nc_u32_e32 v5, s24, v1
	s_waitcnt lgkmcnt(0)
	v_mul_lo_u32 v8, s23, v1
	v_mul_lo_u32 v9, s22, v4
	v_mad_u64_u32 v[2:3], null, s22, v1, 0
	s_mul_i32 s5, s5, s2
	s_mul_hi_u32 s25, s4, s2
	s_mul_i32 s4, s4, s2
	v_mul_lo_u32 v10, s11, v1
	v_mul_lo_u32 v4, s10, v4
	s_add_i32 s5, s25, s5
	s_delay_alu instid0(VALU_DEP_3)
	v_add3_u32 v3, v3, v9, v8
	v_mad_u64_u32 v[6:7], null, s10, v1, 0
	s_lshl_b64 s[20:21], s[20:21], 1
	s_lshl_b64 s[4:5], s[4:5], 1
	s_add_u32 s20, s26, s20
	s_addc_u32 s21, s27, s21
	v_lshlrev_b64 v[1:2], 1, v[2:3]
	s_add_u32 s20, s20, s4
	s_addc_u32 s21, s21, s5
	s_ashr_i32 s25, s24, 31
	s_mul_hi_u32 s4, s22, s24
	s_mul_i32 s5, s22, s25
	v_add3_u32 v7, v7, v4, v10
	s_mul_i32 s23, s23, s24
	s_add_i32 s5, s4, s5
	v_add_co_u32 v1, vcc_lo, s20, v1
	s_mul_i32 s1, s1, s2
	s_mul_hi_u32 s20, s0, s2
	s_mul_i32 s4, s22, s24
	s_add_i32 s5, s5, s23
	s_add_i32 s1, s20, s1
	s_mul_i32 s0, s0, s2
	v_lshlrev_b64 v[3:4], 1, v[6:7]
	v_mov_b32_e32 v6, 0
	s_lshl_b64 s[8:9], s[8:9], 1
	s_lshl_b64 s[4:5], s[4:5], 1
	;; [unrolled: 1-line block ×3, first 2 shown]
	s_add_u32 s6, s6, s8
	s_addc_u32 s7, s7, s9
	s_add_u32 s0, s6, s0
	v_add_co_ci_u32_e32 v2, vcc_lo, s21, v2, vcc_lo
	s_mul_i32 s6, s10, s25
	s_mul_hi_u32 s8, s10, s24
	s_addc_u32 s1, s7, s1
	v_add_co_u32 v3, vcc_lo, s0, v3
	s_add_i32 s6, s8, s6
	s_mul_i32 s7, s11, s24
	v_add_co_ci_u32_e32 v4, vcc_lo, s1, v4, vcc_lo
	s_add_i32 s1, s6, s7
	s_mul_i32 s0, s10, s24
	s_mov_b32 s8, s3
	s_lshl_b64 s[6:7], s[0:1], 1
	s_mov_b32 s1, s3
	.p2align	6
.LBB316_2:                              ; =>This Inner Loop Header: Depth=1
	global_load_u16 v7, v[1:2], off
	global_load_u16 v8, v[3:4], off
	v_add_co_u32 v1, s0, v1, s4
	s_delay_alu instid0(VALU_DEP_1)
	v_add_co_ci_u32_e64 v2, s0, s5, v2, s0
	s_add_i32 s9, s8, 1
	v_cmp_le_i32_e32 vcc_lo, s13, v5
	v_add_co_u32 v3, s0, v3, s6
	s_cmp_gt_u32 s8, 2
	v_add_co_ci_u32_e64 v4, s0, s7, v4, s0
	s_cselect_b32 s0, -1, 0
	s_mov_b32 s8, s9
	s_or_b32 s0, s0, vcc_lo
	s_delay_alu instid0(SALU_CYCLE_1) | instskip(NEXT) | instid1(SALU_CYCLE_1)
	s_and_b32 s0, exec_lo, s0
	s_or_b32 s1, s0, s1
	s_waitcnt vmcnt(1)
	v_lshlrev_b32_e32 v7, 16, v7
	s_waitcnt vmcnt(0)
	v_lshlrev_b32_e32 v8, 16, v8
	s_delay_alu instid0(VALU_DEP_1)
	v_dual_fmac_f32 v6, v8, v7 :: v_dual_add_nc_u32 v5, s24, v5
	s_and_not1_b32 exec_lo, exec_lo, s1
	s_cbranch_execnz .LBB316_2
; %bb.3:
	s_or_b32 exec_lo, exec_lo, s1
.LBB316_4:
	s_delay_alu instid0(SALU_CYCLE_1) | instskip(SKIP_2) | instid1(VALU_DEP_2)
	s_or_b32 exec_lo, exec_lo, s15
	v_and_b32_e32 v2, 31, v0
	v_cmp_gt_u32_e32 vcc_lo, 32, v0
	v_lshlrev_b32_e32 v1, 2, v2
	s_and_saveexec_b32 s0, vcc_lo
	s_cbranch_execz .LBB316_6
; %bb.5:
	v_mov_b32_e32 v3, 0
	ds_store_b32 v1, v3
.LBB316_6:
	s_or_b32 exec_lo, exec_lo, s0
	v_mbcnt_lo_u32_b32 v7, -1, 0
	s_mov_b32 s1, exec_lo
	s_waitcnt lgkmcnt(0)
	s_barrier
	buffer_gl0_inv
	v_cmp_gt_u32_e64 s0, 16, v7
	s_delay_alu instid0(VALU_DEP_1) | instskip(SKIP_1) | instid1(VALU_DEP_2)
	v_cndmask_b32_e64 v3, 0, 1, s0
	v_cmp_gt_u32_e64 s0, 24, v7
	v_lshlrev_b32_e32 v3, 4, v3
	s_delay_alu instid0(VALU_DEP_1) | instskip(SKIP_3) | instid1(VALU_DEP_2)
	v_add_lshl_u32 v3, v3, v7, 2
	ds_bpermute_b32 v4, v3, v6
	v_cndmask_b32_e64 v3, 0, 1, s0
	v_cmp_gt_u32_e64 s0, 28, v7
	v_lshlrev_b32_e32 v3, 3, v3
	s_delay_alu instid0(VALU_DEP_1)
	v_add_lshl_u32 v3, v3, v7, 2
	s_waitcnt lgkmcnt(0)
	v_add_f32_e32 v5, v6, v4
	v_cndmask_b32_e64 v4, 0, 1, s0
	v_cmp_gt_u32_e64 s0, 30, v7
	ds_bpermute_b32 v6, v3, v5
	v_lshlrev_b32_e32 v4, 2, v4
	s_delay_alu instid0(VALU_DEP_1)
	v_add_lshl_u32 v4, v4, v7, 2
	s_waitcnt lgkmcnt(0)
	v_add_f32_e32 v6, v5, v6
	v_cndmask_b32_e64 v5, 0, 1, s0
	v_cmp_ne_u32_e64 s0, 31, v7
	ds_bpermute_b32 v8, v4, v6
	v_lshlrev_b32_e32 v5, 1, v5
	v_add_co_ci_u32_e64 v9, s0, 0, v7, s0
	s_delay_alu instid0(VALU_DEP_2)
	v_add_lshl_u32 v5, v5, v7, 2
	s_waitcnt lgkmcnt(0)
	v_add_f32_e32 v6, v6, v8
	ds_bpermute_b32 v8, v5, v6
	s_waitcnt lgkmcnt(0)
	v_dual_add_f32 v7, v6, v8 :: v_dual_lshlrev_b32 v6, 2, v9
	ds_bpermute_b32 v8, v6, v7
	v_cmpx_eq_u32_e32 0, v2
	s_cbranch_execz .LBB316_8
; %bb.7:
	v_lshrrev_b32_e32 v2, 3, v0
	s_waitcnt lgkmcnt(0)
	s_delay_alu instid0(VALU_DEP_1)
	v_dual_add_f32 v7, v7, v8 :: v_dual_and_b32 v2, 60, v2
	ds_store_b32 v2, v7
.LBB316_8:
	s_or_b32 exec_lo, exec_lo, s1
	v_mov_b32_e32 v2, 0
	s_mov_b32 s1, exec_lo
	s_waitcnt lgkmcnt(0)
	s_barrier
	buffer_gl0_inv
	v_cmpx_gt_u32_e32 16, v0
	s_cbranch_execz .LBB316_10
; %bb.9:
	ds_load_b32 v2, v1
.LBB316_10:
	s_or_b32 exec_lo, exec_lo, s1
	s_and_saveexec_b32 s0, vcc_lo
	s_cbranch_execz .LBB316_12
; %bb.11:
	s_waitcnt lgkmcnt(0)
	ds_bpermute_b32 v1, v3, v2
	s_waitcnt lgkmcnt(0)
	v_add_f32_e32 v1, v2, v1
	ds_bpermute_b32 v2, v4, v1
	s_waitcnt lgkmcnt(0)
	v_add_f32_e32 v1, v1, v2
	;; [unrolled: 3-line block ×4, first 2 shown]
.LBB316_12:
	s_or_b32 exec_lo, exec_lo, s0
	s_delay_alu instid0(SALU_CYCLE_1)
	s_mov_b32 s0, exec_lo
	v_cmpx_eq_u32_e32 0, v0
	s_cbranch_execz .LBB316_18
; %bb.13:
	s_cmp_lg_u32 s12, 1
	s_cbranch_scc0 .LBB316_15
; %bb.14:
	s_mul_hi_u32 s1, s12, s2
	s_mul_i32 s0, s12, s2
	s_mov_b32 s15, 0
	s_lshl_b64 s[0:1], s[0:1], 2
	s_delay_alu instid0(SALU_CYCLE_1) | instskip(SKIP_2) | instid1(SALU_CYCLE_1)
	s_add_u32 s4, s16, s0
	s_addc_u32 s5, s17, s1
	s_lshl_b64 s[0:1], s[14:15], 2
	s_add_u32 s0, s4, s0
	s_addc_u32 s1, s5, s1
	s_cbranch_execz .LBB316_16
	s_branch .LBB316_17
.LBB316_15:
                                        ; implicit-def: $sgpr0_sgpr1
.LBB316_16:
	s_lshl_b64 s[0:1], s[2:3], 2
	s_delay_alu instid0(SALU_CYCLE_1)
	s_add_u32 s0, s18, s0
	s_addc_u32 s1, s19, s1
.LBB316_17:
	v_mov_b32_e32 v0, 0
	s_waitcnt lgkmcnt(0)
	global_store_b32 v0, v2, s[0:1]
.LBB316_18:
	s_nop 0
	s_sendmsg sendmsg(MSG_DEALLOC_VGPRS)
	s_endpgm
	.section	.rodata,"a",@progbits
	.p2align	6, 0x0
	.amdhsa_kernel _ZL18rocblas_dot_kernelIlLb0ELi512ELi4ELb1EfPK16rocblas_bfloat16fEviT5_lT_lS3_lS4_liPT6_PT4_
		.amdhsa_group_segment_fixed_size 128
		.amdhsa_private_segment_fixed_size 0
		.amdhsa_kernarg_size 352
		.amdhsa_user_sgpr_count 14
		.amdhsa_user_sgpr_dispatch_ptr 0
		.amdhsa_user_sgpr_queue_ptr 0
		.amdhsa_user_sgpr_kernarg_segment_ptr 1
		.amdhsa_user_sgpr_dispatch_id 0
		.amdhsa_user_sgpr_private_segment_size 0
		.amdhsa_wavefront_size32 1
		.amdhsa_uses_dynamic_stack 0
		.amdhsa_enable_private_segment 0
		.amdhsa_system_sgpr_workgroup_id_x 1
		.amdhsa_system_sgpr_workgroup_id_y 0
		.amdhsa_system_sgpr_workgroup_id_z 1
		.amdhsa_system_sgpr_workgroup_info 0
		.amdhsa_system_vgpr_workitem_id 0
		.amdhsa_next_free_vgpr 11
		.amdhsa_next_free_sgpr 28
		.amdhsa_reserve_vcc 1
		.amdhsa_float_round_mode_32 0
		.amdhsa_float_round_mode_16_64 0
		.amdhsa_float_denorm_mode_32 3
		.amdhsa_float_denorm_mode_16_64 3
		.amdhsa_dx10_clamp 1
		.amdhsa_ieee_mode 1
		.amdhsa_fp16_overflow 0
		.amdhsa_workgroup_processor_mode 1
		.amdhsa_memory_ordered 1
		.amdhsa_forward_progress 0
		.amdhsa_shared_vgpr_count 0
		.amdhsa_exception_fp_ieee_invalid_op 0
		.amdhsa_exception_fp_denorm_src 0
		.amdhsa_exception_fp_ieee_div_zero 0
		.amdhsa_exception_fp_ieee_overflow 0
		.amdhsa_exception_fp_ieee_underflow 0
		.amdhsa_exception_fp_ieee_inexact 0
		.amdhsa_exception_int_div_zero 0
	.end_amdhsa_kernel
	.section	.text._ZL18rocblas_dot_kernelIlLb0ELi512ELi4ELb1EfPK16rocblas_bfloat16fEviT5_lT_lS3_lS4_liPT6_PT4_,"axG",@progbits,_ZL18rocblas_dot_kernelIlLb0ELi512ELi4ELb1EfPK16rocblas_bfloat16fEviT5_lT_lS3_lS4_liPT6_PT4_,comdat
.Lfunc_end316:
	.size	_ZL18rocblas_dot_kernelIlLb0ELi512ELi4ELb1EfPK16rocblas_bfloat16fEviT5_lT_lS3_lS4_liPT6_PT4_, .Lfunc_end316-_ZL18rocblas_dot_kernelIlLb0ELi512ELi4ELb1EfPK16rocblas_bfloat16fEviT5_lT_lS3_lS4_liPT6_PT4_
                                        ; -- End function
	.section	.AMDGPU.csdata,"",@progbits
; Kernel info:
; codeLenInByte = 1088
; NumSgprs: 30
; NumVgprs: 11
; ScratchSize: 0
; MemoryBound: 0
; FloatMode: 240
; IeeeMode: 1
; LDSByteSize: 128 bytes/workgroup (compile time only)
; SGPRBlocks: 3
; VGPRBlocks: 1
; NumSGPRsForWavesPerEU: 30
; NumVGPRsForWavesPerEU: 11
; Occupancy: 16
; WaveLimiterHint : 0
; COMPUTE_PGM_RSRC2:SCRATCH_EN: 0
; COMPUTE_PGM_RSRC2:USER_SGPR: 14
; COMPUTE_PGM_RSRC2:TRAP_HANDLER: 0
; COMPUTE_PGM_RSRC2:TGID_X_EN: 1
; COMPUTE_PGM_RSRC2:TGID_Y_EN: 0
; COMPUTE_PGM_RSRC2:TGID_Z_EN: 1
; COMPUTE_PGM_RSRC2:TIDIG_COMP_CNT: 0
	.section	.text._ZL24rocblas_dot_kernel_magsqIlLb0ELi512ELi4ELb1EfPK16rocblas_bfloat16fEviT5_lT_liPT6_PT4_,"axG",@progbits,_ZL24rocblas_dot_kernel_magsqIlLb0ELi512ELi4ELb1EfPK16rocblas_bfloat16fEviT5_lT_liPT6_PT4_,comdat
	.globl	_ZL24rocblas_dot_kernel_magsqIlLb0ELi512ELi4ELb1EfPK16rocblas_bfloat16fEviT5_lT_liPT6_PT4_ ; -- Begin function _ZL24rocblas_dot_kernel_magsqIlLb0ELi512ELi4ELb1EfPK16rocblas_bfloat16fEviT5_lT_liPT6_PT4_
	.p2align	8
	.type	_ZL24rocblas_dot_kernel_magsqIlLb0ELi512ELi4ELb1EfPK16rocblas_bfloat16fEviT5_lT_liPT6_PT4_,@function
_ZL24rocblas_dot_kernel_magsqIlLb0ELi512ELi4ELb1EfPK16rocblas_bfloat16fEviT5_lT_liPT6_PT4_: ; @_ZL24rocblas_dot_kernel_magsqIlLb0ELi512ELi4ELb1EfPK16rocblas_bfloat16fEviT5_lT_liPT6_PT4_
; %bb.0:
	s_clause 0x2
	s_load_b32 s11, s[0:1], 0x0
	s_load_b128 s[4:7], s[0:1], 0x30
	s_load_b32 s10, s[0:1], 0x40
	v_lshl_or_b32 v1, s14, 9, v0
	v_mov_b32_e32 v3, 0
	s_mov_b32 s2, s15
	s_mov_b32 s3, 0
	s_mov_b32 s12, exec_lo
	s_waitcnt lgkmcnt(0)
	v_cmpx_gt_i32_e64 s11, v1
	s_cbranch_execz .LBB317_4
; %bb.1:
	s_clause 0x2
	s_load_b128 s[16:19], s[0:1], 0x10
	s_load_b64 s[8:9], s[0:1], 0x20
	s_load_b64 s[20:21], s[0:1], 0x8
	v_ashrrev_i32_e32 v2, 31, v1
	s_lshl_b32 s1, s10, 9
	s_delay_alu instid0(SALU_CYCLE_1)
	v_add_nc_u32_e32 v4, s1, v1
	s_waitcnt lgkmcnt(0)
	v_mul_lo_u32 v5, s19, v1
	v_mul_lo_u32 v6, s18, v2
	v_mad_u64_u32 v[2:3], null, s18, v1, 0
	s_mul_i32 s0, s9, s2
	s_mul_hi_u32 s9, s8, s2
	s_mul_i32 s8, s8, s2
	s_add_i32 s9, s9, s0
	s_lshl_b64 s[16:17], s[16:17], 1
	s_lshl_b64 s[8:9], s[8:9], 1
	s_delay_alu instid0(VALU_DEP_1)
	v_add3_u32 v3, v3, v6, v5
	s_add_u32 s0, s20, s16
	s_addc_u32 s13, s21, s17
	s_add_u32 s0, s0, s8
	s_addc_u32 s13, s13, s9
	v_lshlrev_b64 v[1:2], 1, v[2:3]
	v_mov_b32_e32 v3, 0
	s_ashr_i32 s8, s1, 31
	s_mul_hi_u32 s9, s18, s1
	s_mul_i32 s8, s18, s8
	s_mul_i32 s15, s19, s1
	v_add_co_u32 v1, vcc_lo, s0, v1
	s_add_i32 s9, s9, s8
	v_add_co_ci_u32_e32 v2, vcc_lo, s13, v2, vcc_lo
	s_mul_i32 s8, s18, s1
	s_add_i32 s9, s9, s15
	s_mov_b32 s13, s3
	s_lshl_b64 s[8:9], s[8:9], 1
	s_mov_b32 s15, s3
	.p2align	6
.LBB317_2:                              ; =>This Inner Loop Header: Depth=1
	global_load_u16 v5, v[1:2], off
	s_add_i32 s16, s15, 1
	v_cmp_le_i32_e32 vcc_lo, s11, v4
	v_add_co_u32 v1, s0, v1, s8
	s_cmp_gt_u32 s15, 2
	v_add_co_ci_u32_e64 v2, s0, s9, v2, s0
	s_cselect_b32 s0, -1, 0
	s_mov_b32 s15, s16
	s_or_b32 s0, s0, vcc_lo
	s_delay_alu instid0(SALU_CYCLE_1) | instskip(NEXT) | instid1(SALU_CYCLE_1)
	s_and_b32 s0, exec_lo, s0
	s_or_b32 s13, s0, s13
	s_waitcnt vmcnt(0)
	v_lshlrev_b32_e32 v5, 16, v5
	s_delay_alu instid0(VALU_DEP_1)
	v_dual_fmac_f32 v3, v5, v5 :: v_dual_add_nc_u32 v4, s1, v4
	s_and_not1_b32 exec_lo, exec_lo, s13
	s_cbranch_execnz .LBB317_2
; %bb.3:
	s_or_b32 exec_lo, exec_lo, s13
.LBB317_4:
	s_delay_alu instid0(SALU_CYCLE_1) | instskip(SKIP_2) | instid1(VALU_DEP_2)
	s_or_b32 exec_lo, exec_lo, s12
	v_and_b32_e32 v2, 31, v0
	v_cmp_gt_u32_e32 vcc_lo, 32, v0
	v_lshlrev_b32_e32 v1, 2, v2
	s_and_saveexec_b32 s0, vcc_lo
	s_cbranch_execz .LBB317_6
; %bb.5:
	v_mov_b32_e32 v4, 0
	ds_store_b32 v1, v4
.LBB317_6:
	s_or_b32 exec_lo, exec_lo, s0
	v_mbcnt_lo_u32_b32 v6, -1, 0
	s_mov_b32 s1, exec_lo
	s_waitcnt lgkmcnt(0)
	s_barrier
	buffer_gl0_inv
	v_cmp_gt_u32_e64 s0, 16, v6
	s_delay_alu instid0(VALU_DEP_1) | instskip(SKIP_1) | instid1(VALU_DEP_2)
	v_cndmask_b32_e64 v4, 0, 1, s0
	v_cmp_gt_u32_e64 s0, 24, v6
	v_lshlrev_b32_e32 v4, 4, v4
	s_delay_alu instid0(VALU_DEP_1) | instskip(SKIP_4) | instid1(VALU_DEP_2)
	v_add_lshl_u32 v4, v4, v6, 2
	ds_bpermute_b32 v5, v4, v3
	v_cndmask_b32_e64 v4, 0, 1, s0
	v_cmp_gt_u32_e64 s0, 28, v6
	s_waitcnt lgkmcnt(0)
	v_dual_add_f32 v5, v3, v5 :: v_dual_lshlrev_b32 v4, 3, v4
	s_delay_alu instid0(VALU_DEP_2) | instskip(SKIP_1) | instid1(VALU_DEP_3)
	v_cndmask_b32_e64 v3, 0, 1, s0
	v_cmp_gt_u32_e64 s0, 30, v6
	v_add_lshl_u32 v4, v4, v6, 2
	s_delay_alu instid0(VALU_DEP_3)
	v_lshlrev_b32_e32 v3, 2, v3
	ds_bpermute_b32 v7, v4, v5
	v_add_lshl_u32 v3, v3, v6, 2
	s_waitcnt lgkmcnt(0)
	v_add_f32_e32 v7, v5, v7
	v_cndmask_b32_e64 v5, 0, 1, s0
	v_cmp_ne_u32_e64 s0, 31, v6
	ds_bpermute_b32 v8, v3, v7
	v_lshlrev_b32_e32 v5, 1, v5
	s_delay_alu instid0(VALU_DEP_1) | instskip(SKIP_2) | instid1(VALU_DEP_1)
	v_add_lshl_u32 v5, v5, v6, 2
	v_add_co_ci_u32_e64 v6, s0, 0, v6, s0
	s_waitcnt lgkmcnt(0)
	v_dual_add_f32 v7, v7, v8 :: v_dual_lshlrev_b32 v6, 2, v6
	ds_bpermute_b32 v8, v5, v7
	s_waitcnt lgkmcnt(0)
	v_add_f32_e32 v7, v7, v8
	ds_bpermute_b32 v8, v6, v7
	v_cmpx_eq_u32_e32 0, v2
	s_cbranch_execz .LBB317_8
; %bb.7:
	v_lshrrev_b32_e32 v2, 3, v0
	s_waitcnt lgkmcnt(0)
	s_delay_alu instid0(VALU_DEP_1)
	v_dual_add_f32 v7, v7, v8 :: v_dual_and_b32 v2, 60, v2
	ds_store_b32 v2, v7
.LBB317_8:
	s_or_b32 exec_lo, exec_lo, s1
	v_mov_b32_e32 v2, 0
	s_mov_b32 s1, exec_lo
	s_waitcnt lgkmcnt(0)
	s_barrier
	buffer_gl0_inv
	v_cmpx_gt_u32_e32 16, v0
	s_cbranch_execz .LBB317_10
; %bb.9:
	ds_load_b32 v2, v1
.LBB317_10:
	s_or_b32 exec_lo, exec_lo, s1
	s_and_saveexec_b32 s0, vcc_lo
	s_cbranch_execz .LBB317_12
; %bb.11:
	s_waitcnt lgkmcnt(0)
	ds_bpermute_b32 v1, v4, v2
	s_waitcnt lgkmcnt(0)
	v_add_f32_e32 v1, v2, v1
	ds_bpermute_b32 v2, v3, v1
	s_waitcnt lgkmcnt(0)
	v_add_f32_e32 v1, v1, v2
	;; [unrolled: 3-line block ×4, first 2 shown]
.LBB317_12:
	s_or_b32 exec_lo, exec_lo, s0
	s_delay_alu instid0(SALU_CYCLE_1)
	s_mov_b32 s0, exec_lo
	v_cmpx_eq_u32_e32 0, v0
	s_cbranch_execz .LBB317_18
; %bb.13:
	s_cmp_lg_u32 s10, 1
	s_cbranch_scc0 .LBB317_15
; %bb.14:
	s_mul_hi_u32 s1, s10, s2
	s_mul_i32 s0, s10, s2
	s_mov_b32 s15, 0
	s_lshl_b64 s[0:1], s[0:1], 2
	s_delay_alu instid0(SALU_CYCLE_1) | instskip(SKIP_2) | instid1(SALU_CYCLE_1)
	s_add_u32 s4, s4, s0
	s_addc_u32 s5, s5, s1
	s_lshl_b64 s[0:1], s[14:15], 2
	s_add_u32 s0, s4, s0
	s_addc_u32 s1, s5, s1
	s_cbranch_execz .LBB317_16
	s_branch .LBB317_17
.LBB317_15:
                                        ; implicit-def: $sgpr0_sgpr1
.LBB317_16:
	s_lshl_b64 s[0:1], s[2:3], 2
	s_delay_alu instid0(SALU_CYCLE_1)
	s_add_u32 s0, s6, s0
	s_addc_u32 s1, s7, s1
.LBB317_17:
	v_mov_b32_e32 v0, 0
	s_waitcnt lgkmcnt(0)
	global_store_b32 v0, v2, s[0:1]
.LBB317_18:
	s_nop 0
	s_sendmsg sendmsg(MSG_DEALLOC_VGPRS)
	s_endpgm
	.section	.rodata,"a",@progbits
	.p2align	6, 0x0
	.amdhsa_kernel _ZL24rocblas_dot_kernel_magsqIlLb0ELi512ELi4ELb1EfPK16rocblas_bfloat16fEviT5_lT_liPT6_PT4_
		.amdhsa_group_segment_fixed_size 128
		.amdhsa_private_segment_fixed_size 0
		.amdhsa_kernarg_size 320
		.amdhsa_user_sgpr_count 14
		.amdhsa_user_sgpr_dispatch_ptr 0
		.amdhsa_user_sgpr_queue_ptr 0
		.amdhsa_user_sgpr_kernarg_segment_ptr 1
		.amdhsa_user_sgpr_dispatch_id 0
		.amdhsa_user_sgpr_private_segment_size 0
		.amdhsa_wavefront_size32 1
		.amdhsa_uses_dynamic_stack 0
		.amdhsa_enable_private_segment 0
		.amdhsa_system_sgpr_workgroup_id_x 1
		.amdhsa_system_sgpr_workgroup_id_y 0
		.amdhsa_system_sgpr_workgroup_id_z 1
		.amdhsa_system_sgpr_workgroup_info 0
		.amdhsa_system_vgpr_workitem_id 0
		.amdhsa_next_free_vgpr 9
		.amdhsa_next_free_sgpr 22
		.amdhsa_reserve_vcc 1
		.amdhsa_float_round_mode_32 0
		.amdhsa_float_round_mode_16_64 0
		.amdhsa_float_denorm_mode_32 3
		.amdhsa_float_denorm_mode_16_64 3
		.amdhsa_dx10_clamp 1
		.amdhsa_ieee_mode 1
		.amdhsa_fp16_overflow 0
		.amdhsa_workgroup_processor_mode 1
		.amdhsa_memory_ordered 1
		.amdhsa_forward_progress 0
		.amdhsa_shared_vgpr_count 0
		.amdhsa_exception_fp_ieee_invalid_op 0
		.amdhsa_exception_fp_denorm_src 0
		.amdhsa_exception_fp_ieee_div_zero 0
		.amdhsa_exception_fp_ieee_overflow 0
		.amdhsa_exception_fp_ieee_underflow 0
		.amdhsa_exception_fp_ieee_inexact 0
		.amdhsa_exception_int_div_zero 0
	.end_amdhsa_kernel
	.section	.text._ZL24rocblas_dot_kernel_magsqIlLb0ELi512ELi4ELb1EfPK16rocblas_bfloat16fEviT5_lT_liPT6_PT4_,"axG",@progbits,_ZL24rocblas_dot_kernel_magsqIlLb0ELi512ELi4ELb1EfPK16rocblas_bfloat16fEviT5_lT_liPT6_PT4_,comdat
.Lfunc_end317:
	.size	_ZL24rocblas_dot_kernel_magsqIlLb0ELi512ELi4ELb1EfPK16rocblas_bfloat16fEviT5_lT_liPT6_PT4_, .Lfunc_end317-_ZL24rocblas_dot_kernel_magsqIlLb0ELi512ELi4ELb1EfPK16rocblas_bfloat16fEviT5_lT_liPT6_PT4_
                                        ; -- End function
	.section	.AMDGPU.csdata,"",@progbits
; Kernel info:
; codeLenInByte = 924
; NumSgprs: 24
; NumVgprs: 9
; ScratchSize: 0
; MemoryBound: 0
; FloatMode: 240
; IeeeMode: 1
; LDSByteSize: 128 bytes/workgroup (compile time only)
; SGPRBlocks: 2
; VGPRBlocks: 1
; NumSGPRsForWavesPerEU: 24
; NumVGPRsForWavesPerEU: 9
; Occupancy: 16
; WaveLimiterHint : 0
; COMPUTE_PGM_RSRC2:SCRATCH_EN: 0
; COMPUTE_PGM_RSRC2:USER_SGPR: 14
; COMPUTE_PGM_RSRC2:TRAP_HANDLER: 0
; COMPUTE_PGM_RSRC2:TGID_X_EN: 1
; COMPUTE_PGM_RSRC2:TGID_Y_EN: 0
; COMPUTE_PGM_RSRC2:TGID_Z_EN: 1
; COMPUTE_PGM_RSRC2:TIDIG_COMP_CNT: 0
	.section	.text._ZL28rocblas_dot_batched_4_kernelIlLi32ELi4ELb1EffPKPK16rocblas_bfloat16EviT5_lT_lS5_lS6_liPT4_,"axG",@progbits,_ZL28rocblas_dot_batched_4_kernelIlLi32ELi4ELb1EffPKPK16rocblas_bfloat16EviT5_lT_lS5_lS6_liPT4_,comdat
	.globl	_ZL28rocblas_dot_batched_4_kernelIlLi32ELi4ELb1EffPKPK16rocblas_bfloat16EviT5_lT_lS5_lS6_liPT4_ ; -- Begin function _ZL28rocblas_dot_batched_4_kernelIlLi32ELi4ELb1EffPKPK16rocblas_bfloat16EviT5_lT_lS5_lS6_liPT4_
	.p2align	8
	.type	_ZL28rocblas_dot_batched_4_kernelIlLi32ELi4ELb1EffPKPK16rocblas_bfloat16EviT5_lT_lS5_lS6_liPT4_,@function
_ZL28rocblas_dot_batched_4_kernelIlLi32ELi4ELb1EffPKPK16rocblas_bfloat16EviT5_lT_lS5_lS6_liPT4_: ; @_ZL28rocblas_dot_batched_4_kernelIlLi32ELi4ELb1EffPKPK16rocblas_bfloat16EviT5_lT_lS5_lS6_liPT4_
; %bb.0:
	s_load_b32 s2, s[0:1], 0x48
	v_bfe_u32 v1, v0, 10, 10
	s_delay_alu instid0(VALU_DEP_1) | instskip(SKIP_1) | instid1(VALU_DEP_1)
	v_lshl_add_u32 v1, s15, 2, v1
	s_waitcnt lgkmcnt(0)
	v_cmp_gt_u32_e32 vcc_lo, s2, v1
	s_and_saveexec_b32 s2, vcc_lo
	s_cbranch_execz .LBB318_7
; %bb.1:
	s_clause 0x1
	s_load_b32 s10, s[0:1], 0x0
	s_load_b64 s[8:9], s[0:1], 0x50
	v_mov_b32_e32 v2, 0
	v_and_b32_e32 v0, 0x3ff, v0
	s_mov_b32 s11, exec_lo
	s_delay_alu instid0(VALU_DEP_2) | instskip(SKIP_1) | instid1(VALU_DEP_2)
	v_mov_b32_e32 v7, v2
	s_waitcnt lgkmcnt(0)
	v_cmpx_gt_i32_e64 s10, v0
	s_cbranch_execz .LBB318_5
; %bb.2:
	s_clause 0x1
	s_load_b64 s[12:13], s[0:1], 0x8
	s_load_b64 s[14:15], s[0:1], 0x28
	v_lshlrev_b64 v[3:4], 3, v[1:2]
	s_clause 0x1
	s_load_b128 s[4:7], s[0:1], 0x10
	s_load_b128 s[0:3], s[0:1], 0x30
	s_waitcnt lgkmcnt(0)
	s_delay_alu instid0(VALU_DEP_1)
	v_add_co_u32 v5, vcc_lo, s12, v3
	v_add_co_ci_u32_e32 v6, vcc_lo, s13, v4, vcc_lo
	v_add_co_u32 v3, vcc_lo, s14, v3
	v_add_co_ci_u32_e32 v4, vcc_lo, s15, v4, vcc_lo
	v_mad_u64_u32 v[10:11], null, s2, v0, 0
	global_load_b64 v[5:6], v[5:6], off
	global_load_b64 v[8:9], v[3:4], off
	v_mad_u64_u32 v[3:4], null, s6, v0, 0
	s_lshl_b64 s[4:5], s[4:5], 1
	s_lshl_b64 s[0:1], s[0:1], 1
	v_mov_b32_e32 v7, v11
	s_waitcnt vmcnt(1)
	s_delay_alu instid0(VALU_DEP_2) | instskip(SKIP_1) | instid1(VALU_DEP_2)
	v_mad_u64_u32 v[11:12], null, s7, v0, v[4:5]
	s_waitcnt vmcnt(0)
	v_mad_u64_u32 v[12:13], null, s3, v0, v[7:8]
	v_mov_b32_e32 v7, 0
	s_lshl_b64 s[2:3], s[2:3], 6
	s_delay_alu instid0(VALU_DEP_2) | instskip(NEXT) | instid1(VALU_DEP_1)
	v_dual_mov_b32 v4, v11 :: v_dual_mov_b32 v11, v12
	v_lshlrev_b64 v[3:4], 1, v[3:4]
	s_delay_alu instid0(VALU_DEP_2) | instskip(NEXT) | instid1(VALU_DEP_2)
	v_lshlrev_b64 v[10:11], 1, v[10:11]
	v_add_co_u32 v3, vcc_lo, v3, s4
	s_delay_alu instid0(VALU_DEP_3) | instskip(NEXT) | instid1(VALU_DEP_3)
	v_add_co_ci_u32_e32 v4, vcc_lo, s5, v4, vcc_lo
	v_add_co_u32 v10, vcc_lo, v10, s0
	s_delay_alu instid0(VALU_DEP_4) | instskip(NEXT) | instid1(VALU_DEP_4)
	v_add_co_ci_u32_e32 v11, vcc_lo, s1, v11, vcc_lo
	v_add_co_u32 v3, vcc_lo, v5, v3
	s_delay_alu instid0(VALU_DEP_4) | instskip(NEXT) | instid1(VALU_DEP_4)
	v_add_co_ci_u32_e32 v4, vcc_lo, v6, v4, vcc_lo
	v_add_co_u32 v5, vcc_lo, v8, v10
	s_delay_alu instid0(VALU_DEP_4)
	v_add_co_ci_u32_e32 v6, vcc_lo, v9, v11, vcc_lo
	v_mov_b32_e32 v8, v0
	s_lshl_b64 s[4:5], s[6:7], 6
	s_mov_b32 s1, 0
	.p2align	6
.LBB318_3:                              ; =>This Inner Loop Header: Depth=1
	global_load_u16 v9, v[5:6], off
	global_load_u16 v10, v[3:4], off
	v_add_co_u32 v3, vcc_lo, v3, s4
	v_add_co_ci_u32_e32 v4, vcc_lo, s5, v4, vcc_lo
	v_add_co_u32 v5, vcc_lo, v5, s2
	v_add_co_ci_u32_e32 v6, vcc_lo, s3, v6, vcc_lo
	s_waitcnt vmcnt(1)
	v_lshlrev_b32_e32 v9, 16, v9
	s_waitcnt vmcnt(0)
	v_lshlrev_b32_e32 v10, 16, v10
	s_delay_alu instid0(VALU_DEP_1) | instskip(NEXT) | instid1(VALU_DEP_1)
	v_dual_fmac_f32 v7, v10, v9 :: v_dual_add_nc_u32 v8, 32, v8
	v_cmp_le_i32_e64 s0, s10, v8
	s_delay_alu instid0(VALU_DEP_1) | instskip(NEXT) | instid1(SALU_CYCLE_1)
	s_or_b32 s1, s0, s1
	s_and_not1_b32 exec_lo, exec_lo, s1
	s_cbranch_execnz .LBB318_3
; %bb.4:
	s_or_b32 exec_lo, exec_lo, s1
.LBB318_5:
	s_delay_alu instid0(SALU_CYCLE_1)
	s_or_b32 exec_lo, exec_lo, s11
	v_mbcnt_lo_u32_b32 v3, -1, 0
	s_barrier
	buffer_gl0_inv
	v_cmp_gt_u32_e32 vcc_lo, 16, v3
	v_cndmask_b32_e64 v4, 0, 1, vcc_lo
	v_cmp_gt_u32_e32 vcc_lo, 24, v3
	s_delay_alu instid0(VALU_DEP_2) | instskip(SKIP_2) | instid1(VALU_DEP_3)
	v_lshlrev_b32_e32 v4, 4, v4
	v_cndmask_b32_e64 v5, 0, 1, vcc_lo
	v_cmp_gt_u32_e32 vcc_lo, 28, v3
	v_add_lshl_u32 v4, v4, v3, 2
	v_cndmask_b32_e64 v6, 0, 1, vcc_lo
	v_cmp_gt_u32_e32 vcc_lo, 30, v3
	ds_bpermute_b32 v4, v4, v7
	v_lshlrev_b32_e32 v5, 3, v5
	v_lshlrev_b32_e32 v6, 2, v6
	s_delay_alu instid0(VALU_DEP_1)
	v_add_lshl_u32 v6, v6, v3, 2
	s_waitcnt lgkmcnt(0)
	v_add_f32_e32 v4, v7, v4
	v_add_lshl_u32 v5, v5, v3, 2
	ds_bpermute_b32 v5, v5, v4
	s_waitcnt lgkmcnt(0)
	v_add_f32_e32 v4, v4, v5
	ds_bpermute_b32 v5, v6, v4
	v_cndmask_b32_e64 v6, 0, 1, vcc_lo
	v_cmp_ne_u32_e32 vcc_lo, 31, v3
	s_delay_alu instid0(VALU_DEP_2) | instskip(NEXT) | instid1(VALU_DEP_1)
	v_lshlrev_b32_e32 v6, 1, v6
	v_add_lshl_u32 v6, v6, v3, 2
	s_waitcnt lgkmcnt(0)
	v_add_f32_e32 v4, v4, v5
	ds_bpermute_b32 v5, v6, v4
	v_add_co_ci_u32_e32 v6, vcc_lo, 0, v3, vcc_lo
	v_cmp_eq_u32_e32 vcc_lo, 0, v0
	s_waitcnt lgkmcnt(0)
	s_delay_alu instid0(VALU_DEP_2)
	v_dual_add_f32 v3, v4, v5 :: v_dual_lshlrev_b32 v4, 2, v6
	ds_bpermute_b32 v4, v4, v3
	s_and_b32 exec_lo, exec_lo, vcc_lo
	s_cbranch_execz .LBB318_7
; %bb.6:
	v_lshlrev_b64 v[0:1], 2, v[1:2]
	s_waitcnt lgkmcnt(0)
	v_add_f32_e32 v2, v3, v4
	s_delay_alu instid0(VALU_DEP_2) | instskip(NEXT) | instid1(VALU_DEP_3)
	v_add_co_u32 v0, vcc_lo, s8, v0
	v_add_co_ci_u32_e32 v1, vcc_lo, s9, v1, vcc_lo
	global_store_b32 v[0:1], v2, off
.LBB318_7:
	s_nop 0
	s_sendmsg sendmsg(MSG_DEALLOC_VGPRS)
	s_endpgm
	.section	.rodata,"a",@progbits
	.p2align	6, 0x0
	.amdhsa_kernel _ZL28rocblas_dot_batched_4_kernelIlLi32ELi4ELb1EffPKPK16rocblas_bfloat16EviT5_lT_lS5_lS6_liPT4_
		.amdhsa_group_segment_fixed_size 0
		.amdhsa_private_segment_fixed_size 0
		.amdhsa_kernarg_size 88
		.amdhsa_user_sgpr_count 15
		.amdhsa_user_sgpr_dispatch_ptr 0
		.amdhsa_user_sgpr_queue_ptr 0
		.amdhsa_user_sgpr_kernarg_segment_ptr 1
		.amdhsa_user_sgpr_dispatch_id 0
		.amdhsa_user_sgpr_private_segment_size 0
		.amdhsa_wavefront_size32 1
		.amdhsa_uses_dynamic_stack 0
		.amdhsa_enable_private_segment 0
		.amdhsa_system_sgpr_workgroup_id_x 1
		.amdhsa_system_sgpr_workgroup_id_y 0
		.amdhsa_system_sgpr_workgroup_id_z 0
		.amdhsa_system_sgpr_workgroup_info 0
		.amdhsa_system_vgpr_workitem_id 1
		.amdhsa_next_free_vgpr 14
		.amdhsa_next_free_sgpr 16
		.amdhsa_reserve_vcc 1
		.amdhsa_float_round_mode_32 0
		.amdhsa_float_round_mode_16_64 0
		.amdhsa_float_denorm_mode_32 3
		.amdhsa_float_denorm_mode_16_64 3
		.amdhsa_dx10_clamp 1
		.amdhsa_ieee_mode 1
		.amdhsa_fp16_overflow 0
		.amdhsa_workgroup_processor_mode 1
		.amdhsa_memory_ordered 1
		.amdhsa_forward_progress 0
		.amdhsa_shared_vgpr_count 0
		.amdhsa_exception_fp_ieee_invalid_op 0
		.amdhsa_exception_fp_denorm_src 0
		.amdhsa_exception_fp_ieee_div_zero 0
		.amdhsa_exception_fp_ieee_overflow 0
		.amdhsa_exception_fp_ieee_underflow 0
		.amdhsa_exception_fp_ieee_inexact 0
		.amdhsa_exception_int_div_zero 0
	.end_amdhsa_kernel
	.section	.text._ZL28rocblas_dot_batched_4_kernelIlLi32ELi4ELb1EffPKPK16rocblas_bfloat16EviT5_lT_lS5_lS6_liPT4_,"axG",@progbits,_ZL28rocblas_dot_batched_4_kernelIlLi32ELi4ELb1EffPKPK16rocblas_bfloat16EviT5_lT_lS5_lS6_liPT4_,comdat
.Lfunc_end318:
	.size	_ZL28rocblas_dot_batched_4_kernelIlLi32ELi4ELb1EffPKPK16rocblas_bfloat16EviT5_lT_lS5_lS6_liPT4_, .Lfunc_end318-_ZL28rocblas_dot_batched_4_kernelIlLi32ELi4ELb1EffPKPK16rocblas_bfloat16EviT5_lT_lS5_lS6_liPT4_
                                        ; -- End function
	.section	.AMDGPU.csdata,"",@progbits
; Kernel info:
; codeLenInByte = 756
; NumSgprs: 18
; NumVgprs: 14
; ScratchSize: 0
; MemoryBound: 0
; FloatMode: 240
; IeeeMode: 1
; LDSByteSize: 0 bytes/workgroup (compile time only)
; SGPRBlocks: 2
; VGPRBlocks: 1
; NumSGPRsForWavesPerEU: 18
; NumVGPRsForWavesPerEU: 14
; Occupancy: 16
; WaveLimiterHint : 0
; COMPUTE_PGM_RSRC2:SCRATCH_EN: 0
; COMPUTE_PGM_RSRC2:USER_SGPR: 15
; COMPUTE_PGM_RSRC2:TRAP_HANDLER: 0
; COMPUTE_PGM_RSRC2:TGID_X_EN: 1
; COMPUTE_PGM_RSRC2:TGID_Y_EN: 0
; COMPUTE_PGM_RSRC2:TGID_Z_EN: 0
; COMPUTE_PGM_RSRC2:TIDIG_COMP_CNT: 1
	.section	.text._ZL28rocblas_dot_batched_4_kernelIlLi64ELi4ELb1EffPKPK16rocblas_bfloat16EviT5_lT_lS5_lS6_liPT4_,"axG",@progbits,_ZL28rocblas_dot_batched_4_kernelIlLi64ELi4ELb1EffPKPK16rocblas_bfloat16EviT5_lT_lS5_lS6_liPT4_,comdat
	.globl	_ZL28rocblas_dot_batched_4_kernelIlLi64ELi4ELb1EffPKPK16rocblas_bfloat16EviT5_lT_lS5_lS6_liPT4_ ; -- Begin function _ZL28rocblas_dot_batched_4_kernelIlLi64ELi4ELb1EffPKPK16rocblas_bfloat16EviT5_lT_lS5_lS6_liPT4_
	.p2align	8
	.type	_ZL28rocblas_dot_batched_4_kernelIlLi64ELi4ELb1EffPKPK16rocblas_bfloat16EviT5_lT_lS5_lS6_liPT4_,@function
_ZL28rocblas_dot_batched_4_kernelIlLi64ELi4ELb1EffPKPK16rocblas_bfloat16EviT5_lT_lS5_lS6_liPT4_: ; @_ZL28rocblas_dot_batched_4_kernelIlLi64ELi4ELb1EffPKPK16rocblas_bfloat16EviT5_lT_lS5_lS6_liPT4_
; %bb.0:
	s_load_b32 s2, s[0:1], 0x48
	v_bfe_u32 v1, v0, 10, 10
	s_delay_alu instid0(VALU_DEP_1) | instskip(SKIP_1) | instid1(VALU_DEP_1)
	v_lshl_add_u32 v1, s15, 2, v1
	s_waitcnt lgkmcnt(0)
	v_cmp_gt_u32_e32 vcc_lo, s2, v1
	s_and_saveexec_b32 s2, vcc_lo
	s_cbranch_execz .LBB319_7
; %bb.1:
	s_clause 0x1
	s_load_b32 s10, s[0:1], 0x0
	s_load_b64 s[8:9], s[0:1], 0x50
	v_mov_b32_e32 v2, 0
	v_and_b32_e32 v0, 0x3ff, v0
	s_mov_b32 s11, exec_lo
	s_delay_alu instid0(VALU_DEP_2) | instskip(SKIP_1) | instid1(VALU_DEP_2)
	v_mov_b32_e32 v7, v2
	s_waitcnt lgkmcnt(0)
	v_cmpx_gt_i32_e64 s10, v0
	s_cbranch_execz .LBB319_5
; %bb.2:
	s_clause 0x1
	s_load_b64 s[12:13], s[0:1], 0x8
	s_load_b64 s[14:15], s[0:1], 0x28
	v_lshlrev_b64 v[3:4], 3, v[1:2]
	s_clause 0x1
	s_load_b128 s[4:7], s[0:1], 0x10
	s_load_b128 s[0:3], s[0:1], 0x30
	s_waitcnt lgkmcnt(0)
	s_delay_alu instid0(VALU_DEP_1)
	v_add_co_u32 v5, vcc_lo, s12, v3
	v_add_co_ci_u32_e32 v6, vcc_lo, s13, v4, vcc_lo
	v_add_co_u32 v3, vcc_lo, s14, v3
	v_add_co_ci_u32_e32 v4, vcc_lo, s15, v4, vcc_lo
	v_mad_u64_u32 v[10:11], null, s2, v0, 0
	global_load_b64 v[5:6], v[5:6], off
	global_load_b64 v[8:9], v[3:4], off
	v_mad_u64_u32 v[3:4], null, s6, v0, 0
	s_lshl_b64 s[4:5], s[4:5], 1
	s_lshl_b64 s[0:1], s[0:1], 1
	v_mov_b32_e32 v7, v11
	s_waitcnt vmcnt(1)
	s_delay_alu instid0(VALU_DEP_2) | instskip(SKIP_1) | instid1(VALU_DEP_2)
	v_mad_u64_u32 v[11:12], null, s7, v0, v[4:5]
	s_waitcnt vmcnt(0)
	v_mad_u64_u32 v[12:13], null, s3, v0, v[7:8]
	v_mov_b32_e32 v7, 0
	s_lshl_b64 s[2:3], s[2:3], 7
	s_delay_alu instid0(VALU_DEP_2) | instskip(NEXT) | instid1(VALU_DEP_1)
	v_dual_mov_b32 v4, v11 :: v_dual_mov_b32 v11, v12
	v_lshlrev_b64 v[3:4], 1, v[3:4]
	s_delay_alu instid0(VALU_DEP_2) | instskip(NEXT) | instid1(VALU_DEP_2)
	v_lshlrev_b64 v[10:11], 1, v[10:11]
	v_add_co_u32 v3, vcc_lo, v3, s4
	s_delay_alu instid0(VALU_DEP_3) | instskip(NEXT) | instid1(VALU_DEP_3)
	v_add_co_ci_u32_e32 v4, vcc_lo, s5, v4, vcc_lo
	v_add_co_u32 v10, vcc_lo, v10, s0
	s_delay_alu instid0(VALU_DEP_4) | instskip(NEXT) | instid1(VALU_DEP_4)
	v_add_co_ci_u32_e32 v11, vcc_lo, s1, v11, vcc_lo
	v_add_co_u32 v3, vcc_lo, v5, v3
	s_delay_alu instid0(VALU_DEP_4) | instskip(NEXT) | instid1(VALU_DEP_4)
	v_add_co_ci_u32_e32 v4, vcc_lo, v6, v4, vcc_lo
	v_add_co_u32 v5, vcc_lo, v8, v10
	s_delay_alu instid0(VALU_DEP_4)
	v_add_co_ci_u32_e32 v6, vcc_lo, v9, v11, vcc_lo
	v_mov_b32_e32 v8, v0
	s_lshl_b64 s[4:5], s[6:7], 7
	s_mov_b32 s1, 0
	.p2align	6
.LBB319_3:                              ; =>This Inner Loop Header: Depth=1
	global_load_u16 v9, v[5:6], off
	global_load_u16 v10, v[3:4], off
	v_add_co_u32 v3, vcc_lo, v3, s4
	v_add_co_ci_u32_e32 v4, vcc_lo, s5, v4, vcc_lo
	v_add_co_u32 v5, vcc_lo, v5, s2
	v_add_co_ci_u32_e32 v6, vcc_lo, s3, v6, vcc_lo
	s_waitcnt vmcnt(1)
	v_lshlrev_b32_e32 v9, 16, v9
	s_waitcnt vmcnt(0)
	v_lshlrev_b32_e32 v10, 16, v10
	s_delay_alu instid0(VALU_DEP_1) | instskip(NEXT) | instid1(VALU_DEP_1)
	v_dual_fmac_f32 v7, v10, v9 :: v_dual_add_nc_u32 v8, 64, v8
	v_cmp_le_i32_e64 s0, s10, v8
	s_delay_alu instid0(VALU_DEP_1) | instskip(NEXT) | instid1(SALU_CYCLE_1)
	s_or_b32 s1, s0, s1
	s_and_not1_b32 exec_lo, exec_lo, s1
	s_cbranch_execnz .LBB319_3
; %bb.4:
	s_or_b32 exec_lo, exec_lo, s1
.LBB319_5:
	s_delay_alu instid0(SALU_CYCLE_1)
	s_or_b32 exec_lo, exec_lo, s11
	v_mbcnt_lo_u32_b32 v3, -1, 0
	s_barrier
	buffer_gl0_inv
	v_lshlrev_b32_e32 v4, 2, v3
	v_cmp_gt_u32_e32 vcc_lo, 16, v3
	ds_bpermute_b32 v4, v4, v7
	v_cndmask_b32_e64 v5, 0, 1, vcc_lo
	v_cmp_gt_u32_e32 vcc_lo, 24, v3
	s_delay_alu instid0(VALU_DEP_2) | instskip(SKIP_2) | instid1(VALU_DEP_2)
	v_lshlrev_b32_e32 v5, 4, v5
	v_cndmask_b32_e64 v6, 0, 1, vcc_lo
	v_cmp_gt_u32_e32 vcc_lo, 28, v3
	v_lshlrev_b32_e32 v6, 3, v6
	s_delay_alu instid0(VALU_DEP_1)
	v_add_lshl_u32 v6, v6, v3, 2
	s_waitcnt lgkmcnt(0)
	v_add_f32_e32 v4, v7, v4
	v_add_lshl_u32 v5, v5, v3, 2
	ds_bpermute_b32 v5, v5, v4
	s_waitcnt lgkmcnt(0)
	v_add_f32_e32 v4, v4, v5
	ds_bpermute_b32 v5, v6, v4
	v_cndmask_b32_e64 v6, 0, 1, vcc_lo
	v_cmp_gt_u32_e32 vcc_lo, 30, v3
	s_delay_alu instid0(VALU_DEP_2) | instskip(NEXT) | instid1(VALU_DEP_1)
	v_lshlrev_b32_e32 v6, 2, v6
	v_add_lshl_u32 v6, v6, v3, 2
	s_waitcnt lgkmcnt(0)
	v_add_f32_e32 v4, v4, v5
	ds_bpermute_b32 v5, v6, v4
	v_cndmask_b32_e64 v6, 0, 1, vcc_lo
	v_cmp_ne_u32_e32 vcc_lo, 31, v3
	s_delay_alu instid0(VALU_DEP_2) | instskip(NEXT) | instid1(VALU_DEP_1)
	v_lshlrev_b32_e32 v6, 1, v6
	v_add_lshl_u32 v6, v6, v3, 2
	s_waitcnt lgkmcnt(0)
	v_add_f32_e32 v4, v4, v5
	ds_bpermute_b32 v5, v6, v4
	v_add_co_ci_u32_e32 v6, vcc_lo, 0, v3, vcc_lo
	v_cmp_eq_u32_e32 vcc_lo, 0, v0
	s_waitcnt lgkmcnt(0)
	s_delay_alu instid0(VALU_DEP_2)
	v_dual_add_f32 v3, v4, v5 :: v_dual_lshlrev_b32 v4, 2, v6
	ds_bpermute_b32 v4, v4, v3
	s_and_b32 exec_lo, exec_lo, vcc_lo
	s_cbranch_execz .LBB319_7
; %bb.6:
	v_lshlrev_b64 v[0:1], 2, v[1:2]
	s_waitcnt lgkmcnt(0)
	v_add_f32_e32 v2, v3, v4
	s_delay_alu instid0(VALU_DEP_2) | instskip(NEXT) | instid1(VALU_DEP_3)
	v_add_co_u32 v0, vcc_lo, s8, v0
	v_add_co_ci_u32_e32 v1, vcc_lo, s9, v1, vcc_lo
	global_store_b32 v[0:1], v2, off
.LBB319_7:
	s_nop 0
	s_sendmsg sendmsg(MSG_DEALLOC_VGPRS)
	s_endpgm
	.section	.rodata,"a",@progbits
	.p2align	6, 0x0
	.amdhsa_kernel _ZL28rocblas_dot_batched_4_kernelIlLi64ELi4ELb1EffPKPK16rocblas_bfloat16EviT5_lT_lS5_lS6_liPT4_
		.amdhsa_group_segment_fixed_size 0
		.amdhsa_private_segment_fixed_size 0
		.amdhsa_kernarg_size 88
		.amdhsa_user_sgpr_count 15
		.amdhsa_user_sgpr_dispatch_ptr 0
		.amdhsa_user_sgpr_queue_ptr 0
		.amdhsa_user_sgpr_kernarg_segment_ptr 1
		.amdhsa_user_sgpr_dispatch_id 0
		.amdhsa_user_sgpr_private_segment_size 0
		.amdhsa_wavefront_size32 1
		.amdhsa_uses_dynamic_stack 0
		.amdhsa_enable_private_segment 0
		.amdhsa_system_sgpr_workgroup_id_x 1
		.amdhsa_system_sgpr_workgroup_id_y 0
		.amdhsa_system_sgpr_workgroup_id_z 0
		.amdhsa_system_sgpr_workgroup_info 0
		.amdhsa_system_vgpr_workitem_id 1
		.amdhsa_next_free_vgpr 14
		.amdhsa_next_free_sgpr 16
		.amdhsa_reserve_vcc 1
		.amdhsa_float_round_mode_32 0
		.amdhsa_float_round_mode_16_64 0
		.amdhsa_float_denorm_mode_32 3
		.amdhsa_float_denorm_mode_16_64 3
		.amdhsa_dx10_clamp 1
		.amdhsa_ieee_mode 1
		.amdhsa_fp16_overflow 0
		.amdhsa_workgroup_processor_mode 1
		.amdhsa_memory_ordered 1
		.amdhsa_forward_progress 0
		.amdhsa_shared_vgpr_count 0
		.amdhsa_exception_fp_ieee_invalid_op 0
		.amdhsa_exception_fp_denorm_src 0
		.amdhsa_exception_fp_ieee_div_zero 0
		.amdhsa_exception_fp_ieee_overflow 0
		.amdhsa_exception_fp_ieee_underflow 0
		.amdhsa_exception_fp_ieee_inexact 0
		.amdhsa_exception_int_div_zero 0
	.end_amdhsa_kernel
	.section	.text._ZL28rocblas_dot_batched_4_kernelIlLi64ELi4ELb1EffPKPK16rocblas_bfloat16EviT5_lT_lS5_lS6_liPT4_,"axG",@progbits,_ZL28rocblas_dot_batched_4_kernelIlLi64ELi4ELb1EffPKPK16rocblas_bfloat16EviT5_lT_lS5_lS6_liPT4_,comdat
.Lfunc_end319:
	.size	_ZL28rocblas_dot_batched_4_kernelIlLi64ELi4ELb1EffPKPK16rocblas_bfloat16EviT5_lT_lS5_lS6_liPT4_, .Lfunc_end319-_ZL28rocblas_dot_batched_4_kernelIlLi64ELi4ELb1EffPKPK16rocblas_bfloat16EviT5_lT_lS5_lS6_liPT4_
                                        ; -- End function
	.section	.AMDGPU.csdata,"",@progbits
; Kernel info:
; codeLenInByte = 780
; NumSgprs: 18
; NumVgprs: 14
; ScratchSize: 0
; MemoryBound: 0
; FloatMode: 240
; IeeeMode: 1
; LDSByteSize: 0 bytes/workgroup (compile time only)
; SGPRBlocks: 2
; VGPRBlocks: 1
; NumSGPRsForWavesPerEU: 18
; NumVGPRsForWavesPerEU: 14
; Occupancy: 16
; WaveLimiterHint : 0
; COMPUTE_PGM_RSRC2:SCRATCH_EN: 0
; COMPUTE_PGM_RSRC2:USER_SGPR: 15
; COMPUTE_PGM_RSRC2:TRAP_HANDLER: 0
; COMPUTE_PGM_RSRC2:TGID_X_EN: 1
; COMPUTE_PGM_RSRC2:TGID_Y_EN: 0
; COMPUTE_PGM_RSRC2:TGID_Z_EN: 0
; COMPUTE_PGM_RSRC2:TIDIG_COMP_CNT: 1
	.section	.text._ZL26rocblas_dot_kernel_inc1by2ILb1ELi1024ELi32ELb1EfPKPK16rocblas_bfloat16fEviT4_llS5_lliPT5_PT3_,"axG",@progbits,_ZL26rocblas_dot_kernel_inc1by2ILb1ELi1024ELi32ELb1EfPKPK16rocblas_bfloat16fEviT4_llS5_lliPT5_PT3_,comdat
	.globl	_ZL26rocblas_dot_kernel_inc1by2ILb1ELi1024ELi32ELb1EfPKPK16rocblas_bfloat16fEviT4_llS5_lliPT5_PT3_ ; -- Begin function _ZL26rocblas_dot_kernel_inc1by2ILb1ELi1024ELi32ELb1EfPKPK16rocblas_bfloat16fEviT4_llS5_lliPT5_PT3_
	.p2align	8
	.type	_ZL26rocblas_dot_kernel_inc1by2ILb1ELi1024ELi32ELb1EfPKPK16rocblas_bfloat16fEviT4_llS5_lliPT5_PT3_,@function
_ZL26rocblas_dot_kernel_inc1by2ILb1ELi1024ELi32ELb1EfPKPK16rocblas_bfloat16fEviT4_llS5_lliPT5_PT3_: ; @_ZL26rocblas_dot_kernel_inc1by2ILb1ELi1024ELi32ELb1EfPKPK16rocblas_bfloat16fEviT4_llS5_lliPT5_PT3_
; %bb.0:
	s_clause 0x1
	s_load_b128 s[8:11], s[0:1], 0x8
	s_load_b128 s[4:7], s[0:1], 0x20
	s_mov_b32 s2, s15
	s_mov_b32 s3, 0
	s_clause 0x1
	s_load_b32 s14, s[0:1], 0x0
	s_load_b64 s[12:13], s[0:1], 0x48
	s_lshl_b64 s[16:17], s[2:3], 3
	v_dual_mov_b32 v5, 0 :: v_dual_lshlrev_b32 v6, 1, v0
	s_waitcnt lgkmcnt(0)
	s_add_u32 s0, s8, s16
	s_addc_u32 s1, s9, s17
	s_add_u32 s4, s4, s16
	s_addc_u32 s5, s5, s17
	s_load_b64 s[8:9], s[0:1], 0x0
	s_load_b64 s[4:5], s[4:5], 0x0
	s_add_i32 s0, s14, -1
	s_mov_b32 s1, exec_lo
	v_cmpx_gt_i32_e64 s0, v6
	s_cbranch_execz .LBB320_4
; %bb.1:
	v_lshlrev_b32_e32 v3, 2, v0
	s_lshl_b64 s[16:17], s[6:7], 1
	v_mov_b32_e32 v5, 0
	s_waitcnt lgkmcnt(0)
	s_add_u32 s15, s4, s16
	s_addc_u32 s18, s5, s17
	s_lshl_b64 s[16:17], s[10:11], 1
	v_add_co_u32 v1, s15, s15, v3
	s_delay_alu instid0(VALU_DEP_1) | instskip(SKIP_3) | instid1(VALU_DEP_1)
	v_add_co_ci_u32_e64 v2, null, s18, 0, s15
	s_add_u32 s15, s8, s16
	s_addc_u32 s16, s9, s17
	v_add_co_u32 v3, s15, s15, v3
	v_add_co_ci_u32_e64 v4, null, s16, 0, s15
	s_mov_b32 s15, s3
	s_mov_b32 s16, s3
	.p2align	6
.LBB320_2:                              ; =>This Inner Loop Header: Depth=1
	global_load_b32 v7, v[1:2], off
	global_load_b32 v8, v[3:4], off
	v_add_co_u32 v1, vcc_lo, 0x1000, v1
	v_add_co_ci_u32_e32 v2, vcc_lo, 0, v2, vcc_lo
	v_add_co_u32 v3, vcc_lo, 0x1000, v3
	v_add_co_ci_u32_e32 v4, vcc_lo, 0, v4, vcc_lo
	s_add_i32 s17, s16, 1
	s_cmp_gt_u32 s16, 30
	s_cselect_b32 s16, -1, 0
	s_waitcnt vmcnt(1)
	v_lshlrev_b32_e32 v9, 16, v7
	s_waitcnt vmcnt(0)
	v_lshlrev_b32_e32 v10, 16, v8
	v_and_b32_e32 v7, 0xffff0000, v7
	s_delay_alu instid0(VALU_DEP_2) | instskip(NEXT) | instid1(VALU_DEP_1)
	v_dual_fmac_f32 v5, v9, v10 :: v_dual_and_b32 v8, 0xffff0000, v8
	v_dual_fmac_f32 v5, v7, v8 :: v_dual_add_nc_u32 v6, 0x800, v6
	s_delay_alu instid0(VALU_DEP_1) | instskip(SKIP_1) | instid1(SALU_CYCLE_1)
	v_cmp_le_i32_e32 vcc_lo, s0, v6
	s_or_b32 s16, s16, vcc_lo
	s_and_b32 s16, exec_lo, s16
	s_delay_alu instid0(SALU_CYCLE_1)
	s_or_b32 s15, s16, s15
	s_mov_b32 s16, s17
	s_and_not1_b32 exec_lo, exec_lo, s15
	s_cbranch_execnz .LBB320_2
; %bb.3:
	s_or_b32 exec_lo, exec_lo, s15
.LBB320_4:
	s_delay_alu instid0(SALU_CYCLE_1) | instskip(SKIP_3) | instid1(SALU_CYCLE_1)
	s_or_b32 exec_lo, exec_lo, s1
	v_cmp_eq_u32_e32 vcc_lo, s0, v6
	s_bitcmp1_b32 s14, 0
	s_cselect_b32 s1, -1, 0
	s_and_b32 s1, s1, vcc_lo
	s_delay_alu instid0(SALU_CYCLE_1)
	s_and_saveexec_b32 s14, s1
	s_cbranch_execz .LBB320_6
; %bb.5:
	s_lshl_b64 s[10:11], s[10:11], 1
	s_mov_b32 s1, 0
	s_waitcnt lgkmcnt(0)
	s_add_u32 s8, s8, s10
	s_addc_u32 s9, s9, s11
	s_lshl_b64 s[6:7], s[6:7], 1
	v_mov_b32_e32 v1, 0
	s_add_u32 s4, s4, s6
	s_addc_u32 s5, s5, s7
	s_lshl_b64 s[0:1], s[0:1], 1
	s_delay_alu instid0(SALU_CYCLE_1)
	s_add_u32 s4, s4, s0
	s_addc_u32 s5, s5, s1
	s_add_u32 s0, s8, s0
	s_addc_u32 s1, s9, s1
	s_clause 0x1
	global_load_u16 v2, v1, s[0:1]
	global_load_u16 v1, v1, s[4:5]
	s_waitcnt vmcnt(1)
	v_lshlrev_b32_e32 v2, 16, v2
	s_waitcnt vmcnt(0)
	v_lshlrev_b32_e32 v1, 16, v1
	s_delay_alu instid0(VALU_DEP_1)
	v_fmac_f32_e32 v5, v1, v2
.LBB320_6:
	s_or_b32 exec_lo, exec_lo, s14
	v_and_b32_e32 v7, 31, v0
	v_cmp_gt_u32_e32 vcc_lo, 32, v0
	s_delay_alu instid0(VALU_DEP_2)
	v_lshlrev_b32_e32 v1, 2, v7
	s_and_saveexec_b32 s0, vcc_lo
	s_cbranch_execz .LBB320_8
; %bb.7:
	v_mov_b32_e32 v2, 0
	ds_store_b32 v1, v2
.LBB320_8:
	s_or_b32 exec_lo, exec_lo, s0
	v_mbcnt_lo_u32_b32 v6, -1, 0
	s_mov_b32 s1, exec_lo
	s_waitcnt lgkmcnt(0)
	s_barrier
	buffer_gl0_inv
	v_cmp_gt_u32_e64 s0, 16, v6
	s_delay_alu instid0(VALU_DEP_1) | instskip(SKIP_1) | instid1(VALU_DEP_2)
	v_cndmask_b32_e64 v2, 0, 1, s0
	v_cmp_gt_u32_e64 s0, 24, v6
	v_lshlrev_b32_e32 v2, 4, v2
	s_delay_alu instid0(VALU_DEP_2) | instskip(SKIP_1) | instid1(VALU_DEP_3)
	v_cndmask_b32_e64 v3, 0, 1, s0
	v_cmp_gt_u32_e64 s0, 28, v6
	v_add_lshl_u32 v2, v2, v6, 2
	ds_bpermute_b32 v4, v2, v5
	s_waitcnt lgkmcnt(0)
	v_add_f32_e32 v5, v5, v4
	v_lshlrev_b32_e32 v3, 3, v3
	v_cndmask_b32_e64 v4, 0, 1, s0
	v_cmp_gt_u32_e64 s0, 30, v6
	s_delay_alu instid0(VALU_DEP_3) | instskip(NEXT) | instid1(VALU_DEP_3)
	v_add_lshl_u32 v3, v3, v6, 2
	v_lshlrev_b32_e32 v4, 2, v4
	ds_bpermute_b32 v8, v3, v5
	v_add_lshl_u32 v4, v4, v6, 2
	s_waitcnt lgkmcnt(0)
	v_add_f32_e32 v8, v5, v8
	v_cndmask_b32_e64 v5, 0, 1, s0
	v_cmp_ne_u32_e64 s0, 31, v6
	ds_bpermute_b32 v9, v4, v8
	v_lshlrev_b32_e32 v5, 1, v5
	s_delay_alu instid0(VALU_DEP_1) | instskip(SKIP_1) | instid1(VALU_DEP_1)
	v_add_lshl_u32 v5, v5, v6, 2
	v_add_co_ci_u32_e64 v6, s0, 0, v6, s0
	v_lshlrev_b32_e32 v6, 2, v6
	s_waitcnt lgkmcnt(0)
	v_add_f32_e32 v8, v8, v9
	ds_bpermute_b32 v9, v5, v8
	s_waitcnt lgkmcnt(0)
	v_add_f32_e32 v8, v8, v9
	ds_bpermute_b32 v9, v6, v8
	v_cmpx_eq_u32_e32 0, v7
	s_cbranch_execz .LBB320_10
; %bb.9:
	v_lshrrev_b32_e32 v7, 3, v0
	s_waitcnt lgkmcnt(0)
	s_delay_alu instid0(VALU_DEP_1)
	v_dual_add_f32 v8, v8, v9 :: v_dual_and_b32 v7, 0x7c, v7
	ds_store_b32 v7, v8
.LBB320_10:
	s_or_b32 exec_lo, exec_lo, s1
	v_mov_b32_e32 v7, 0
	s_waitcnt lgkmcnt(0)
	s_barrier
	buffer_gl0_inv
	s_and_saveexec_b32 s0, vcc_lo
	s_cbranch_execz .LBB320_12
; %bb.11:
	ds_load_b32 v7, v1
.LBB320_12:
	s_or_b32 exec_lo, exec_lo, s0
	s_and_saveexec_b32 s0, vcc_lo
	s_cbranch_execz .LBB320_14
; %bb.13:
	s_waitcnt lgkmcnt(0)
	ds_bpermute_b32 v1, v2, v7
	s_waitcnt lgkmcnt(0)
	v_add_f32_e32 v1, v7, v1
	ds_bpermute_b32 v2, v3, v1
	s_waitcnt lgkmcnt(0)
	v_add_f32_e32 v1, v1, v2
	;; [unrolled: 3-line block ×5, first 2 shown]
.LBB320_14:
	s_or_b32 exec_lo, exec_lo, s0
	s_delay_alu instid0(SALU_CYCLE_1)
	s_mov_b32 s0, exec_lo
	v_cmpx_eq_u32_e32 0, v0
	s_cbranch_execz .LBB320_16
; %bb.15:
	s_lshl_b64 s[0:1], s[2:3], 2
	v_mov_b32_e32 v0, 0
	s_add_u32 s0, s12, s0
	s_addc_u32 s1, s13, s1
	s_waitcnt lgkmcnt(0)
	global_store_b32 v0, v7, s[0:1]
.LBB320_16:
	s_nop 0
	s_sendmsg sendmsg(MSG_DEALLOC_VGPRS)
	s_endpgm
	.section	.rodata,"a",@progbits
	.p2align	6, 0x0
	.amdhsa_kernel _ZL26rocblas_dot_kernel_inc1by2ILb1ELi1024ELi32ELb1EfPKPK16rocblas_bfloat16fEviT4_llS5_lliPT5_PT3_
		.amdhsa_group_segment_fixed_size 128
		.amdhsa_private_segment_fixed_size 0
		.amdhsa_kernarg_size 80
		.amdhsa_user_sgpr_count 14
		.amdhsa_user_sgpr_dispatch_ptr 0
		.amdhsa_user_sgpr_queue_ptr 0
		.amdhsa_user_sgpr_kernarg_segment_ptr 1
		.amdhsa_user_sgpr_dispatch_id 0
		.amdhsa_user_sgpr_private_segment_size 0
		.amdhsa_wavefront_size32 1
		.amdhsa_uses_dynamic_stack 0
		.amdhsa_enable_private_segment 0
		.amdhsa_system_sgpr_workgroup_id_x 1
		.amdhsa_system_sgpr_workgroup_id_y 0
		.amdhsa_system_sgpr_workgroup_id_z 1
		.amdhsa_system_sgpr_workgroup_info 0
		.amdhsa_system_vgpr_workitem_id 0
		.amdhsa_next_free_vgpr 11
		.amdhsa_next_free_sgpr 19
		.amdhsa_reserve_vcc 1
		.amdhsa_float_round_mode_32 0
		.amdhsa_float_round_mode_16_64 0
		.amdhsa_float_denorm_mode_32 3
		.amdhsa_float_denorm_mode_16_64 3
		.amdhsa_dx10_clamp 1
		.amdhsa_ieee_mode 1
		.amdhsa_fp16_overflow 0
		.amdhsa_workgroup_processor_mode 1
		.amdhsa_memory_ordered 1
		.amdhsa_forward_progress 0
		.amdhsa_shared_vgpr_count 0
		.amdhsa_exception_fp_ieee_invalid_op 0
		.amdhsa_exception_fp_denorm_src 0
		.amdhsa_exception_fp_ieee_div_zero 0
		.amdhsa_exception_fp_ieee_overflow 0
		.amdhsa_exception_fp_ieee_underflow 0
		.amdhsa_exception_fp_ieee_inexact 0
		.amdhsa_exception_int_div_zero 0
	.end_amdhsa_kernel
	.section	.text._ZL26rocblas_dot_kernel_inc1by2ILb1ELi1024ELi32ELb1EfPKPK16rocblas_bfloat16fEviT4_llS5_lliPT5_PT3_,"axG",@progbits,_ZL26rocblas_dot_kernel_inc1by2ILb1ELi1024ELi32ELb1EfPKPK16rocblas_bfloat16fEviT4_llS5_lliPT5_PT3_,comdat
.Lfunc_end320:
	.size	_ZL26rocblas_dot_kernel_inc1by2ILb1ELi1024ELi32ELb1EfPKPK16rocblas_bfloat16fEviT4_llS5_lliPT5_PT3_, .Lfunc_end320-_ZL26rocblas_dot_kernel_inc1by2ILb1ELi1024ELi32ELb1EfPKPK16rocblas_bfloat16fEviT4_llS5_lliPT5_PT3_
                                        ; -- End function
	.section	.AMDGPU.csdata,"",@progbits
; Kernel info:
; codeLenInByte = 1016
; NumSgprs: 21
; NumVgprs: 11
; ScratchSize: 0
; MemoryBound: 0
; FloatMode: 240
; IeeeMode: 1
; LDSByteSize: 128 bytes/workgroup (compile time only)
; SGPRBlocks: 2
; VGPRBlocks: 1
; NumSGPRsForWavesPerEU: 21
; NumVGPRsForWavesPerEU: 11
; Occupancy: 16
; WaveLimiterHint : 1
; COMPUTE_PGM_RSRC2:SCRATCH_EN: 0
; COMPUTE_PGM_RSRC2:USER_SGPR: 14
; COMPUTE_PGM_RSRC2:TRAP_HANDLER: 0
; COMPUTE_PGM_RSRC2:TGID_X_EN: 1
; COMPUTE_PGM_RSRC2:TGID_Y_EN: 0
; COMPUTE_PGM_RSRC2:TGID_Z_EN: 1
; COMPUTE_PGM_RSRC2:TIDIG_COMP_CNT: 0
	.section	.text._ZL18rocblas_dot_kernelIlLb1ELi1024ELi32ELb1EfPKPK16rocblas_bfloat16fEviT5_lT_lS5_lS6_liPT6_PT4_,"axG",@progbits,_ZL18rocblas_dot_kernelIlLb1ELi1024ELi32ELb1EfPKPK16rocblas_bfloat16fEviT5_lT_lS5_lS6_liPT6_PT4_,comdat
	.globl	_ZL18rocblas_dot_kernelIlLb1ELi1024ELi32ELb1EfPKPK16rocblas_bfloat16fEviT5_lT_lS5_lS6_liPT6_PT4_ ; -- Begin function _ZL18rocblas_dot_kernelIlLb1ELi1024ELi32ELb1EfPKPK16rocblas_bfloat16fEviT5_lT_lS5_lS6_liPT6_PT4_
	.p2align	8
	.type	_ZL18rocblas_dot_kernelIlLb1ELi1024ELi32ELb1EfPKPK16rocblas_bfloat16fEviT5_lT_lS5_lS6_liPT6_PT4_,@function
_ZL18rocblas_dot_kernelIlLb1ELi1024ELi32ELb1EfPKPK16rocblas_bfloat16fEviT5_lT_lS5_lS6_liPT6_PT4_: ; @_ZL18rocblas_dot_kernelIlLb1ELi1024ELi32ELb1EfPKPK16rocblas_bfloat16fEviT5_lT_lS5_lS6_liPT6_PT4_
; %bb.0:
	s_clause 0x1
	s_load_b32 s14, s[0:1], 0x0
	s_load_b64 s[2:3], s[0:1], 0x58
	v_mov_b32_e32 v5, 0
	s_mov_b32 s12, s15
	s_mov_b32 s13, 0
	s_mov_b32 s15, exec_lo
	s_waitcnt lgkmcnt(0)
	v_cmpx_gt_i32_e64 s14, v0
	s_cbranch_execz .LBB321_4
; %bb.1:
	s_clause 0x4
	s_load_b64 s[16:17], s[0:1], 0x8
	s_load_b128 s[8:11], s[0:1], 0x10
	s_load_b128 s[4:7], s[0:1], 0x30
	s_load_b64 s[18:19], s[0:1], 0x28
	s_load_b32 s20, s[0:1], 0x60
	s_lshl_b64 s[0:1], s[12:13], 3
	s_waitcnt lgkmcnt(0)
	s_add_u32 s16, s16, s0
	v_mad_u64_u32 v[1:2], null, s10, v0, 0
	v_mad_u64_u32 v[3:4], null, s6, v0, 0
	s_addc_u32 s17, s17, s1
	s_add_u32 s18, s18, s0
	s_load_b64 s[16:17], s[16:17], 0x0
	s_addc_u32 s19, s19, s1
	s_lshl_b64 s[8:9], s[8:9], 1
	s_load_b64 s[18:19], s[18:19], 0x0
	s_delay_alu instid0(VALU_DEP_1) | instskip(SKIP_2) | instid1(SALU_CYCLE_1)
	v_mad_u64_u32 v[7:8], null, s11, v0, v[2:3]
	v_mov_b32_e32 v5, 0
	s_lshl_b32 s1, s20, 10
	s_mul_hi_u32 s0, s10, s1
	s_mul_i32 s11, s11, s1
	s_mul_i32 s20, s10, s1
	s_delay_alu instid0(VALU_DEP_2) | instskip(SKIP_3) | instid1(VALU_DEP_2)
	v_mov_b32_e32 v2, v7
	v_mad_u64_u32 v[8:9], null, s7, v0, v[4:5]
	s_mul_hi_u32 s23, s6, s1
	s_mul_i32 s22, s6, s1
	v_lshlrev_b64 v[1:2], 1, v[1:2]
	s_mul_i32 s7, s7, s1
	v_or_b32_e32 v6, s1, v0
	s_waitcnt lgkmcnt(0)
	s_add_u32 s16, s16, s8
	v_mov_b32_e32 v4, v8
	s_addc_u32 s17, s17, s9
	s_ashr_i32 s24, s1, 31
	s_lshl_b64 s[8:9], s[4:5], 1
	s_mul_i32 s4, s10, s24
	v_lshlrev_b64 v[3:4], 1, v[3:4]
	s_add_i32 s0, s0, s4
	v_add_co_u32 v1, vcc_lo, s16, v1
	s_add_i32 s21, s0, s11
	s_mul_i32 s0, s6, s24
	s_lshl_b64 s[4:5], s[20:21], 1
	s_add_u32 s6, s18, s8
	v_add_co_ci_u32_e32 v2, vcc_lo, s17, v2, vcc_lo
	s_addc_u32 s8, s19, s9
	v_add_co_u32 v3, vcc_lo, s6, v3
	s_add_i32 s0, s23, s0
	v_add_co_ci_u32_e32 v4, vcc_lo, s8, v4, vcc_lo
	s_add_i32 s23, s0, s7
	s_mov_b32 s8, s13
	s_lshl_b64 s[6:7], s[22:23], 1
	s_mov_b32 s9, s13
	.p2align	6
.LBB321_2:                              ; =>This Inner Loop Header: Depth=1
	global_load_u16 v7, v[1:2], off
	global_load_u16 v8, v[3:4], off
	v_add_co_u32 v1, s0, v1, s4
	s_delay_alu instid0(VALU_DEP_1)
	v_add_co_ci_u32_e64 v2, s0, s5, v2, s0
	s_add_i32 s10, s9, 1
	v_cmp_le_i32_e32 vcc_lo, s14, v6
	v_add_co_u32 v3, s0, v3, s6
	s_cmp_gt_u32 s9, 30
	v_add_co_ci_u32_e64 v4, s0, s7, v4, s0
	s_cselect_b32 s0, -1, 0
	s_mov_b32 s9, s10
	s_or_b32 s0, s0, vcc_lo
	s_delay_alu instid0(SALU_CYCLE_1) | instskip(NEXT) | instid1(SALU_CYCLE_1)
	s_and_b32 s0, exec_lo, s0
	s_or_b32 s8, s0, s8
	s_waitcnt vmcnt(1)
	v_lshlrev_b32_e32 v7, 16, v7
	s_waitcnt vmcnt(0)
	v_lshlrev_b32_e32 v8, 16, v8
	s_delay_alu instid0(VALU_DEP_1)
	v_dual_fmac_f32 v5, v8, v7 :: v_dual_add_nc_u32 v6, s1, v6
	s_and_not1_b32 exec_lo, exec_lo, s8
	s_cbranch_execnz .LBB321_2
; %bb.3:
	s_or_b32 exec_lo, exec_lo, s8
.LBB321_4:
	s_delay_alu instid0(SALU_CYCLE_1) | instskip(SKIP_2) | instid1(VALU_DEP_2)
	s_or_b32 exec_lo, exec_lo, s15
	v_and_b32_e32 v7, 31, v0
	v_cmp_gt_u32_e32 vcc_lo, 32, v0
	v_lshlrev_b32_e32 v1, 2, v7
	s_and_saveexec_b32 s0, vcc_lo
	s_cbranch_execz .LBB321_6
; %bb.5:
	v_mov_b32_e32 v2, 0
	ds_store_b32 v1, v2
.LBB321_6:
	s_or_b32 exec_lo, exec_lo, s0
	v_mbcnt_lo_u32_b32 v6, -1, 0
	s_mov_b32 s1, exec_lo
	s_waitcnt lgkmcnt(0)
	s_barrier
	buffer_gl0_inv
	v_cmp_gt_u32_e64 s0, 16, v6
	s_delay_alu instid0(VALU_DEP_1) | instskip(SKIP_1) | instid1(VALU_DEP_2)
	v_cndmask_b32_e64 v2, 0, 1, s0
	v_cmp_gt_u32_e64 s0, 24, v6
	v_lshlrev_b32_e32 v2, 4, v2
	s_delay_alu instid0(VALU_DEP_2) | instskip(SKIP_1) | instid1(VALU_DEP_3)
	v_cndmask_b32_e64 v3, 0, 1, s0
	v_cmp_gt_u32_e64 s0, 28, v6
	v_add_lshl_u32 v2, v2, v6, 2
	ds_bpermute_b32 v4, v2, v5
	s_waitcnt lgkmcnt(0)
	v_add_f32_e32 v5, v5, v4
	v_lshlrev_b32_e32 v3, 3, v3
	v_cndmask_b32_e64 v4, 0, 1, s0
	v_cmp_gt_u32_e64 s0, 30, v6
	s_delay_alu instid0(VALU_DEP_3) | instskip(NEXT) | instid1(VALU_DEP_3)
	v_add_lshl_u32 v3, v3, v6, 2
	v_lshlrev_b32_e32 v4, 2, v4
	ds_bpermute_b32 v8, v3, v5
	v_add_lshl_u32 v4, v4, v6, 2
	s_waitcnt lgkmcnt(0)
	v_add_f32_e32 v8, v5, v8
	v_cndmask_b32_e64 v5, 0, 1, s0
	v_cmp_ne_u32_e64 s0, 31, v6
	ds_bpermute_b32 v9, v4, v8
	v_lshlrev_b32_e32 v5, 1, v5
	s_delay_alu instid0(VALU_DEP_1) | instskip(SKIP_1) | instid1(VALU_DEP_1)
	v_add_lshl_u32 v5, v5, v6, 2
	v_add_co_ci_u32_e64 v6, s0, 0, v6, s0
	v_lshlrev_b32_e32 v6, 2, v6
	s_waitcnt lgkmcnt(0)
	v_add_f32_e32 v8, v8, v9
	ds_bpermute_b32 v9, v5, v8
	s_waitcnt lgkmcnt(0)
	v_add_f32_e32 v8, v8, v9
	ds_bpermute_b32 v9, v6, v8
	v_cmpx_eq_u32_e32 0, v7
	s_cbranch_execz .LBB321_8
; %bb.7:
	v_lshrrev_b32_e32 v7, 3, v0
	s_waitcnt lgkmcnt(0)
	s_delay_alu instid0(VALU_DEP_1)
	v_dual_add_f32 v8, v8, v9 :: v_dual_and_b32 v7, 0x7c, v7
	ds_store_b32 v7, v8
.LBB321_8:
	s_or_b32 exec_lo, exec_lo, s1
	v_mov_b32_e32 v7, 0
	s_waitcnt lgkmcnt(0)
	s_barrier
	buffer_gl0_inv
	s_and_saveexec_b32 s0, vcc_lo
	s_cbranch_execz .LBB321_10
; %bb.9:
	ds_load_b32 v7, v1
.LBB321_10:
	s_or_b32 exec_lo, exec_lo, s0
	s_and_saveexec_b32 s0, vcc_lo
	s_cbranch_execz .LBB321_12
; %bb.11:
	s_waitcnt lgkmcnt(0)
	ds_bpermute_b32 v1, v2, v7
	s_waitcnt lgkmcnt(0)
	v_add_f32_e32 v1, v7, v1
	ds_bpermute_b32 v2, v3, v1
	s_waitcnt lgkmcnt(0)
	v_add_f32_e32 v1, v1, v2
	;; [unrolled: 3-line block ×5, first 2 shown]
.LBB321_12:
	s_or_b32 exec_lo, exec_lo, s0
	s_delay_alu instid0(SALU_CYCLE_1)
	s_mov_b32 s0, exec_lo
	v_cmpx_eq_u32_e32 0, v0
	s_cbranch_execz .LBB321_14
; %bb.13:
	s_lshl_b64 s[0:1], s[12:13], 2
	v_mov_b32_e32 v0, 0
	s_add_u32 s0, s2, s0
	s_addc_u32 s1, s3, s1
	s_waitcnt lgkmcnt(0)
	global_store_b32 v0, v7, s[0:1]
.LBB321_14:
	s_nop 0
	s_sendmsg sendmsg(MSG_DEALLOC_VGPRS)
	s_endpgm
	.section	.rodata,"a",@progbits
	.p2align	6, 0x0
	.amdhsa_kernel _ZL18rocblas_dot_kernelIlLb1ELi1024ELi32ELb1EfPKPK16rocblas_bfloat16fEviT5_lT_lS5_lS6_liPT6_PT4_
		.amdhsa_group_segment_fixed_size 128
		.amdhsa_private_segment_fixed_size 0
		.amdhsa_kernarg_size 352
		.amdhsa_user_sgpr_count 14
		.amdhsa_user_sgpr_dispatch_ptr 0
		.amdhsa_user_sgpr_queue_ptr 0
		.amdhsa_user_sgpr_kernarg_segment_ptr 1
		.amdhsa_user_sgpr_dispatch_id 0
		.amdhsa_user_sgpr_private_segment_size 0
		.amdhsa_wavefront_size32 1
		.amdhsa_uses_dynamic_stack 0
		.amdhsa_enable_private_segment 0
		.amdhsa_system_sgpr_workgroup_id_x 1
		.amdhsa_system_sgpr_workgroup_id_y 0
		.amdhsa_system_sgpr_workgroup_id_z 1
		.amdhsa_system_sgpr_workgroup_info 0
		.amdhsa_system_vgpr_workitem_id 0
		.amdhsa_next_free_vgpr 10
		.amdhsa_next_free_sgpr 25
		.amdhsa_reserve_vcc 1
		.amdhsa_float_round_mode_32 0
		.amdhsa_float_round_mode_16_64 0
		.amdhsa_float_denorm_mode_32 3
		.amdhsa_float_denorm_mode_16_64 3
		.amdhsa_dx10_clamp 1
		.amdhsa_ieee_mode 1
		.amdhsa_fp16_overflow 0
		.amdhsa_workgroup_processor_mode 1
		.amdhsa_memory_ordered 1
		.amdhsa_forward_progress 0
		.amdhsa_shared_vgpr_count 0
		.amdhsa_exception_fp_ieee_invalid_op 0
		.amdhsa_exception_fp_denorm_src 0
		.amdhsa_exception_fp_ieee_div_zero 0
		.amdhsa_exception_fp_ieee_overflow 0
		.amdhsa_exception_fp_ieee_underflow 0
		.amdhsa_exception_fp_ieee_inexact 0
		.amdhsa_exception_int_div_zero 0
	.end_amdhsa_kernel
	.section	.text._ZL18rocblas_dot_kernelIlLb1ELi1024ELi32ELb1EfPKPK16rocblas_bfloat16fEviT5_lT_lS5_lS6_liPT6_PT4_,"axG",@progbits,_ZL18rocblas_dot_kernelIlLb1ELi1024ELi32ELb1EfPKPK16rocblas_bfloat16fEviT5_lT_lS5_lS6_liPT6_PT4_,comdat
.Lfunc_end321:
	.size	_ZL18rocblas_dot_kernelIlLb1ELi1024ELi32ELb1EfPKPK16rocblas_bfloat16fEviT5_lT_lS5_lS6_liPT6_PT4_, .Lfunc_end321-_ZL18rocblas_dot_kernelIlLb1ELi1024ELi32ELb1EfPKPK16rocblas_bfloat16fEviT5_lT_lS5_lS6_liPT6_PT4_
                                        ; -- End function
	.section	.AMDGPU.csdata,"",@progbits
; Kernel info:
; codeLenInByte = 988
; NumSgprs: 27
; NumVgprs: 10
; ScratchSize: 0
; MemoryBound: 0
; FloatMode: 240
; IeeeMode: 1
; LDSByteSize: 128 bytes/workgroup (compile time only)
; SGPRBlocks: 3
; VGPRBlocks: 1
; NumSGPRsForWavesPerEU: 27
; NumVGPRsForWavesPerEU: 10
; Occupancy: 16
; WaveLimiterHint : 0
; COMPUTE_PGM_RSRC2:SCRATCH_EN: 0
; COMPUTE_PGM_RSRC2:USER_SGPR: 14
; COMPUTE_PGM_RSRC2:TRAP_HANDLER: 0
; COMPUTE_PGM_RSRC2:TGID_X_EN: 1
; COMPUTE_PGM_RSRC2:TGID_Y_EN: 0
; COMPUTE_PGM_RSRC2:TGID_Z_EN: 1
; COMPUTE_PGM_RSRC2:TIDIG_COMP_CNT: 0
	.section	.text._ZL24rocblas_dot_kernel_magsqIlLb1ELi1024ELi32ELb1EfPKPK16rocblas_bfloat16fEviT5_lT_liPT6_PT4_,"axG",@progbits,_ZL24rocblas_dot_kernel_magsqIlLb1ELi1024ELi32ELb1EfPKPK16rocblas_bfloat16fEviT5_lT_liPT6_PT4_,comdat
	.globl	_ZL24rocblas_dot_kernel_magsqIlLb1ELi1024ELi32ELb1EfPKPK16rocblas_bfloat16fEviT5_lT_liPT6_PT4_ ; -- Begin function _ZL24rocblas_dot_kernel_magsqIlLb1ELi1024ELi32ELb1EfPKPK16rocblas_bfloat16fEviT5_lT_liPT6_PT4_
	.p2align	8
	.type	_ZL24rocblas_dot_kernel_magsqIlLb1ELi1024ELi32ELb1EfPKPK16rocblas_bfloat16fEviT5_lT_liPT6_PT4_,@function
_ZL24rocblas_dot_kernel_magsqIlLb1ELi1024ELi32ELb1EfPKPK16rocblas_bfloat16fEviT5_lT_liPT6_PT4_: ; @_ZL24rocblas_dot_kernel_magsqIlLb1ELi1024ELi32ELb1EfPKPK16rocblas_bfloat16fEviT5_lT_liPT6_PT4_
; %bb.0:
	s_clause 0x1
	s_load_b32 s8, s[0:1], 0x0
	s_load_b64 s[2:3], s[0:1], 0x38
	v_mov_b32_e32 v3, 0
	s_mov_b32 s4, s15
	s_mov_b32 s5, 0
	s_mov_b32 s9, exec_lo
	s_waitcnt lgkmcnt(0)
	v_cmpx_gt_i32_e64 s8, v0
	s_cbranch_execz .LBB322_4
; %bb.1:
	s_clause 0x1
	s_load_b64 s[6:7], s[0:1], 0x8
	s_load_b128 s[12:15], s[0:1], 0x10
	s_lshl_b64 s[10:11], s[4:5], 3
	s_load_b32 s16, s[0:1], 0x40
	s_waitcnt lgkmcnt(0)
	s_add_u32 s0, s6, s10
	v_mad_u64_u32 v[1:2], null, s14, v0, 0
	s_addc_u32 s1, s7, s11
	s_lshl_b64 s[10:11], s[12:13], 1
	s_load_b64 s[6:7], s[0:1], 0x0
	s_lshl_b32 s1, s16, 10
	s_delay_alu instid0(SALU_CYCLE_1) | instskip(NEXT) | instid1(VALU_DEP_1)
	s_mul_hi_u32 s0, s14, s1
	v_mad_u64_u32 v[3:4], null, s15, v0, v[2:3]
	v_or_b32_e32 v4, s1, v0
	s_delay_alu instid0(VALU_DEP_2) | instskip(NEXT) | instid1(VALU_DEP_1)
	v_dual_mov_b32 v2, v3 :: v_dual_mov_b32 v3, 0
	v_lshlrev_b64 v[1:2], 1, v[1:2]
	s_waitcnt lgkmcnt(0)
	s_add_u32 s10, s6, s10
	s_addc_u32 s11, s7, s11
	s_ashr_i32 s6, s1, 31
	s_delay_alu instid0(VALU_DEP_1)
	v_add_co_u32 v1, vcc_lo, s10, v1
	s_mul_i32 s6, s14, s6
	s_mul_i32 s7, s15, s1
	s_add_i32 s0, s0, s6
	v_add_co_ci_u32_e32 v2, vcc_lo, s11, v2, vcc_lo
	s_mul_i32 s6, s14, s1
	s_add_i32 s7, s0, s7
	s_mov_b32 s10, s5
	s_lshl_b64 s[6:7], s[6:7], 1
	s_mov_b32 s11, s5
	.p2align	6
.LBB322_2:                              ; =>This Inner Loop Header: Depth=1
	global_load_u16 v5, v[1:2], off
	s_add_i32 s12, s11, 1
	v_cmp_le_i32_e32 vcc_lo, s8, v4
	v_add_co_u32 v1, s0, v1, s6
	s_cmp_gt_u32 s11, 30
	v_add_co_ci_u32_e64 v2, s0, s7, v2, s0
	s_cselect_b32 s0, -1, 0
	s_mov_b32 s11, s12
	s_or_b32 s0, s0, vcc_lo
	s_delay_alu instid0(SALU_CYCLE_1) | instskip(NEXT) | instid1(SALU_CYCLE_1)
	s_and_b32 s0, exec_lo, s0
	s_or_b32 s10, s0, s10
	s_waitcnt vmcnt(0)
	v_lshlrev_b32_e32 v5, 16, v5
	s_delay_alu instid0(VALU_DEP_1)
	v_dual_fmac_f32 v3, v5, v5 :: v_dual_add_nc_u32 v4, s1, v4
	s_and_not1_b32 exec_lo, exec_lo, s10
	s_cbranch_execnz .LBB322_2
; %bb.3:
	s_or_b32 exec_lo, exec_lo, s10
.LBB322_4:
	s_delay_alu instid0(SALU_CYCLE_1) | instskip(SKIP_2) | instid1(VALU_DEP_2)
	s_or_b32 exec_lo, exec_lo, s9
	v_and_b32_e32 v7, 31, v0
	v_cmp_gt_u32_e32 vcc_lo, 32, v0
	v_lshlrev_b32_e32 v1, 2, v7
	s_and_saveexec_b32 s0, vcc_lo
	s_cbranch_execz .LBB322_6
; %bb.5:
	v_mov_b32_e32 v2, 0
	ds_store_b32 v1, v2
.LBB322_6:
	s_or_b32 exec_lo, exec_lo, s0
	v_mbcnt_lo_u32_b32 v6, -1, 0
	s_mov_b32 s1, exec_lo
	s_waitcnt lgkmcnt(0)
	s_barrier
	buffer_gl0_inv
	v_cmp_gt_u32_e64 s0, 16, v6
	s_delay_alu instid0(VALU_DEP_1) | instskip(SKIP_1) | instid1(VALU_DEP_2)
	v_cndmask_b32_e64 v2, 0, 1, s0
	v_cmp_gt_u32_e64 s0, 24, v6
	v_lshlrev_b32_e32 v2, 4, v2
	s_delay_alu instid0(VALU_DEP_2) | instskip(SKIP_1) | instid1(VALU_DEP_3)
	v_cndmask_b32_e64 v4, 0, 1, s0
	v_cmp_gt_u32_e64 s0, 28, v6
	v_add_lshl_u32 v2, v2, v6, 2
	s_delay_alu instid0(VALU_DEP_3)
	v_lshlrev_b32_e32 v4, 3, v4
	ds_bpermute_b32 v5, v2, v3
	v_add_lshl_u32 v4, v4, v6, 2
	s_waitcnt lgkmcnt(0)
	v_add_f32_e32 v5, v3, v5
	v_cndmask_b32_e64 v3, 0, 1, s0
	v_cmp_gt_u32_e64 s0, 30, v6
	ds_bpermute_b32 v8, v4, v5
	s_waitcnt lgkmcnt(0)
	v_dual_add_f32 v8, v5, v8 :: v_dual_lshlrev_b32 v3, 2, v3
	s_delay_alu instid0(VALU_DEP_1) | instskip(SKIP_4) | instid1(VALU_DEP_1)
	v_add_lshl_u32 v3, v3, v6, 2
	v_cndmask_b32_e64 v5, 0, 1, s0
	v_cmp_ne_u32_e64 s0, 31, v6
	ds_bpermute_b32 v9, v3, v8
	v_lshlrev_b32_e32 v5, 1, v5
	v_add_lshl_u32 v5, v5, v6, 2
	v_add_co_ci_u32_e64 v6, s0, 0, v6, s0
	s_delay_alu instid0(VALU_DEP_1)
	v_lshlrev_b32_e32 v6, 2, v6
	s_waitcnt lgkmcnt(0)
	v_add_f32_e32 v8, v8, v9
	ds_bpermute_b32 v9, v5, v8
	s_waitcnt lgkmcnt(0)
	v_add_f32_e32 v8, v8, v9
	ds_bpermute_b32 v9, v6, v8
	v_cmpx_eq_u32_e32 0, v7
	s_cbranch_execz .LBB322_8
; %bb.7:
	v_lshrrev_b32_e32 v7, 3, v0
	s_waitcnt lgkmcnt(0)
	s_delay_alu instid0(VALU_DEP_1)
	v_dual_add_f32 v8, v8, v9 :: v_dual_and_b32 v7, 0x7c, v7
	ds_store_b32 v7, v8
.LBB322_8:
	s_or_b32 exec_lo, exec_lo, s1
	v_mov_b32_e32 v7, 0
	s_waitcnt lgkmcnt(0)
	s_barrier
	buffer_gl0_inv
	s_and_saveexec_b32 s0, vcc_lo
	s_cbranch_execz .LBB322_10
; %bb.9:
	ds_load_b32 v7, v1
.LBB322_10:
	s_or_b32 exec_lo, exec_lo, s0
	s_and_saveexec_b32 s0, vcc_lo
	s_cbranch_execz .LBB322_12
; %bb.11:
	s_waitcnt lgkmcnt(0)
	ds_bpermute_b32 v1, v2, v7
	s_waitcnt lgkmcnt(0)
	v_add_f32_e32 v1, v7, v1
	ds_bpermute_b32 v2, v4, v1
	s_waitcnt lgkmcnt(0)
	v_add_f32_e32 v1, v1, v2
	;; [unrolled: 3-line block ×5, first 2 shown]
.LBB322_12:
	s_or_b32 exec_lo, exec_lo, s0
	s_delay_alu instid0(SALU_CYCLE_1)
	s_mov_b32 s0, exec_lo
	v_cmpx_eq_u32_e32 0, v0
	s_cbranch_execz .LBB322_14
; %bb.13:
	s_lshl_b64 s[0:1], s[4:5], 2
	v_mov_b32_e32 v0, 0
	s_add_u32 s0, s2, s0
	s_addc_u32 s1, s3, s1
	s_waitcnt lgkmcnt(0)
	global_store_b32 v0, v7, s[0:1]
.LBB322_14:
	s_nop 0
	s_sendmsg sendmsg(MSG_DEALLOC_VGPRS)
	s_endpgm
	.section	.rodata,"a",@progbits
	.p2align	6, 0x0
	.amdhsa_kernel _ZL24rocblas_dot_kernel_magsqIlLb1ELi1024ELi32ELb1EfPKPK16rocblas_bfloat16fEviT5_lT_liPT6_PT4_
		.amdhsa_group_segment_fixed_size 128
		.amdhsa_private_segment_fixed_size 0
		.amdhsa_kernarg_size 320
		.amdhsa_user_sgpr_count 14
		.amdhsa_user_sgpr_dispatch_ptr 0
		.amdhsa_user_sgpr_queue_ptr 0
		.amdhsa_user_sgpr_kernarg_segment_ptr 1
		.amdhsa_user_sgpr_dispatch_id 0
		.amdhsa_user_sgpr_private_segment_size 0
		.amdhsa_wavefront_size32 1
		.amdhsa_uses_dynamic_stack 0
		.amdhsa_enable_private_segment 0
		.amdhsa_system_sgpr_workgroup_id_x 1
		.amdhsa_system_sgpr_workgroup_id_y 0
		.amdhsa_system_sgpr_workgroup_id_z 1
		.amdhsa_system_sgpr_workgroup_info 0
		.amdhsa_system_vgpr_workitem_id 0
		.amdhsa_next_free_vgpr 10
		.amdhsa_next_free_sgpr 17
		.amdhsa_reserve_vcc 1
		.amdhsa_float_round_mode_32 0
		.amdhsa_float_round_mode_16_64 0
		.amdhsa_float_denorm_mode_32 3
		.amdhsa_float_denorm_mode_16_64 3
		.amdhsa_dx10_clamp 1
		.amdhsa_ieee_mode 1
		.amdhsa_fp16_overflow 0
		.amdhsa_workgroup_processor_mode 1
		.amdhsa_memory_ordered 1
		.amdhsa_forward_progress 0
		.amdhsa_shared_vgpr_count 0
		.amdhsa_exception_fp_ieee_invalid_op 0
		.amdhsa_exception_fp_denorm_src 0
		.amdhsa_exception_fp_ieee_div_zero 0
		.amdhsa_exception_fp_ieee_overflow 0
		.amdhsa_exception_fp_ieee_underflow 0
		.amdhsa_exception_fp_ieee_inexact 0
		.amdhsa_exception_int_div_zero 0
	.end_amdhsa_kernel
	.section	.text._ZL24rocblas_dot_kernel_magsqIlLb1ELi1024ELi32ELb1EfPKPK16rocblas_bfloat16fEviT5_lT_liPT6_PT4_,"axG",@progbits,_ZL24rocblas_dot_kernel_magsqIlLb1ELi1024ELi32ELb1EfPKPK16rocblas_bfloat16fEviT5_lT_liPT6_PT4_,comdat
.Lfunc_end322:
	.size	_ZL24rocblas_dot_kernel_magsqIlLb1ELi1024ELi32ELb1EfPKPK16rocblas_bfloat16fEviT5_lT_liPT6_PT4_, .Lfunc_end322-_ZL24rocblas_dot_kernel_magsqIlLb1ELi1024ELi32ELb1EfPKPK16rocblas_bfloat16fEviT5_lT_liPT6_PT4_
                                        ; -- End function
	.section	.AMDGPU.csdata,"",@progbits
; Kernel info:
; codeLenInByte = 848
; NumSgprs: 19
; NumVgprs: 10
; ScratchSize: 0
; MemoryBound: 0
; FloatMode: 240
; IeeeMode: 1
; LDSByteSize: 128 bytes/workgroup (compile time only)
; SGPRBlocks: 2
; VGPRBlocks: 1
; NumSGPRsForWavesPerEU: 19
; NumVGPRsForWavesPerEU: 10
; Occupancy: 16
; WaveLimiterHint : 0
; COMPUTE_PGM_RSRC2:SCRATCH_EN: 0
; COMPUTE_PGM_RSRC2:USER_SGPR: 14
; COMPUTE_PGM_RSRC2:TRAP_HANDLER: 0
; COMPUTE_PGM_RSRC2:TGID_X_EN: 1
; COMPUTE_PGM_RSRC2:TGID_Y_EN: 0
; COMPUTE_PGM_RSRC2:TGID_Z_EN: 1
; COMPUTE_PGM_RSRC2:TIDIG_COMP_CNT: 0
	.section	.text._ZL38rocblas_dot_kernel_gfx942_float_doubleIlLi1024EfPKPK16rocblas_bfloat16fEviT2_lT_lS5_lS6_lPT3_PT1_,"axG",@progbits,_ZL38rocblas_dot_kernel_gfx942_float_doubleIlLi1024EfPKPK16rocblas_bfloat16fEviT2_lT_lS5_lS6_lPT3_PT1_,comdat
	.globl	_ZL38rocblas_dot_kernel_gfx942_float_doubleIlLi1024EfPKPK16rocblas_bfloat16fEviT2_lT_lS5_lS6_lPT3_PT1_ ; -- Begin function _ZL38rocblas_dot_kernel_gfx942_float_doubleIlLi1024EfPKPK16rocblas_bfloat16fEviT2_lT_lS5_lS6_lPT3_PT1_
	.p2align	8
	.type	_ZL38rocblas_dot_kernel_gfx942_float_doubleIlLi1024EfPKPK16rocblas_bfloat16fEviT2_lT_lS5_lS6_lPT3_PT1_,@function
_ZL38rocblas_dot_kernel_gfx942_float_doubleIlLi1024EfPKPK16rocblas_bfloat16fEviT2_lT_lS5_lS6_lPT3_PT1_: ; @_ZL38rocblas_dot_kernel_gfx942_float_doubleIlLi1024EfPKPK16rocblas_bfloat16fEviT2_lT_lS5_lS6_lPT3_PT1_
; %bb.0:
	s_endpgm
	.section	.rodata,"a",@progbits
	.p2align	6, 0x0
	.amdhsa_kernel _ZL38rocblas_dot_kernel_gfx942_float_doubleIlLi1024EfPKPK16rocblas_bfloat16fEviT2_lT_lS5_lS6_lPT3_PT1_
		.amdhsa_group_segment_fixed_size 0
		.amdhsa_private_segment_fixed_size 0
		.amdhsa_kernarg_size 88
		.amdhsa_user_sgpr_count 15
		.amdhsa_user_sgpr_dispatch_ptr 0
		.amdhsa_user_sgpr_queue_ptr 0
		.amdhsa_user_sgpr_kernarg_segment_ptr 1
		.amdhsa_user_sgpr_dispatch_id 0
		.amdhsa_user_sgpr_private_segment_size 0
		.amdhsa_wavefront_size32 1
		.amdhsa_uses_dynamic_stack 0
		.amdhsa_enable_private_segment 0
		.amdhsa_system_sgpr_workgroup_id_x 1
		.amdhsa_system_sgpr_workgroup_id_y 0
		.amdhsa_system_sgpr_workgroup_id_z 0
		.amdhsa_system_sgpr_workgroup_info 0
		.amdhsa_system_vgpr_workitem_id 0
		.amdhsa_next_free_vgpr 1
		.amdhsa_next_free_sgpr 1
		.amdhsa_reserve_vcc 0
		.amdhsa_float_round_mode_32 0
		.amdhsa_float_round_mode_16_64 0
		.amdhsa_float_denorm_mode_32 3
		.amdhsa_float_denorm_mode_16_64 3
		.amdhsa_dx10_clamp 1
		.amdhsa_ieee_mode 1
		.amdhsa_fp16_overflow 0
		.amdhsa_workgroup_processor_mode 1
		.amdhsa_memory_ordered 1
		.amdhsa_forward_progress 0
		.amdhsa_shared_vgpr_count 0
		.amdhsa_exception_fp_ieee_invalid_op 0
		.amdhsa_exception_fp_denorm_src 0
		.amdhsa_exception_fp_ieee_div_zero 0
		.amdhsa_exception_fp_ieee_overflow 0
		.amdhsa_exception_fp_ieee_underflow 0
		.amdhsa_exception_fp_ieee_inexact 0
		.amdhsa_exception_int_div_zero 0
	.end_amdhsa_kernel
	.section	.text._ZL38rocblas_dot_kernel_gfx942_float_doubleIlLi1024EfPKPK16rocblas_bfloat16fEviT2_lT_lS5_lS6_lPT3_PT1_,"axG",@progbits,_ZL38rocblas_dot_kernel_gfx942_float_doubleIlLi1024EfPKPK16rocblas_bfloat16fEviT2_lT_lS5_lS6_lPT3_PT1_,comdat
.Lfunc_end323:
	.size	_ZL38rocblas_dot_kernel_gfx942_float_doubleIlLi1024EfPKPK16rocblas_bfloat16fEviT2_lT_lS5_lS6_lPT3_PT1_, .Lfunc_end323-_ZL38rocblas_dot_kernel_gfx942_float_doubleIlLi1024EfPKPK16rocblas_bfloat16fEviT2_lT_lS5_lS6_lPT3_PT1_
                                        ; -- End function
	.section	.AMDGPU.csdata,"",@progbits
; Kernel info:
; codeLenInByte = 4
; NumSgprs: 0
; NumVgprs: 0
; ScratchSize: 0
; MemoryBound: 0
; FloatMode: 240
; IeeeMode: 1
; LDSByteSize: 0 bytes/workgroup (compile time only)
; SGPRBlocks: 0
; VGPRBlocks: 0
; NumSGPRsForWavesPerEU: 1
; NumVGPRsForWavesPerEU: 1
; Occupancy: 16
; WaveLimiterHint : 0
; COMPUTE_PGM_RSRC2:SCRATCH_EN: 0
; COMPUTE_PGM_RSRC2:USER_SGPR: 15
; COMPUTE_PGM_RSRC2:TRAP_HANDLER: 0
; COMPUTE_PGM_RSRC2:TGID_X_EN: 1
; COMPUTE_PGM_RSRC2:TGID_Y_EN: 0
; COMPUTE_PGM_RSRC2:TGID_Z_EN: 0
; COMPUTE_PGM_RSRC2:TIDIG_COMP_CNT: 0
	.section	.text._ZL23rocblas_dot_kernel_inc1ILb0ELi512ELi4ELb1EfPKPK16rocblas_bfloat16fEviT4_llS5_lliPT5_PT3_,"axG",@progbits,_ZL23rocblas_dot_kernel_inc1ILb0ELi512ELi4ELb1EfPKPK16rocblas_bfloat16fEviT4_llS5_lliPT5_PT3_,comdat
	.globl	_ZL23rocblas_dot_kernel_inc1ILb0ELi512ELi4ELb1EfPKPK16rocblas_bfloat16fEviT4_llS5_lliPT5_PT3_ ; -- Begin function _ZL23rocblas_dot_kernel_inc1ILb0ELi512ELi4ELb1EfPKPK16rocblas_bfloat16fEviT4_llS5_lliPT5_PT3_
	.p2align	8
	.type	_ZL23rocblas_dot_kernel_inc1ILb0ELi512ELi4ELb1EfPKPK16rocblas_bfloat16fEviT4_llS5_lliPT5_PT3_,@function
_ZL23rocblas_dot_kernel_inc1ILb0ELi512ELi4ELb1EfPKPK16rocblas_bfloat16fEviT4_llS5_lliPT5_PT3_: ; @_ZL23rocblas_dot_kernel_inc1ILb0ELi512ELi4ELb1EfPKPK16rocblas_bfloat16fEviT4_llS5_lliPT5_PT3_
; %bb.0:
	s_clause 0x2
	s_load_b32 s12, s[0:1], 0x50
	s_load_b32 s13, s[0:1], 0x0
	s_load_b128 s[4:7], s[0:1], 0x40
	v_lshl_or_b32 v3, s14, 9, v0
	v_mov_b32_e32 v5, 0
	s_mov_b32 s2, s15
	s_mov_b32 s3, 0
	s_mov_b32 s15, exec_lo
	s_waitcnt lgkmcnt(0)
	v_cmpx_gt_i32_e64 s13, v3
	s_cbranch_execz .LBB324_4
; %bb.1:
	s_clause 0x1
	s_load_b128 s[8:11], s[0:1], 0x8
	s_load_b128 s[20:23], s[0:1], 0x20
	s_lshl_b64 s[18:19], s[2:3], 3
	v_ashrrev_i32_e32 v4, 31, v3
	v_mov_b32_e32 v5, 0
	s_delay_alu instid0(VALU_DEP_2)
	v_lshlrev_b64 v[1:2], 1, v[3:4]
	s_waitcnt lgkmcnt(0)
	s_add_u32 s0, s8, s18
	s_addc_u32 s1, s9, s19
	s_lshl_b64 s[10:11], s[10:11], 1
	s_load_b64 s[8:9], s[0:1], 0x0
	s_waitcnt lgkmcnt(0)
	s_add_u32 s1, s8, s10
	s_addc_u32 s16, s9, s11
	s_add_u32 s8, s20, s18
	s_addc_u32 s9, s21, s19
	s_lshl_b64 s[10:11], s[22:23], 1
	s_load_b64 s[8:9], s[8:9], 0x0
	s_mov_b32 s19, s3
	s_waitcnt lgkmcnt(0)
	s_add_u32 s17, s8, s10
	s_addc_u32 s18, s9, s11
	s_lshl_b32 s8, s12, 9
	s_delay_alu instid0(SALU_CYCLE_1) | instskip(SKIP_1) | instid1(SALU_CYCLE_1)
	v_add_nc_u32_e32 v3, s8, v3
	s_ashr_i32 s9, s8, 31
	s_lshl_b64 s[10:11], s[8:9], 1
	s_mov_b32 s9, s3
	.p2align	6
.LBB324_2:                              ; =>This Inner Loop Header: Depth=1
	v_add_co_u32 v6, vcc_lo, s1, v1
	v_add_co_ci_u32_e32 v7, vcc_lo, s16, v2, vcc_lo
	v_add_co_u32 v8, vcc_lo, s17, v1
	v_add_co_ci_u32_e32 v9, vcc_lo, s18, v2, vcc_lo
	s_add_i32 s20, s19, 1
	global_load_u16 v4, v[6:7], off
	global_load_u16 v6, v[8:9], off
	v_cmp_le_i32_e32 vcc_lo, s13, v3
	v_add_co_u32 v1, s0, v1, s10
	s_cmp_gt_u32 s19, 2
	v_add_co_ci_u32_e64 v2, s0, s11, v2, s0
	s_cselect_b32 s0, -1, 0
	v_add_nc_u32_e32 v3, s8, v3
	s_or_b32 s0, s0, vcc_lo
	s_mov_b32 s19, s20
	s_and_b32 s0, exec_lo, s0
	s_delay_alu instid0(SALU_CYCLE_1) | instskip(SKIP_4) | instid1(VALU_DEP_1)
	s_or_b32 s9, s0, s9
	s_waitcnt vmcnt(1)
	v_lshlrev_b32_e32 v4, 16, v4
	s_waitcnt vmcnt(0)
	v_lshlrev_b32_e32 v6, 16, v6
	v_fmac_f32_e32 v5, v6, v4
	s_and_not1_b32 exec_lo, exec_lo, s9
	s_cbranch_execnz .LBB324_2
; %bb.3:
	s_or_b32 exec_lo, exec_lo, s9
.LBB324_4:
	s_delay_alu instid0(SALU_CYCLE_1) | instskip(SKIP_2) | instid1(VALU_DEP_2)
	s_or_b32 exec_lo, exec_lo, s15
	v_and_b32_e32 v2, 31, v0
	v_cmp_gt_u32_e32 vcc_lo, 32, v0
	v_lshlrev_b32_e32 v1, 2, v2
	s_and_saveexec_b32 s0, vcc_lo
	s_cbranch_execz .LBB324_6
; %bb.5:
	v_mov_b32_e32 v3, 0
	ds_store_b32 v1, v3
.LBB324_6:
	s_or_b32 exec_lo, exec_lo, s0
	v_mbcnt_lo_u32_b32 v6, -1, 0
	s_mov_b32 s1, exec_lo
	s_waitcnt lgkmcnt(0)
	s_barrier
	buffer_gl0_inv
	v_cmp_gt_u32_e64 s0, 16, v6
	s_delay_alu instid0(VALU_DEP_1) | instskip(SKIP_1) | instid1(VALU_DEP_2)
	v_cndmask_b32_e64 v3, 0, 1, s0
	v_cmp_gt_u32_e64 s0, 24, v6
	v_lshlrev_b32_e32 v3, 4, v3
	s_delay_alu instid0(VALU_DEP_1) | instskip(SKIP_3) | instid1(VALU_DEP_2)
	v_add_lshl_u32 v3, v3, v6, 2
	ds_bpermute_b32 v4, v3, v5
	v_cndmask_b32_e64 v3, 0, 1, s0
	v_cmp_gt_u32_e64 s0, 28, v6
	v_lshlrev_b32_e32 v3, 3, v3
	s_delay_alu instid0(VALU_DEP_1)
	v_add_lshl_u32 v3, v3, v6, 2
	s_waitcnt lgkmcnt(0)
	v_add_f32_e32 v5, v5, v4
	v_cndmask_b32_e64 v4, 0, 1, s0
	v_cmp_gt_u32_e64 s0, 30, v6
	ds_bpermute_b32 v7, v3, v5
	s_waitcnt lgkmcnt(0)
	v_dual_add_f32 v7, v5, v7 :: v_dual_lshlrev_b32 v4, 2, v4
	s_delay_alu instid0(VALU_DEP_1) | instskip(SKIP_4) | instid1(VALU_DEP_1)
	v_add_lshl_u32 v4, v4, v6, 2
	v_cndmask_b32_e64 v5, 0, 1, s0
	v_cmp_ne_u32_e64 s0, 31, v6
	ds_bpermute_b32 v8, v4, v7
	v_lshlrev_b32_e32 v5, 1, v5
	v_add_lshl_u32 v5, v5, v6, 2
	v_add_co_ci_u32_e64 v6, s0, 0, v6, s0
	s_waitcnt lgkmcnt(0)
	s_delay_alu instid0(VALU_DEP_1)
	v_dual_add_f32 v7, v7, v8 :: v_dual_lshlrev_b32 v6, 2, v6
	ds_bpermute_b32 v8, v5, v7
	s_waitcnt lgkmcnt(0)
	v_add_f32_e32 v7, v7, v8
	ds_bpermute_b32 v8, v6, v7
	v_cmpx_eq_u32_e32 0, v2
	s_cbranch_execz .LBB324_8
; %bb.7:
	v_lshrrev_b32_e32 v2, 3, v0
	s_waitcnt lgkmcnt(0)
	s_delay_alu instid0(VALU_DEP_1)
	v_dual_add_f32 v7, v7, v8 :: v_dual_and_b32 v2, 60, v2
	ds_store_b32 v2, v7
.LBB324_8:
	s_or_b32 exec_lo, exec_lo, s1
	v_mov_b32_e32 v2, 0
	s_mov_b32 s1, exec_lo
	s_waitcnt lgkmcnt(0)
	s_barrier
	buffer_gl0_inv
	v_cmpx_gt_u32_e32 16, v0
	s_cbranch_execz .LBB324_10
; %bb.9:
	ds_load_b32 v2, v1
.LBB324_10:
	s_or_b32 exec_lo, exec_lo, s1
	s_and_saveexec_b32 s0, vcc_lo
	s_cbranch_execz .LBB324_12
; %bb.11:
	s_waitcnt lgkmcnt(0)
	ds_bpermute_b32 v1, v3, v2
	s_waitcnt lgkmcnt(0)
	v_add_f32_e32 v1, v2, v1
	ds_bpermute_b32 v2, v4, v1
	s_waitcnt lgkmcnt(0)
	v_add_f32_e32 v1, v1, v2
	;; [unrolled: 3-line block ×4, first 2 shown]
.LBB324_12:
	s_or_b32 exec_lo, exec_lo, s0
	s_delay_alu instid0(SALU_CYCLE_1)
	s_mov_b32 s0, exec_lo
	v_cmpx_eq_u32_e32 0, v0
	s_cbranch_execz .LBB324_18
; %bb.13:
	s_cmp_lg_u32 s12, 1
	s_cbranch_scc0 .LBB324_15
; %bb.14:
	s_mul_hi_u32 s1, s12, s2
	s_mul_i32 s0, s12, s2
	s_mov_b32 s15, 0
	s_lshl_b64 s[0:1], s[0:1], 2
	s_delay_alu instid0(SALU_CYCLE_1) | instskip(SKIP_2) | instid1(SALU_CYCLE_1)
	s_add_u32 s4, s4, s0
	s_addc_u32 s5, s5, s1
	s_lshl_b64 s[0:1], s[14:15], 2
	s_add_u32 s0, s4, s0
	s_addc_u32 s1, s5, s1
	s_cbranch_execz .LBB324_16
	s_branch .LBB324_17
.LBB324_15:
                                        ; implicit-def: $sgpr0_sgpr1
.LBB324_16:
	s_lshl_b64 s[0:1], s[2:3], 2
	s_delay_alu instid0(SALU_CYCLE_1)
	s_add_u32 s0, s6, s0
	s_addc_u32 s1, s7, s1
.LBB324_17:
	v_mov_b32_e32 v0, 0
	s_waitcnt lgkmcnt(0)
	global_store_b32 v0, v2, s[0:1]
.LBB324_18:
	s_nop 0
	s_sendmsg sendmsg(MSG_DEALLOC_VGPRS)
	s_endpgm
	.section	.rodata,"a",@progbits
	.p2align	6, 0x0
	.amdhsa_kernel _ZL23rocblas_dot_kernel_inc1ILb0ELi512ELi4ELb1EfPKPK16rocblas_bfloat16fEviT4_llS5_lliPT5_PT3_
		.amdhsa_group_segment_fixed_size 128
		.amdhsa_private_segment_fixed_size 0
		.amdhsa_kernarg_size 336
		.amdhsa_user_sgpr_count 14
		.amdhsa_user_sgpr_dispatch_ptr 0
		.amdhsa_user_sgpr_queue_ptr 0
		.amdhsa_user_sgpr_kernarg_segment_ptr 1
		.amdhsa_user_sgpr_dispatch_id 0
		.amdhsa_user_sgpr_private_segment_size 0
		.amdhsa_wavefront_size32 1
		.amdhsa_uses_dynamic_stack 0
		.amdhsa_enable_private_segment 0
		.amdhsa_system_sgpr_workgroup_id_x 1
		.amdhsa_system_sgpr_workgroup_id_y 0
		.amdhsa_system_sgpr_workgroup_id_z 1
		.amdhsa_system_sgpr_workgroup_info 0
		.amdhsa_system_vgpr_workitem_id 0
		.amdhsa_next_free_vgpr 10
		.amdhsa_next_free_sgpr 24
		.amdhsa_reserve_vcc 1
		.amdhsa_float_round_mode_32 0
		.amdhsa_float_round_mode_16_64 0
		.amdhsa_float_denorm_mode_32 3
		.amdhsa_float_denorm_mode_16_64 3
		.amdhsa_dx10_clamp 1
		.amdhsa_ieee_mode 1
		.amdhsa_fp16_overflow 0
		.amdhsa_workgroup_processor_mode 1
		.amdhsa_memory_ordered 1
		.amdhsa_forward_progress 0
		.amdhsa_shared_vgpr_count 0
		.amdhsa_exception_fp_ieee_invalid_op 0
		.amdhsa_exception_fp_denorm_src 0
		.amdhsa_exception_fp_ieee_div_zero 0
		.amdhsa_exception_fp_ieee_overflow 0
		.amdhsa_exception_fp_ieee_underflow 0
		.amdhsa_exception_fp_ieee_inexact 0
		.amdhsa_exception_int_div_zero 0
	.end_amdhsa_kernel
	.section	.text._ZL23rocblas_dot_kernel_inc1ILb0ELi512ELi4ELb1EfPKPK16rocblas_bfloat16fEviT4_llS5_lliPT5_PT3_,"axG",@progbits,_ZL23rocblas_dot_kernel_inc1ILb0ELi512ELi4ELb1EfPKPK16rocblas_bfloat16fEviT4_llS5_lliPT5_PT3_,comdat
.Lfunc_end324:
	.size	_ZL23rocblas_dot_kernel_inc1ILb0ELi512ELi4ELb1EfPKPK16rocblas_bfloat16fEviT4_llS5_lliPT5_PT3_, .Lfunc_end324-_ZL23rocblas_dot_kernel_inc1ILb0ELi512ELi4ELb1EfPKPK16rocblas_bfloat16fEviT4_llS5_lliPT5_PT3_
                                        ; -- End function
	.section	.AMDGPU.csdata,"",@progbits
; Kernel info:
; codeLenInByte = 912
; NumSgprs: 26
; NumVgprs: 10
; ScratchSize: 0
; MemoryBound: 0
; FloatMode: 240
; IeeeMode: 1
; LDSByteSize: 128 bytes/workgroup (compile time only)
; SGPRBlocks: 3
; VGPRBlocks: 1
; NumSGPRsForWavesPerEU: 26
; NumVGPRsForWavesPerEU: 10
; Occupancy: 16
; WaveLimiterHint : 1
; COMPUTE_PGM_RSRC2:SCRATCH_EN: 0
; COMPUTE_PGM_RSRC2:USER_SGPR: 14
; COMPUTE_PGM_RSRC2:TRAP_HANDLER: 0
; COMPUTE_PGM_RSRC2:TGID_X_EN: 1
; COMPUTE_PGM_RSRC2:TGID_Y_EN: 0
; COMPUTE_PGM_RSRC2:TGID_Z_EN: 1
; COMPUTE_PGM_RSRC2:TIDIG_COMP_CNT: 0
	.section	.text._ZL18rocblas_dot_kernelIlLb0ELi512ELi4ELb1EfPKPK16rocblas_bfloat16fEviT5_lT_lS5_lS6_liPT6_PT4_,"axG",@progbits,_ZL18rocblas_dot_kernelIlLb0ELi512ELi4ELb1EfPKPK16rocblas_bfloat16fEviT5_lT_lS5_lS6_liPT6_PT4_,comdat
	.globl	_ZL18rocblas_dot_kernelIlLb0ELi512ELi4ELb1EfPKPK16rocblas_bfloat16fEviT5_lT_lS5_lS6_liPT6_PT4_ ; -- Begin function _ZL18rocblas_dot_kernelIlLb0ELi512ELi4ELb1EfPKPK16rocblas_bfloat16fEviT5_lT_lS5_lS6_liPT6_PT4_
	.p2align	8
	.type	_ZL18rocblas_dot_kernelIlLb0ELi512ELi4ELb1EfPKPK16rocblas_bfloat16fEviT5_lT_lS5_lS6_liPT6_PT4_,@function
_ZL18rocblas_dot_kernelIlLb0ELi512ELi4ELb1EfPKPK16rocblas_bfloat16fEviT5_lT_lS5_lS6_liPT6_PT4_: ; @_ZL18rocblas_dot_kernelIlLb0ELi512ELi4ELb1EfPKPK16rocblas_bfloat16fEviT5_lT_lS5_lS6_liPT6_PT4_
; %bb.0:
	s_clause 0x2
	s_load_b32 s12, s[0:1], 0x60
	s_load_b32 s13, s[0:1], 0x0
	s_load_b128 s[4:7], s[0:1], 0x50
	v_lshl_or_b32 v1, s14, 9, v0
	v_mov_b32_e32 v5, 0
	s_mov_b32 s2, s15
	s_mov_b32 s3, 0
	s_mov_b32 s15, exec_lo
	s_waitcnt lgkmcnt(0)
	v_cmpx_gt_i32_e64 s13, v1
	s_cbranch_execz .LBB325_4
; %bb.1:
	s_clause 0x3
	s_load_b64 s[20:21], s[0:1], 0x8
	s_load_b128 s[16:19], s[0:1], 0x10
	s_load_b128 s[8:11], s[0:1], 0x30
	s_load_b64 s[0:1], s[0:1], 0x28
	s_lshl_b64 s[22:23], s[2:3], 3
	v_ashrrev_i32_e32 v4, 31, v1
	s_waitcnt lgkmcnt(0)
	s_add_u32 s20, s20, s22
	s_addc_u32 s21, s21, s23
	v_mul_lo_u32 v9, s19, v1
	s_load_b64 s[20:21], s[20:21], 0x0
	s_add_u32 s22, s0, s22
	s_addc_u32 s23, s1, s23
	v_mul_lo_u32 v10, s18, v4
	v_mad_u64_u32 v[2:3], null, s18, v1, 0
	s_load_b64 s[22:23], s[22:23], 0x0
	v_mul_lo_u32 v11, s11, v1
	v_mul_lo_u32 v4, s10, v4
	v_mad_u64_u32 v[7:8], null, s10, v1, 0
	s_lshl_b64 s[16:17], s[16:17], 1
	s_delay_alu instid0(VALU_DEP_4) | instskip(SKIP_1) | instid1(SALU_CYCLE_1)
	v_add3_u32 v3, v3, v10, v9
	s_lshl_b32 s1, s12, 9
	v_dual_mov_b32 v5, 0 :: v_dual_add_nc_u32 v6, s1, v1
	s_mul_hi_u32 s0, s18, s1
	s_delay_alu instid0(VALU_DEP_3)
	v_add3_u32 v8, v8, v4, v11
	v_lshlrev_b64 v[1:2], 1, v[2:3]
	s_mul_i32 s19, s19, s1
	s_waitcnt lgkmcnt(0)
	s_add_u32 s20, s20, s16
	s_addc_u32 s21, s21, s17
	s_ashr_i32 s28, s1, 31
	v_lshlrev_b64 v[3:4], 1, v[7:8]
	s_mul_i32 s16, s18, s28
	s_mul_i32 s24, s18, s1
	s_add_i32 s0, s0, s16
	s_lshl_b64 s[16:17], s[8:9], 1
	s_add_i32 s25, s0, s19
	v_add_co_u32 v1, vcc_lo, s20, v1
	s_lshl_b64 s[8:9], s[24:25], 1
	s_mul_hi_u32 s27, s10, s1
	s_mul_i32 s26, s10, s1
	s_mul_i32 s0, s10, s28
	s_add_u32 s10, s22, s16
	v_add_co_ci_u32_e32 v2, vcc_lo, s21, v2, vcc_lo
	s_addc_u32 s16, s23, s17
	v_add_co_u32 v3, vcc_lo, s10, v3
	s_mul_i32 s11, s11, s1
	s_add_i32 s0, s27, s0
	v_add_co_ci_u32_e32 v4, vcc_lo, s16, v4, vcc_lo
	s_add_i32 s27, s0, s11
	s_mov_b32 s16, s3
	s_lshl_b64 s[10:11], s[26:27], 1
	s_mov_b32 s17, s3
	.p2align	6
.LBB325_2:                              ; =>This Inner Loop Header: Depth=1
	global_load_u16 v7, v[1:2], off
	global_load_u16 v8, v[3:4], off
	v_add_co_u32 v1, s0, v1, s8
	s_delay_alu instid0(VALU_DEP_1)
	v_add_co_ci_u32_e64 v2, s0, s9, v2, s0
	s_add_i32 s18, s17, 1
	v_cmp_le_i32_e32 vcc_lo, s13, v6
	v_add_co_u32 v3, s0, v3, s10
	s_cmp_gt_u32 s17, 2
	v_add_co_ci_u32_e64 v4, s0, s11, v4, s0
	s_cselect_b32 s0, -1, 0
	s_mov_b32 s17, s18
	s_or_b32 s0, s0, vcc_lo
	s_delay_alu instid0(SALU_CYCLE_1) | instskip(NEXT) | instid1(SALU_CYCLE_1)
	s_and_b32 s0, exec_lo, s0
	s_or_b32 s16, s0, s16
	s_waitcnt vmcnt(1)
	v_lshlrev_b32_e32 v7, 16, v7
	s_waitcnt vmcnt(0)
	v_lshlrev_b32_e32 v8, 16, v8
	s_delay_alu instid0(VALU_DEP_1)
	v_dual_fmac_f32 v5, v8, v7 :: v_dual_add_nc_u32 v6, s1, v6
	s_and_not1_b32 exec_lo, exec_lo, s16
	s_cbranch_execnz .LBB325_2
; %bb.3:
	s_or_b32 exec_lo, exec_lo, s16
.LBB325_4:
	s_delay_alu instid0(SALU_CYCLE_1) | instskip(SKIP_2) | instid1(VALU_DEP_2)
	s_or_b32 exec_lo, exec_lo, s15
	v_and_b32_e32 v2, 31, v0
	v_cmp_gt_u32_e32 vcc_lo, 32, v0
	v_lshlrev_b32_e32 v1, 2, v2
	s_and_saveexec_b32 s0, vcc_lo
	s_cbranch_execz .LBB325_6
; %bb.5:
	v_mov_b32_e32 v3, 0
	ds_store_b32 v1, v3
.LBB325_6:
	s_or_b32 exec_lo, exec_lo, s0
	v_mbcnt_lo_u32_b32 v6, -1, 0
	s_mov_b32 s1, exec_lo
	s_waitcnt lgkmcnt(0)
	s_barrier
	buffer_gl0_inv
	v_cmp_gt_u32_e64 s0, 16, v6
	s_delay_alu instid0(VALU_DEP_1) | instskip(SKIP_1) | instid1(VALU_DEP_2)
	v_cndmask_b32_e64 v3, 0, 1, s0
	v_cmp_gt_u32_e64 s0, 24, v6
	v_lshlrev_b32_e32 v3, 4, v3
	s_delay_alu instid0(VALU_DEP_1) | instskip(SKIP_3) | instid1(VALU_DEP_2)
	v_add_lshl_u32 v3, v3, v6, 2
	ds_bpermute_b32 v4, v3, v5
	v_cndmask_b32_e64 v3, 0, 1, s0
	v_cmp_gt_u32_e64 s0, 28, v6
	v_lshlrev_b32_e32 v3, 3, v3
	s_delay_alu instid0(VALU_DEP_1)
	v_add_lshl_u32 v3, v3, v6, 2
	s_waitcnt lgkmcnt(0)
	v_add_f32_e32 v5, v5, v4
	v_cndmask_b32_e64 v4, 0, 1, s0
	v_cmp_gt_u32_e64 s0, 30, v6
	ds_bpermute_b32 v7, v3, v5
	s_waitcnt lgkmcnt(0)
	v_dual_add_f32 v7, v5, v7 :: v_dual_lshlrev_b32 v4, 2, v4
	s_delay_alu instid0(VALU_DEP_1) | instskip(SKIP_4) | instid1(VALU_DEP_1)
	v_add_lshl_u32 v4, v4, v6, 2
	v_cndmask_b32_e64 v5, 0, 1, s0
	v_cmp_ne_u32_e64 s0, 31, v6
	ds_bpermute_b32 v8, v4, v7
	v_lshlrev_b32_e32 v5, 1, v5
	v_add_lshl_u32 v5, v5, v6, 2
	v_add_co_ci_u32_e64 v6, s0, 0, v6, s0
	s_waitcnt lgkmcnt(0)
	s_delay_alu instid0(VALU_DEP_1)
	v_dual_add_f32 v7, v7, v8 :: v_dual_lshlrev_b32 v6, 2, v6
	ds_bpermute_b32 v8, v5, v7
	s_waitcnt lgkmcnt(0)
	v_add_f32_e32 v7, v7, v8
	ds_bpermute_b32 v8, v6, v7
	v_cmpx_eq_u32_e32 0, v2
	s_cbranch_execz .LBB325_8
; %bb.7:
	v_lshrrev_b32_e32 v2, 3, v0
	s_waitcnt lgkmcnt(0)
	s_delay_alu instid0(VALU_DEP_1)
	v_dual_add_f32 v7, v7, v8 :: v_dual_and_b32 v2, 60, v2
	ds_store_b32 v2, v7
.LBB325_8:
	s_or_b32 exec_lo, exec_lo, s1
	v_mov_b32_e32 v2, 0
	s_mov_b32 s1, exec_lo
	s_waitcnt lgkmcnt(0)
	s_barrier
	buffer_gl0_inv
	v_cmpx_gt_u32_e32 16, v0
	s_cbranch_execz .LBB325_10
; %bb.9:
	ds_load_b32 v2, v1
.LBB325_10:
	s_or_b32 exec_lo, exec_lo, s1
	s_and_saveexec_b32 s0, vcc_lo
	s_cbranch_execz .LBB325_12
; %bb.11:
	s_waitcnt lgkmcnt(0)
	ds_bpermute_b32 v1, v3, v2
	s_waitcnt lgkmcnt(0)
	v_add_f32_e32 v1, v2, v1
	ds_bpermute_b32 v2, v4, v1
	s_waitcnt lgkmcnt(0)
	v_add_f32_e32 v1, v1, v2
	;; [unrolled: 3-line block ×4, first 2 shown]
.LBB325_12:
	s_or_b32 exec_lo, exec_lo, s0
	s_delay_alu instid0(SALU_CYCLE_1)
	s_mov_b32 s0, exec_lo
	v_cmpx_eq_u32_e32 0, v0
	s_cbranch_execz .LBB325_18
; %bb.13:
	s_cmp_lg_u32 s12, 1
	s_cbranch_scc0 .LBB325_15
; %bb.14:
	s_mul_hi_u32 s1, s12, s2
	s_mul_i32 s0, s12, s2
	s_mov_b32 s15, 0
	s_lshl_b64 s[0:1], s[0:1], 2
	s_delay_alu instid0(SALU_CYCLE_1) | instskip(SKIP_2) | instid1(SALU_CYCLE_1)
	s_add_u32 s4, s4, s0
	s_addc_u32 s5, s5, s1
	s_lshl_b64 s[0:1], s[14:15], 2
	s_add_u32 s0, s4, s0
	s_addc_u32 s1, s5, s1
	s_cbranch_execz .LBB325_16
	s_branch .LBB325_17
.LBB325_15:
                                        ; implicit-def: $sgpr0_sgpr1
.LBB325_16:
	s_lshl_b64 s[0:1], s[2:3], 2
	s_delay_alu instid0(SALU_CYCLE_1)
	s_add_u32 s0, s6, s0
	s_addc_u32 s1, s7, s1
.LBB325_17:
	v_mov_b32_e32 v0, 0
	s_waitcnt lgkmcnt(0)
	global_store_b32 v0, v2, s[0:1]
.LBB325_18:
	s_nop 0
	s_sendmsg sendmsg(MSG_DEALLOC_VGPRS)
	s_endpgm
	.section	.rodata,"a",@progbits
	.p2align	6, 0x0
	.amdhsa_kernel _ZL18rocblas_dot_kernelIlLb0ELi512ELi4ELb1EfPKPK16rocblas_bfloat16fEviT5_lT_lS5_lS6_liPT6_PT4_
		.amdhsa_group_segment_fixed_size 128
		.amdhsa_private_segment_fixed_size 0
		.amdhsa_kernarg_size 352
		.amdhsa_user_sgpr_count 14
		.amdhsa_user_sgpr_dispatch_ptr 0
		.amdhsa_user_sgpr_queue_ptr 0
		.amdhsa_user_sgpr_kernarg_segment_ptr 1
		.amdhsa_user_sgpr_dispatch_id 0
		.amdhsa_user_sgpr_private_segment_size 0
		.amdhsa_wavefront_size32 1
		.amdhsa_uses_dynamic_stack 0
		.amdhsa_enable_private_segment 0
		.amdhsa_system_sgpr_workgroup_id_x 1
		.amdhsa_system_sgpr_workgroup_id_y 0
		.amdhsa_system_sgpr_workgroup_id_z 1
		.amdhsa_system_sgpr_workgroup_info 0
		.amdhsa_system_vgpr_workitem_id 0
		.amdhsa_next_free_vgpr 12
		.amdhsa_next_free_sgpr 29
		.amdhsa_reserve_vcc 1
		.amdhsa_float_round_mode_32 0
		.amdhsa_float_round_mode_16_64 0
		.amdhsa_float_denorm_mode_32 3
		.amdhsa_float_denorm_mode_16_64 3
		.amdhsa_dx10_clamp 1
		.amdhsa_ieee_mode 1
		.amdhsa_fp16_overflow 0
		.amdhsa_workgroup_processor_mode 1
		.amdhsa_memory_ordered 1
		.amdhsa_forward_progress 0
		.amdhsa_shared_vgpr_count 0
		.amdhsa_exception_fp_ieee_invalid_op 0
		.amdhsa_exception_fp_denorm_src 0
		.amdhsa_exception_fp_ieee_div_zero 0
		.amdhsa_exception_fp_ieee_overflow 0
		.amdhsa_exception_fp_ieee_underflow 0
		.amdhsa_exception_fp_ieee_inexact 0
		.amdhsa_exception_int_div_zero 0
	.end_amdhsa_kernel
	.section	.text._ZL18rocblas_dot_kernelIlLb0ELi512ELi4ELb1EfPKPK16rocblas_bfloat16fEviT5_lT_lS5_lS6_liPT6_PT4_,"axG",@progbits,_ZL18rocblas_dot_kernelIlLb0ELi512ELi4ELb1EfPKPK16rocblas_bfloat16fEviT5_lT_lS5_lS6_liPT6_PT4_,comdat
.Lfunc_end325:
	.size	_ZL18rocblas_dot_kernelIlLb0ELi512ELi4ELb1EfPKPK16rocblas_bfloat16fEviT5_lT_lS5_lS6_liPT6_PT4_, .Lfunc_end325-_ZL18rocblas_dot_kernelIlLb0ELi512ELi4ELb1EfPKPK16rocblas_bfloat16fEviT5_lT_lS5_lS6_liPT6_PT4_
                                        ; -- End function
	.section	.AMDGPU.csdata,"",@progbits
; Kernel info:
; codeLenInByte = 1072
; NumSgprs: 31
; NumVgprs: 12
; ScratchSize: 0
; MemoryBound: 0
; FloatMode: 240
; IeeeMode: 1
; LDSByteSize: 128 bytes/workgroup (compile time only)
; SGPRBlocks: 3
; VGPRBlocks: 1
; NumSGPRsForWavesPerEU: 31
; NumVGPRsForWavesPerEU: 12
; Occupancy: 16
; WaveLimiterHint : 0
; COMPUTE_PGM_RSRC2:SCRATCH_EN: 0
; COMPUTE_PGM_RSRC2:USER_SGPR: 14
; COMPUTE_PGM_RSRC2:TRAP_HANDLER: 0
; COMPUTE_PGM_RSRC2:TGID_X_EN: 1
; COMPUTE_PGM_RSRC2:TGID_Y_EN: 0
; COMPUTE_PGM_RSRC2:TGID_Z_EN: 1
; COMPUTE_PGM_RSRC2:TIDIG_COMP_CNT: 0
	.section	.text._ZL24rocblas_dot_kernel_magsqIlLb0ELi512ELi4ELb1EfPKPK16rocblas_bfloat16fEviT5_lT_liPT6_PT4_,"axG",@progbits,_ZL24rocblas_dot_kernel_magsqIlLb0ELi512ELi4ELb1EfPKPK16rocblas_bfloat16fEviT5_lT_liPT6_PT4_,comdat
	.globl	_ZL24rocblas_dot_kernel_magsqIlLb0ELi512ELi4ELb1EfPKPK16rocblas_bfloat16fEviT5_lT_liPT6_PT4_ ; -- Begin function _ZL24rocblas_dot_kernel_magsqIlLb0ELi512ELi4ELb1EfPKPK16rocblas_bfloat16fEviT5_lT_liPT6_PT4_
	.p2align	8
	.type	_ZL24rocblas_dot_kernel_magsqIlLb0ELi512ELi4ELb1EfPKPK16rocblas_bfloat16fEviT5_lT_liPT6_PT4_,@function
_ZL24rocblas_dot_kernel_magsqIlLb0ELi512ELi4ELb1EfPKPK16rocblas_bfloat16fEviT5_lT_liPT6_PT4_: ; @_ZL24rocblas_dot_kernel_magsqIlLb0ELi512ELi4ELb1EfPKPK16rocblas_bfloat16fEviT5_lT_liPT6_PT4_
; %bb.0:
	s_clause 0x2
	s_load_b32 s11, s[0:1], 0x0
	s_load_b128 s[4:7], s[0:1], 0x30
	s_load_b32 s10, s[0:1], 0x40
	v_lshl_or_b32 v1, s14, 9, v0
	v_mov_b32_e32 v3, 0
	s_mov_b32 s8, s15
	s_mov_b32 s9, 0
	s_mov_b32 s12, exec_lo
	s_waitcnt lgkmcnt(0)
	v_cmpx_gt_i32_e64 s11, v1
	s_cbranch_execz .LBB326_4
; %bb.1:
	s_clause 0x1
	s_load_b64 s[16:17], s[0:1], 0x8
	s_load_b128 s[0:3], s[0:1], 0x10
	s_lshl_b64 s[18:19], s[8:9], 3
	v_ashrrev_i32_e32 v2, 31, v1
	s_waitcnt lgkmcnt(0)
	s_add_u32 s16, s16, s18
	s_addc_u32 s17, s17, s19
	v_mul_lo_u32 v4, s3, v1
	s_load_b64 s[16:17], s[16:17], 0x0
	v_mul_lo_u32 v2, s2, v2
	v_mad_u64_u32 v[5:6], null, s2, v1, 0
	s_lshl_b32 s13, s10, 9
	v_mov_b32_e32 v3, 0
	s_lshl_b64 s[0:1], s[0:1], 1
	s_mul_hi_u32 s15, s2, s13
	s_mul_i32 s3, s3, s13
	s_delay_alu instid0(VALU_DEP_2) | instskip(SKIP_1) | instid1(VALU_DEP_2)
	v_add3_u32 v6, v6, v2, v4
	v_add_nc_u32_e32 v4, s13, v1
	v_lshlrev_b64 v[1:2], 1, v[5:6]
	s_waitcnt lgkmcnt(0)
	s_add_u32 s0, s16, s0
	s_addc_u32 s1, s17, s1
	s_ashr_i32 s16, s13, 31
	s_delay_alu instid0(VALU_DEP_1)
	v_add_co_u32 v1, vcc_lo, s0, v1
	s_mul_i32 s16, s2, s16
	v_add_co_ci_u32_e32 v2, vcc_lo, s1, v2, vcc_lo
	s_add_i32 s15, s15, s16
	s_mul_i32 s2, s2, s13
	s_add_i32 s3, s15, s3
	s_mov_b32 s1, s9
	s_lshl_b64 s[2:3], s[2:3], 1
	s_mov_b32 s15, s9
	.p2align	6
.LBB326_2:                              ; =>This Inner Loop Header: Depth=1
	global_load_u16 v5, v[1:2], off
	s_add_i32 s16, s15, 1
	v_cmp_le_i32_e32 vcc_lo, s11, v4
	v_add_co_u32 v1, s0, v1, s2
	s_cmp_gt_u32 s15, 2
	v_add_co_ci_u32_e64 v2, s0, s3, v2, s0
	s_cselect_b32 s0, -1, 0
	s_mov_b32 s15, s16
	s_or_b32 s0, s0, vcc_lo
	s_delay_alu instid0(SALU_CYCLE_1) | instskip(NEXT) | instid1(SALU_CYCLE_1)
	s_and_b32 s0, exec_lo, s0
	s_or_b32 s1, s0, s1
	s_waitcnt vmcnt(0)
	v_lshlrev_b32_e32 v5, 16, v5
	s_delay_alu instid0(VALU_DEP_1)
	v_dual_fmac_f32 v3, v5, v5 :: v_dual_add_nc_u32 v4, s13, v4
	s_and_not1_b32 exec_lo, exec_lo, s1
	s_cbranch_execnz .LBB326_2
; %bb.3:
	s_or_b32 exec_lo, exec_lo, s1
.LBB326_4:
	s_delay_alu instid0(SALU_CYCLE_1) | instskip(SKIP_2) | instid1(VALU_DEP_2)
	s_or_b32 exec_lo, exec_lo, s12
	v_and_b32_e32 v2, 31, v0
	v_cmp_gt_u32_e32 vcc_lo, 32, v0
	v_lshlrev_b32_e32 v1, 2, v2
	s_and_saveexec_b32 s0, vcc_lo
	s_cbranch_execz .LBB326_6
; %bb.5:
	v_mov_b32_e32 v4, 0
	ds_store_b32 v1, v4
.LBB326_6:
	s_or_b32 exec_lo, exec_lo, s0
	v_mbcnt_lo_u32_b32 v6, -1, 0
	s_mov_b32 s1, exec_lo
	s_waitcnt lgkmcnt(0)
	s_barrier
	buffer_gl0_inv
	v_cmp_gt_u32_e64 s0, 16, v6
	s_delay_alu instid0(VALU_DEP_1) | instskip(SKIP_1) | instid1(VALU_DEP_2)
	v_cndmask_b32_e64 v4, 0, 1, s0
	v_cmp_gt_u32_e64 s0, 24, v6
	v_lshlrev_b32_e32 v4, 4, v4
	s_delay_alu instid0(VALU_DEP_1) | instskip(SKIP_4) | instid1(VALU_DEP_2)
	v_add_lshl_u32 v4, v4, v6, 2
	ds_bpermute_b32 v5, v4, v3
	v_cndmask_b32_e64 v4, 0, 1, s0
	v_cmp_gt_u32_e64 s0, 28, v6
	s_waitcnt lgkmcnt(0)
	v_dual_add_f32 v5, v3, v5 :: v_dual_lshlrev_b32 v4, 3, v4
	s_delay_alu instid0(VALU_DEP_2) | instskip(SKIP_1) | instid1(VALU_DEP_3)
	v_cndmask_b32_e64 v3, 0, 1, s0
	v_cmp_gt_u32_e64 s0, 30, v6
	v_add_lshl_u32 v4, v4, v6, 2
	s_delay_alu instid0(VALU_DEP_3)
	v_lshlrev_b32_e32 v3, 2, v3
	ds_bpermute_b32 v7, v4, v5
	v_add_lshl_u32 v3, v3, v6, 2
	s_waitcnt lgkmcnt(0)
	v_add_f32_e32 v7, v5, v7
	v_cndmask_b32_e64 v5, 0, 1, s0
	v_cmp_ne_u32_e64 s0, 31, v6
	ds_bpermute_b32 v8, v3, v7
	v_lshlrev_b32_e32 v5, 1, v5
	s_delay_alu instid0(VALU_DEP_1) | instskip(SKIP_2) | instid1(VALU_DEP_1)
	v_add_lshl_u32 v5, v5, v6, 2
	v_add_co_ci_u32_e64 v6, s0, 0, v6, s0
	s_waitcnt lgkmcnt(0)
	v_dual_add_f32 v7, v7, v8 :: v_dual_lshlrev_b32 v6, 2, v6
	ds_bpermute_b32 v8, v5, v7
	s_waitcnt lgkmcnt(0)
	v_add_f32_e32 v7, v7, v8
	ds_bpermute_b32 v8, v6, v7
	v_cmpx_eq_u32_e32 0, v2
	s_cbranch_execz .LBB326_8
; %bb.7:
	v_lshrrev_b32_e32 v2, 3, v0
	s_waitcnt lgkmcnt(0)
	s_delay_alu instid0(VALU_DEP_1)
	v_dual_add_f32 v7, v7, v8 :: v_dual_and_b32 v2, 60, v2
	ds_store_b32 v2, v7
.LBB326_8:
	s_or_b32 exec_lo, exec_lo, s1
	v_mov_b32_e32 v2, 0
	s_mov_b32 s1, exec_lo
	s_waitcnt lgkmcnt(0)
	s_barrier
	buffer_gl0_inv
	v_cmpx_gt_u32_e32 16, v0
	s_cbranch_execz .LBB326_10
; %bb.9:
	ds_load_b32 v2, v1
.LBB326_10:
	s_or_b32 exec_lo, exec_lo, s1
	s_and_saveexec_b32 s0, vcc_lo
	s_cbranch_execz .LBB326_12
; %bb.11:
	s_waitcnt lgkmcnt(0)
	ds_bpermute_b32 v1, v4, v2
	s_waitcnt lgkmcnt(0)
	v_add_f32_e32 v1, v2, v1
	ds_bpermute_b32 v2, v3, v1
	s_waitcnt lgkmcnt(0)
	v_add_f32_e32 v1, v1, v2
	;; [unrolled: 3-line block ×4, first 2 shown]
.LBB326_12:
	s_or_b32 exec_lo, exec_lo, s0
	s_delay_alu instid0(SALU_CYCLE_1)
	s_mov_b32 s0, exec_lo
	v_cmpx_eq_u32_e32 0, v0
	s_cbranch_execz .LBB326_18
; %bb.13:
	s_cmp_lg_u32 s10, 1
	s_cbranch_scc0 .LBB326_15
; %bb.14:
	s_mul_hi_u32 s1, s10, s8
	s_mul_i32 s0, s10, s8
	s_mov_b32 s15, 0
	s_lshl_b64 s[0:1], s[0:1], 2
	s_delay_alu instid0(SALU_CYCLE_1) | instskip(SKIP_2) | instid1(SALU_CYCLE_1)
	s_add_u32 s2, s4, s0
	s_addc_u32 s3, s5, s1
	s_lshl_b64 s[0:1], s[14:15], 2
	s_add_u32 s0, s2, s0
	s_addc_u32 s1, s3, s1
	s_cbranch_execz .LBB326_16
	s_branch .LBB326_17
.LBB326_15:
                                        ; implicit-def: $sgpr0_sgpr1
.LBB326_16:
	s_lshl_b64 s[0:1], s[8:9], 2
	s_delay_alu instid0(SALU_CYCLE_1)
	s_add_u32 s0, s6, s0
	s_addc_u32 s1, s7, s1
.LBB326_17:
	v_mov_b32_e32 v0, 0
	s_waitcnt lgkmcnt(0)
	global_store_b32 v0, v2, s[0:1]
.LBB326_18:
	s_nop 0
	s_sendmsg sendmsg(MSG_DEALLOC_VGPRS)
	s_endpgm
	.section	.rodata,"a",@progbits
	.p2align	6, 0x0
	.amdhsa_kernel _ZL24rocblas_dot_kernel_magsqIlLb0ELi512ELi4ELb1EfPKPK16rocblas_bfloat16fEviT5_lT_liPT6_PT4_
		.amdhsa_group_segment_fixed_size 128
		.amdhsa_private_segment_fixed_size 0
		.amdhsa_kernarg_size 320
		.amdhsa_user_sgpr_count 14
		.amdhsa_user_sgpr_dispatch_ptr 0
		.amdhsa_user_sgpr_queue_ptr 0
		.amdhsa_user_sgpr_kernarg_segment_ptr 1
		.amdhsa_user_sgpr_dispatch_id 0
		.amdhsa_user_sgpr_private_segment_size 0
		.amdhsa_wavefront_size32 1
		.amdhsa_uses_dynamic_stack 0
		.amdhsa_enable_private_segment 0
		.amdhsa_system_sgpr_workgroup_id_x 1
		.amdhsa_system_sgpr_workgroup_id_y 0
		.amdhsa_system_sgpr_workgroup_id_z 1
		.amdhsa_system_sgpr_workgroup_info 0
		.amdhsa_system_vgpr_workitem_id 0
		.amdhsa_next_free_vgpr 9
		.amdhsa_next_free_sgpr 20
		.amdhsa_reserve_vcc 1
		.amdhsa_float_round_mode_32 0
		.amdhsa_float_round_mode_16_64 0
		.amdhsa_float_denorm_mode_32 3
		.amdhsa_float_denorm_mode_16_64 3
		.amdhsa_dx10_clamp 1
		.amdhsa_ieee_mode 1
		.amdhsa_fp16_overflow 0
		.amdhsa_workgroup_processor_mode 1
		.amdhsa_memory_ordered 1
		.amdhsa_forward_progress 0
		.amdhsa_shared_vgpr_count 0
		.amdhsa_exception_fp_ieee_invalid_op 0
		.amdhsa_exception_fp_denorm_src 0
		.amdhsa_exception_fp_ieee_div_zero 0
		.amdhsa_exception_fp_ieee_overflow 0
		.amdhsa_exception_fp_ieee_underflow 0
		.amdhsa_exception_fp_ieee_inexact 0
		.amdhsa_exception_int_div_zero 0
	.end_amdhsa_kernel
	.section	.text._ZL24rocblas_dot_kernel_magsqIlLb0ELi512ELi4ELb1EfPKPK16rocblas_bfloat16fEviT5_lT_liPT6_PT4_,"axG",@progbits,_ZL24rocblas_dot_kernel_magsqIlLb0ELi512ELi4ELb1EfPKPK16rocblas_bfloat16fEviT5_lT_liPT6_PT4_,comdat
.Lfunc_end326:
	.size	_ZL24rocblas_dot_kernel_magsqIlLb0ELi512ELi4ELb1EfPKPK16rocblas_bfloat16fEviT5_lT_liPT6_PT4_, .Lfunc_end326-_ZL24rocblas_dot_kernel_magsqIlLb0ELi512ELi4ELb1EfPKPK16rocblas_bfloat16fEviT5_lT_liPT6_PT4_
                                        ; -- End function
	.section	.AMDGPU.csdata,"",@progbits
; Kernel info:
; codeLenInByte = 912
; NumSgprs: 22
; NumVgprs: 9
; ScratchSize: 0
; MemoryBound: 0
; FloatMode: 240
; IeeeMode: 1
; LDSByteSize: 128 bytes/workgroup (compile time only)
; SGPRBlocks: 2
; VGPRBlocks: 1
; NumSGPRsForWavesPerEU: 22
; NumVGPRsForWavesPerEU: 9
; Occupancy: 16
; WaveLimiterHint : 0
; COMPUTE_PGM_RSRC2:SCRATCH_EN: 0
; COMPUTE_PGM_RSRC2:USER_SGPR: 14
; COMPUTE_PGM_RSRC2:TRAP_HANDLER: 0
; COMPUTE_PGM_RSRC2:TGID_X_EN: 1
; COMPUTE_PGM_RSRC2:TGID_Y_EN: 0
; COMPUTE_PGM_RSRC2:TGID_Z_EN: 1
; COMPUTE_PGM_RSRC2:TIDIG_COMP_CNT: 0
	.section	.text._ZL28rocblas_dot_batched_4_kernelIlLi32ELi4ELb0EffPKDF16_EviT5_lT_lS2_lS3_liPT4_,"axG",@progbits,_ZL28rocblas_dot_batched_4_kernelIlLi32ELi4ELb0EffPKDF16_EviT5_lT_lS2_lS3_liPT4_,comdat
	.globl	_ZL28rocblas_dot_batched_4_kernelIlLi32ELi4ELb0EffPKDF16_EviT5_lT_lS2_lS3_liPT4_ ; -- Begin function _ZL28rocblas_dot_batched_4_kernelIlLi32ELi4ELb0EffPKDF16_EviT5_lT_lS2_lS3_liPT4_
	.p2align	8
	.type	_ZL28rocblas_dot_batched_4_kernelIlLi32ELi4ELb0EffPKDF16_EviT5_lT_lS2_lS3_liPT4_,@function
_ZL28rocblas_dot_batched_4_kernelIlLi32ELi4ELb0EffPKDF16_EviT5_lT_lS2_lS3_liPT4_: ; @_ZL28rocblas_dot_batched_4_kernelIlLi32ELi4ELb0EffPKDF16_EviT5_lT_lS2_lS3_liPT4_
; %bb.0:
	s_load_b32 s2, s[0:1], 0x48
	v_bfe_u32 v1, v0, 10, 10
	s_delay_alu instid0(VALU_DEP_1) | instskip(SKIP_1) | instid1(VALU_DEP_1)
	v_lshl_add_u32 v1, s15, 2, v1
	s_waitcnt lgkmcnt(0)
	v_cmp_gt_u32_e32 vcc_lo, s2, v1
	s_and_saveexec_b32 s2, vcc_lo
	s_cbranch_execz .LBB327_7
; %bb.1:
	s_clause 0x1
	s_load_b32 s16, s[0:1], 0x0
	s_load_b64 s[2:3], s[0:1], 0x50
	v_mov_b32_e32 v2, 0
	v_and_b32_e32 v0, 0x3ff, v0
	s_mov_b32 s17, exec_lo
	s_delay_alu instid0(VALU_DEP_2) | instskip(SKIP_1) | instid1(VALU_DEP_2)
	v_mov_b32_e32 v7, v2
	s_waitcnt lgkmcnt(0)
	v_cmpx_gt_i32_e64 s16, v0
	s_cbranch_execz .LBB327_5
; %bb.2:
	s_clause 0x3
	s_load_b128 s[12:15], s[0:1], 0x10
	s_load_b256 s[4:11], s[0:1], 0x20
	s_load_b64 s[18:19], s[0:1], 0x40
	s_load_b64 s[0:1], s[0:1], 0x8
	s_waitcnt lgkmcnt(0)
	v_mad_u64_u32 v[3:4], null, s14, v0, 0
	v_mad_u64_u32 v[5:6], null, s4, v1, 0
	;; [unrolled: 1-line block ×4, first 2 shown]
	s_lshl_b64 s[12:13], s[12:13], 1
	s_delay_alu instid0(VALU_DEP_3) | instskip(SKIP_4) | instid1(VALU_DEP_2)
	v_mad_u64_u32 v[12:13], null, s15, v0, v[4:5]
	v_mov_b32_e32 v7, 0
	s_add_u32 s12, s0, s12
	s_addc_u32 s13, s1, s13
	s_lshl_b64 s[0:1], s[8:9], 1
	v_mov_b32_e32 v4, v12
	v_mad_u64_u32 v[13:14], null, s5, v1, v[6:7]
	v_mad_u64_u32 v[14:15], null, s11, v0, v[9:10]
	;; [unrolled: 1-line block ×3, first 2 shown]
	s_delay_alu instid0(VALU_DEP_4) | instskip(SKIP_1) | instid1(VALU_DEP_4)
	v_lshlrev_b64 v[3:4], 1, v[3:4]
	s_lshl_b64 s[4:5], s[14:15], 6
	v_mov_b32_e32 v6, v13
	s_add_u32 s0, s6, s0
	s_delay_alu instid0(VALU_DEP_4) | instskip(SKIP_1) | instid1(VALU_DEP_4)
	v_mov_b32_e32 v9, v14
	s_addc_u32 s1, s7, s1
	v_mov_b32_e32 v11, v15
	v_lshlrev_b64 v[5:6], 1, v[5:6]
	s_lshl_b64 s[6:7], s[10:11], 6
	v_lshlrev_b64 v[8:9], 1, v[8:9]
	s_delay_alu instid0(VALU_DEP_3) | instskip(NEXT) | instid1(VALU_DEP_3)
	v_lshlrev_b64 v[10:11], 1, v[10:11]
	v_add_co_u32 v3, vcc_lo, v3, v5
	s_delay_alu instid0(VALU_DEP_4) | instskip(NEXT) | instid1(VALU_DEP_3)
	v_add_co_ci_u32_e32 v4, vcc_lo, v4, v6, vcc_lo
	v_add_co_u32 v5, vcc_lo, v8, v10
	v_mov_b32_e32 v8, v0
	v_add_co_ci_u32_e32 v6, vcc_lo, v9, v11, vcc_lo
	v_add_co_u32 v3, vcc_lo, s12, v3
	v_add_co_ci_u32_e32 v4, vcc_lo, s13, v4, vcc_lo
	v_add_co_u32 v5, vcc_lo, s0, v5
	s_delay_alu instid0(VALU_DEP_4)
	v_add_co_ci_u32_e32 v6, vcc_lo, s1, v6, vcc_lo
	s_mov_b32 s1, 0
	.p2align	6
.LBB327_3:                              ; =>This Inner Loop Header: Depth=1
	global_load_u16 v9, v[3:4], off
	global_load_u16 v10, v[5:6], off
	v_add_nc_u32_e32 v8, 32, v8
	v_add_co_u32 v3, vcc_lo, v3, s4
	v_add_co_ci_u32_e32 v4, vcc_lo, s5, v4, vcc_lo
	v_add_co_u32 v5, vcc_lo, v5, s6
	s_delay_alu instid0(VALU_DEP_4) | instskip(SKIP_1) | instid1(VALU_DEP_2)
	v_cmp_le_i32_e64 s0, s16, v8
	v_add_co_ci_u32_e32 v6, vcc_lo, s7, v6, vcc_lo
	s_or_b32 s1, s0, s1
	s_waitcnt vmcnt(0)
	v_fma_mix_f32 v7, v9, v10, v7 op_sel_hi:[1,1,0]
	s_and_not1_b32 exec_lo, exec_lo, s1
	s_cbranch_execnz .LBB327_3
; %bb.4:
	s_or_b32 exec_lo, exec_lo, s1
.LBB327_5:
	s_delay_alu instid0(SALU_CYCLE_1)
	s_or_b32 exec_lo, exec_lo, s17
	v_mbcnt_lo_u32_b32 v3, -1, 0
	s_barrier
	buffer_gl0_inv
	v_cmp_gt_u32_e32 vcc_lo, 16, v3
	v_cndmask_b32_e64 v4, 0, 1, vcc_lo
	v_cmp_gt_u32_e32 vcc_lo, 24, v3
	s_delay_alu instid0(VALU_DEP_2) | instskip(SKIP_2) | instid1(VALU_DEP_3)
	v_lshlrev_b32_e32 v4, 4, v4
	v_cndmask_b32_e64 v5, 0, 1, vcc_lo
	v_cmp_gt_u32_e32 vcc_lo, 28, v3
	v_add_lshl_u32 v4, v4, v3, 2
	v_cndmask_b32_e64 v6, 0, 1, vcc_lo
	v_cmp_gt_u32_e32 vcc_lo, 30, v3
	ds_bpermute_b32 v4, v4, v7
	v_lshlrev_b32_e32 v5, 3, v5
	v_lshlrev_b32_e32 v6, 2, v6
	s_delay_alu instid0(VALU_DEP_1)
	v_add_lshl_u32 v6, v6, v3, 2
	s_waitcnt lgkmcnt(0)
	v_add_f32_e32 v4, v7, v4
	v_add_lshl_u32 v5, v5, v3, 2
	ds_bpermute_b32 v5, v5, v4
	s_waitcnt lgkmcnt(0)
	v_add_f32_e32 v4, v4, v5
	ds_bpermute_b32 v5, v6, v4
	v_cndmask_b32_e64 v6, 0, 1, vcc_lo
	v_cmp_ne_u32_e32 vcc_lo, 31, v3
	s_delay_alu instid0(VALU_DEP_2) | instskip(NEXT) | instid1(VALU_DEP_1)
	v_lshlrev_b32_e32 v6, 1, v6
	v_add_lshl_u32 v6, v6, v3, 2
	s_waitcnt lgkmcnt(0)
	v_add_f32_e32 v4, v4, v5
	ds_bpermute_b32 v5, v6, v4
	v_add_co_ci_u32_e32 v6, vcc_lo, 0, v3, vcc_lo
	v_cmp_eq_u32_e32 vcc_lo, 0, v0
	s_waitcnt lgkmcnt(0)
	s_delay_alu instid0(VALU_DEP_2)
	v_dual_add_f32 v3, v4, v5 :: v_dual_lshlrev_b32 v4, 2, v6
	ds_bpermute_b32 v4, v4, v3
	s_and_b32 exec_lo, exec_lo, vcc_lo
	s_cbranch_execz .LBB327_7
; %bb.6:
	v_lshlrev_b64 v[0:1], 2, v[1:2]
	s_waitcnt lgkmcnt(0)
	v_add_f32_e32 v2, v3, v4
	s_delay_alu instid0(VALU_DEP_2) | instskip(NEXT) | instid1(VALU_DEP_3)
	v_add_co_u32 v0, vcc_lo, s2, v0
	v_add_co_ci_u32_e32 v1, vcc_lo, s3, v1, vcc_lo
	global_store_b32 v[0:1], v2, off
.LBB327_7:
	s_nop 0
	s_sendmsg sendmsg(MSG_DEALLOC_VGPRS)
	s_endpgm
	.section	.rodata,"a",@progbits
	.p2align	6, 0x0
	.amdhsa_kernel _ZL28rocblas_dot_batched_4_kernelIlLi32ELi4ELb0EffPKDF16_EviT5_lT_lS2_lS3_liPT4_
		.amdhsa_group_segment_fixed_size 0
		.amdhsa_private_segment_fixed_size 0
		.amdhsa_kernarg_size 88
		.amdhsa_user_sgpr_count 15
		.amdhsa_user_sgpr_dispatch_ptr 0
		.amdhsa_user_sgpr_queue_ptr 0
		.amdhsa_user_sgpr_kernarg_segment_ptr 1
		.amdhsa_user_sgpr_dispatch_id 0
		.amdhsa_user_sgpr_private_segment_size 0
		.amdhsa_wavefront_size32 1
		.amdhsa_uses_dynamic_stack 0
		.amdhsa_enable_private_segment 0
		.amdhsa_system_sgpr_workgroup_id_x 1
		.amdhsa_system_sgpr_workgroup_id_y 0
		.amdhsa_system_sgpr_workgroup_id_z 0
		.amdhsa_system_sgpr_workgroup_info 0
		.amdhsa_system_vgpr_workitem_id 1
		.amdhsa_next_free_vgpr 17
		.amdhsa_next_free_sgpr 20
		.amdhsa_reserve_vcc 1
		.amdhsa_float_round_mode_32 0
		.amdhsa_float_round_mode_16_64 0
		.amdhsa_float_denorm_mode_32 3
		.amdhsa_float_denorm_mode_16_64 3
		.amdhsa_dx10_clamp 1
		.amdhsa_ieee_mode 1
		.amdhsa_fp16_overflow 0
		.amdhsa_workgroup_processor_mode 1
		.amdhsa_memory_ordered 1
		.amdhsa_forward_progress 0
		.amdhsa_shared_vgpr_count 0
		.amdhsa_exception_fp_ieee_invalid_op 0
		.amdhsa_exception_fp_denorm_src 0
		.amdhsa_exception_fp_ieee_div_zero 0
		.amdhsa_exception_fp_ieee_overflow 0
		.amdhsa_exception_fp_ieee_underflow 0
		.amdhsa_exception_fp_ieee_inexact 0
		.amdhsa_exception_int_div_zero 0
	.end_amdhsa_kernel
	.section	.text._ZL28rocblas_dot_batched_4_kernelIlLi32ELi4ELb0EffPKDF16_EviT5_lT_lS2_lS3_liPT4_,"axG",@progbits,_ZL28rocblas_dot_batched_4_kernelIlLi32ELi4ELb0EffPKDF16_EviT5_lT_lS2_lS3_liPT4_,comdat
.Lfunc_end327:
	.size	_ZL28rocblas_dot_batched_4_kernelIlLi32ELi4ELb0EffPKDF16_EviT5_lT_lS2_lS3_liPT4_, .Lfunc_end327-_ZL28rocblas_dot_batched_4_kernelIlLi32ELi4ELb0EffPKDF16_EviT5_lT_lS2_lS3_liPT4_
                                        ; -- End function
	.section	.AMDGPU.csdata,"",@progbits
; Kernel info:
; codeLenInByte = 744
; NumSgprs: 22
; NumVgprs: 17
; ScratchSize: 0
; MemoryBound: 0
; FloatMode: 240
; IeeeMode: 1
; LDSByteSize: 0 bytes/workgroup (compile time only)
; SGPRBlocks: 2
; VGPRBlocks: 2
; NumSGPRsForWavesPerEU: 22
; NumVGPRsForWavesPerEU: 17
; Occupancy: 16
; WaveLimiterHint : 0
; COMPUTE_PGM_RSRC2:SCRATCH_EN: 0
; COMPUTE_PGM_RSRC2:USER_SGPR: 15
; COMPUTE_PGM_RSRC2:TRAP_HANDLER: 0
; COMPUTE_PGM_RSRC2:TGID_X_EN: 1
; COMPUTE_PGM_RSRC2:TGID_Y_EN: 0
; COMPUTE_PGM_RSRC2:TGID_Z_EN: 0
; COMPUTE_PGM_RSRC2:TIDIG_COMP_CNT: 1
	.section	.text._ZL28rocblas_dot_batched_4_kernelIlLi64ELi4ELb0EffPKDF16_EviT5_lT_lS2_lS3_liPT4_,"axG",@progbits,_ZL28rocblas_dot_batched_4_kernelIlLi64ELi4ELb0EffPKDF16_EviT5_lT_lS2_lS3_liPT4_,comdat
	.globl	_ZL28rocblas_dot_batched_4_kernelIlLi64ELi4ELb0EffPKDF16_EviT5_lT_lS2_lS3_liPT4_ ; -- Begin function _ZL28rocblas_dot_batched_4_kernelIlLi64ELi4ELb0EffPKDF16_EviT5_lT_lS2_lS3_liPT4_
	.p2align	8
	.type	_ZL28rocblas_dot_batched_4_kernelIlLi64ELi4ELb0EffPKDF16_EviT5_lT_lS2_lS3_liPT4_,@function
_ZL28rocblas_dot_batched_4_kernelIlLi64ELi4ELb0EffPKDF16_EviT5_lT_lS2_lS3_liPT4_: ; @_ZL28rocblas_dot_batched_4_kernelIlLi64ELi4ELb0EffPKDF16_EviT5_lT_lS2_lS3_liPT4_
; %bb.0:
	s_load_b32 s2, s[0:1], 0x48
	v_bfe_u32 v1, v0, 10, 10
	s_delay_alu instid0(VALU_DEP_1) | instskip(SKIP_1) | instid1(VALU_DEP_1)
	v_lshl_add_u32 v1, s15, 2, v1
	s_waitcnt lgkmcnt(0)
	v_cmp_gt_u32_e32 vcc_lo, s2, v1
	s_and_saveexec_b32 s2, vcc_lo
	s_cbranch_execz .LBB328_7
; %bb.1:
	s_clause 0x1
	s_load_b32 s16, s[0:1], 0x0
	s_load_b64 s[2:3], s[0:1], 0x50
	v_mov_b32_e32 v2, 0
	v_and_b32_e32 v0, 0x3ff, v0
	s_mov_b32 s17, exec_lo
	s_delay_alu instid0(VALU_DEP_2) | instskip(SKIP_1) | instid1(VALU_DEP_2)
	v_mov_b32_e32 v7, v2
	s_waitcnt lgkmcnt(0)
	v_cmpx_gt_i32_e64 s16, v0
	s_cbranch_execz .LBB328_5
; %bb.2:
	s_clause 0x3
	s_load_b128 s[12:15], s[0:1], 0x10
	s_load_b256 s[4:11], s[0:1], 0x20
	s_load_b64 s[18:19], s[0:1], 0x40
	s_load_b64 s[0:1], s[0:1], 0x8
	s_waitcnt lgkmcnt(0)
	v_mad_u64_u32 v[3:4], null, s14, v0, 0
	v_mad_u64_u32 v[5:6], null, s4, v1, 0
	;; [unrolled: 1-line block ×4, first 2 shown]
	s_lshl_b64 s[12:13], s[12:13], 1
	s_delay_alu instid0(VALU_DEP_3) | instskip(SKIP_4) | instid1(VALU_DEP_2)
	v_mad_u64_u32 v[12:13], null, s15, v0, v[4:5]
	v_mov_b32_e32 v7, 0
	s_add_u32 s12, s0, s12
	s_addc_u32 s13, s1, s13
	s_lshl_b64 s[0:1], s[8:9], 1
	v_mov_b32_e32 v4, v12
	v_mad_u64_u32 v[13:14], null, s5, v1, v[6:7]
	v_mad_u64_u32 v[14:15], null, s11, v0, v[9:10]
	;; [unrolled: 1-line block ×3, first 2 shown]
	s_delay_alu instid0(VALU_DEP_4) | instskip(SKIP_1) | instid1(VALU_DEP_4)
	v_lshlrev_b64 v[3:4], 1, v[3:4]
	s_lshl_b64 s[4:5], s[14:15], 7
	v_mov_b32_e32 v6, v13
	s_add_u32 s0, s6, s0
	s_delay_alu instid0(VALU_DEP_4) | instskip(SKIP_1) | instid1(VALU_DEP_4)
	v_mov_b32_e32 v9, v14
	s_addc_u32 s1, s7, s1
	v_mov_b32_e32 v11, v15
	v_lshlrev_b64 v[5:6], 1, v[5:6]
	s_lshl_b64 s[6:7], s[10:11], 7
	v_lshlrev_b64 v[8:9], 1, v[8:9]
	s_delay_alu instid0(VALU_DEP_3) | instskip(NEXT) | instid1(VALU_DEP_3)
	v_lshlrev_b64 v[10:11], 1, v[10:11]
	v_add_co_u32 v3, vcc_lo, v3, v5
	s_delay_alu instid0(VALU_DEP_4) | instskip(NEXT) | instid1(VALU_DEP_3)
	v_add_co_ci_u32_e32 v4, vcc_lo, v4, v6, vcc_lo
	v_add_co_u32 v5, vcc_lo, v8, v10
	v_mov_b32_e32 v8, v0
	v_add_co_ci_u32_e32 v6, vcc_lo, v9, v11, vcc_lo
	v_add_co_u32 v3, vcc_lo, s12, v3
	v_add_co_ci_u32_e32 v4, vcc_lo, s13, v4, vcc_lo
	v_add_co_u32 v5, vcc_lo, s0, v5
	s_delay_alu instid0(VALU_DEP_4)
	v_add_co_ci_u32_e32 v6, vcc_lo, s1, v6, vcc_lo
	s_mov_b32 s1, 0
	.p2align	6
.LBB328_3:                              ; =>This Inner Loop Header: Depth=1
	global_load_u16 v9, v[3:4], off
	global_load_u16 v10, v[5:6], off
	v_add_nc_u32_e32 v8, 64, v8
	v_add_co_u32 v3, vcc_lo, v3, s4
	v_add_co_ci_u32_e32 v4, vcc_lo, s5, v4, vcc_lo
	v_add_co_u32 v5, vcc_lo, v5, s6
	s_delay_alu instid0(VALU_DEP_4) | instskip(SKIP_1) | instid1(VALU_DEP_2)
	v_cmp_le_i32_e64 s0, s16, v8
	v_add_co_ci_u32_e32 v6, vcc_lo, s7, v6, vcc_lo
	s_or_b32 s1, s0, s1
	s_waitcnt vmcnt(0)
	v_fma_mix_f32 v7, v9, v10, v7 op_sel_hi:[1,1,0]
	s_and_not1_b32 exec_lo, exec_lo, s1
	s_cbranch_execnz .LBB328_3
; %bb.4:
	s_or_b32 exec_lo, exec_lo, s1
.LBB328_5:
	s_delay_alu instid0(SALU_CYCLE_1)
	s_or_b32 exec_lo, exec_lo, s17
	v_mbcnt_lo_u32_b32 v3, -1, 0
	s_barrier
	buffer_gl0_inv
	v_lshlrev_b32_e32 v4, 2, v3
	v_cmp_gt_u32_e32 vcc_lo, 16, v3
	ds_bpermute_b32 v4, v4, v7
	v_cndmask_b32_e64 v5, 0, 1, vcc_lo
	v_cmp_gt_u32_e32 vcc_lo, 24, v3
	s_delay_alu instid0(VALU_DEP_2) | instskip(SKIP_2) | instid1(VALU_DEP_2)
	v_lshlrev_b32_e32 v5, 4, v5
	v_cndmask_b32_e64 v6, 0, 1, vcc_lo
	v_cmp_gt_u32_e32 vcc_lo, 28, v3
	v_lshlrev_b32_e32 v6, 3, v6
	s_delay_alu instid0(VALU_DEP_1)
	v_add_lshl_u32 v6, v6, v3, 2
	s_waitcnt lgkmcnt(0)
	v_add_f32_e32 v4, v7, v4
	v_add_lshl_u32 v5, v5, v3, 2
	ds_bpermute_b32 v5, v5, v4
	s_waitcnt lgkmcnt(0)
	v_add_f32_e32 v4, v4, v5
	ds_bpermute_b32 v5, v6, v4
	v_cndmask_b32_e64 v6, 0, 1, vcc_lo
	v_cmp_gt_u32_e32 vcc_lo, 30, v3
	s_delay_alu instid0(VALU_DEP_2) | instskip(NEXT) | instid1(VALU_DEP_1)
	v_lshlrev_b32_e32 v6, 2, v6
	v_add_lshl_u32 v6, v6, v3, 2
	s_waitcnt lgkmcnt(0)
	v_add_f32_e32 v4, v4, v5
	ds_bpermute_b32 v5, v6, v4
	v_cndmask_b32_e64 v6, 0, 1, vcc_lo
	v_cmp_ne_u32_e32 vcc_lo, 31, v3
	s_delay_alu instid0(VALU_DEP_2) | instskip(NEXT) | instid1(VALU_DEP_1)
	v_lshlrev_b32_e32 v6, 1, v6
	v_add_lshl_u32 v6, v6, v3, 2
	s_waitcnt lgkmcnt(0)
	v_add_f32_e32 v4, v4, v5
	ds_bpermute_b32 v5, v6, v4
	v_add_co_ci_u32_e32 v6, vcc_lo, 0, v3, vcc_lo
	v_cmp_eq_u32_e32 vcc_lo, 0, v0
	s_waitcnt lgkmcnt(0)
	s_delay_alu instid0(VALU_DEP_2)
	v_dual_add_f32 v3, v4, v5 :: v_dual_lshlrev_b32 v4, 2, v6
	ds_bpermute_b32 v4, v4, v3
	s_and_b32 exec_lo, exec_lo, vcc_lo
	s_cbranch_execz .LBB328_7
; %bb.6:
	v_lshlrev_b64 v[0:1], 2, v[1:2]
	s_waitcnt lgkmcnt(0)
	v_add_f32_e32 v2, v3, v4
	s_delay_alu instid0(VALU_DEP_2) | instskip(NEXT) | instid1(VALU_DEP_3)
	v_add_co_u32 v0, vcc_lo, s2, v0
	v_add_co_ci_u32_e32 v1, vcc_lo, s3, v1, vcc_lo
	global_store_b32 v[0:1], v2, off
.LBB328_7:
	s_nop 0
	s_sendmsg sendmsg(MSG_DEALLOC_VGPRS)
	s_endpgm
	.section	.rodata,"a",@progbits
	.p2align	6, 0x0
	.amdhsa_kernel _ZL28rocblas_dot_batched_4_kernelIlLi64ELi4ELb0EffPKDF16_EviT5_lT_lS2_lS3_liPT4_
		.amdhsa_group_segment_fixed_size 0
		.amdhsa_private_segment_fixed_size 0
		.amdhsa_kernarg_size 88
		.amdhsa_user_sgpr_count 15
		.amdhsa_user_sgpr_dispatch_ptr 0
		.amdhsa_user_sgpr_queue_ptr 0
		.amdhsa_user_sgpr_kernarg_segment_ptr 1
		.amdhsa_user_sgpr_dispatch_id 0
		.amdhsa_user_sgpr_private_segment_size 0
		.amdhsa_wavefront_size32 1
		.amdhsa_uses_dynamic_stack 0
		.amdhsa_enable_private_segment 0
		.amdhsa_system_sgpr_workgroup_id_x 1
		.amdhsa_system_sgpr_workgroup_id_y 0
		.amdhsa_system_sgpr_workgroup_id_z 0
		.amdhsa_system_sgpr_workgroup_info 0
		.amdhsa_system_vgpr_workitem_id 1
		.amdhsa_next_free_vgpr 17
		.amdhsa_next_free_sgpr 20
		.amdhsa_reserve_vcc 1
		.amdhsa_float_round_mode_32 0
		.amdhsa_float_round_mode_16_64 0
		.amdhsa_float_denorm_mode_32 3
		.amdhsa_float_denorm_mode_16_64 3
		.amdhsa_dx10_clamp 1
		.amdhsa_ieee_mode 1
		.amdhsa_fp16_overflow 0
		.amdhsa_workgroup_processor_mode 1
		.amdhsa_memory_ordered 1
		.amdhsa_forward_progress 0
		.amdhsa_shared_vgpr_count 0
		.amdhsa_exception_fp_ieee_invalid_op 0
		.amdhsa_exception_fp_denorm_src 0
		.amdhsa_exception_fp_ieee_div_zero 0
		.amdhsa_exception_fp_ieee_overflow 0
		.amdhsa_exception_fp_ieee_underflow 0
		.amdhsa_exception_fp_ieee_inexact 0
		.amdhsa_exception_int_div_zero 0
	.end_amdhsa_kernel
	.section	.text._ZL28rocblas_dot_batched_4_kernelIlLi64ELi4ELb0EffPKDF16_EviT5_lT_lS2_lS3_liPT4_,"axG",@progbits,_ZL28rocblas_dot_batched_4_kernelIlLi64ELi4ELb0EffPKDF16_EviT5_lT_lS2_lS3_liPT4_,comdat
.Lfunc_end328:
	.size	_ZL28rocblas_dot_batched_4_kernelIlLi64ELi4ELb0EffPKDF16_EviT5_lT_lS2_lS3_liPT4_, .Lfunc_end328-_ZL28rocblas_dot_batched_4_kernelIlLi64ELi4ELb0EffPKDF16_EviT5_lT_lS2_lS3_liPT4_
                                        ; -- End function
	.section	.AMDGPU.csdata,"",@progbits
; Kernel info:
; codeLenInByte = 768
; NumSgprs: 22
; NumVgprs: 17
; ScratchSize: 0
; MemoryBound: 0
; FloatMode: 240
; IeeeMode: 1
; LDSByteSize: 0 bytes/workgroup (compile time only)
; SGPRBlocks: 2
; VGPRBlocks: 2
; NumSGPRsForWavesPerEU: 22
; NumVGPRsForWavesPerEU: 17
; Occupancy: 16
; WaveLimiterHint : 0
; COMPUTE_PGM_RSRC2:SCRATCH_EN: 0
; COMPUTE_PGM_RSRC2:USER_SGPR: 15
; COMPUTE_PGM_RSRC2:TRAP_HANDLER: 0
; COMPUTE_PGM_RSRC2:TGID_X_EN: 1
; COMPUTE_PGM_RSRC2:TGID_Y_EN: 0
; COMPUTE_PGM_RSRC2:TGID_Z_EN: 0
; COMPUTE_PGM_RSRC2:TIDIG_COMP_CNT: 1
	.section	.text._ZL26rocblas_dot_kernel_inc1by2ILb1ELi1024ELi32ELb0EfPKDF16_fEviT4_llS2_lliPT5_PT3_,"axG",@progbits,_ZL26rocblas_dot_kernel_inc1by2ILb1ELi1024ELi32ELb0EfPKDF16_fEviT4_llS2_lliPT5_PT3_,comdat
	.globl	_ZL26rocblas_dot_kernel_inc1by2ILb1ELi1024ELi32ELb0EfPKDF16_fEviT4_llS2_lliPT5_PT3_ ; -- Begin function _ZL26rocblas_dot_kernel_inc1by2ILb1ELi1024ELi32ELb0EfPKDF16_fEviT4_llS2_lliPT5_PT3_
	.p2align	8
	.type	_ZL26rocblas_dot_kernel_inc1by2ILb1ELi1024ELi32ELb0EfPKDF16_fEviT4_llS2_lliPT5_PT3_,@function
_ZL26rocblas_dot_kernel_inc1by2ILb1ELi1024ELi32ELb0EfPKDF16_fEviT4_llS2_lliPT5_PT3_: ; @_ZL26rocblas_dot_kernel_inc1by2ILb1ELi1024ELi32ELb0EfPKDF16_fEviT4_llS2_lliPT5_PT3_
; %bb.0:
	s_mov_b32 s2, s15
	s_clause 0x5
	s_load_b128 s[8:11], s[0:1], 0x10
	s_load_b128 s[4:7], s[0:1], 0x28
	s_load_b32 s17, s[0:1], 0x0
	s_load_b64 s[12:13], s[0:1], 0x48
	s_load_b64 s[14:15], s[0:1], 0x8
	;; [unrolled: 1-line block ×3, first 2 shown]
	v_dual_mov_b32 v5, 0 :: v_dual_lshlrev_b32 v6, 1, v0
	s_mov_b32 s3, 0
	s_waitcnt lgkmcnt(0)
	s_mul_i32 s11, s2, s11
	s_mul_hi_u32 s18, s2, s10
	s_mul_i32 s7, s2, s7
	s_mul_hi_u32 s19, s2, s6
	s_add_i32 s16, s17, -1
	s_add_i32 s11, s18, s11
	s_mul_i32 s10, s2, s10
	s_add_i32 s7, s19, s7
	s_mul_i32 s6, s2, s6
	s_mov_b32 s18, exec_lo
	v_cmpx_gt_i32_e64 s16, v6
	s_cbranch_execz .LBB329_4
; %bb.1:
	s_lshl_b64 s[22:23], s[4:5], 1
	s_lshl_b64 s[20:21], s[6:7], 1
	v_lshlrev_b32_e32 v3, 2, v0
	s_add_u32 s19, s0, s22
	s_addc_u32 s22, s1, s23
	s_add_u32 s19, s19, s20
	s_addc_u32 s20, s22, s21
	v_add_co_u32 v1, s19, s19, v3
	s_delay_alu instid0(VALU_DEP_1)
	v_add_co_ci_u32_e64 v2, null, s20, 0, s19
	s_lshl_b64 s[20:21], s[8:9], 1
	s_lshl_b64 s[22:23], s[10:11], 1
	s_add_u32 s19, s14, s20
	s_addc_u32 s20, s15, s21
	s_add_u32 s19, s19, s22
	s_addc_u32 s20, s20, s23
	v_add_co_u32 v3, s19, s19, v3
	v_mov_b32_e32 v5, 0
	v_add_co_ci_u32_e64 v4, null, s20, 0, s19
	s_mov_b32 s19, s3
	s_mov_b32 s20, s3
	.p2align	6
.LBB329_2:                              ; =>This Inner Loop Header: Depth=1
	global_load_b32 v7, v[1:2], off
	global_load_b32 v8, v[3:4], off
	v_add_co_u32 v1, vcc_lo, 0x1000, v1
	v_add_nc_u32_e32 v6, 0x800, v6
	v_add_co_ci_u32_e32 v2, vcc_lo, 0, v2, vcc_lo
	v_add_co_u32 v3, vcc_lo, 0x1000, v3
	v_add_co_ci_u32_e32 v4, vcc_lo, 0, v4, vcc_lo
	s_add_i32 s21, s20, 1
	s_cmp_gt_u32 s20, 30
	s_cselect_b32 s20, -1, 0
	s_waitcnt vmcnt(0)
	v_dot2acc_f32_f16 v5, v7, v8
	v_cmp_le_i32_e32 vcc_lo, s16, v6
	s_or_b32 s20, s20, vcc_lo
	s_delay_alu instid0(SALU_CYCLE_1) | instskip(NEXT) | instid1(SALU_CYCLE_1)
	s_and_b32 s20, exec_lo, s20
	s_or_b32 s19, s20, s19
	s_mov_b32 s20, s21
	s_and_not1_b32 exec_lo, exec_lo, s19
	s_cbranch_execnz .LBB329_2
; %bb.3:
	s_or_b32 exec_lo, exec_lo, s19
.LBB329_4:
	s_delay_alu instid0(SALU_CYCLE_1) | instskip(SKIP_3) | instid1(SALU_CYCLE_1)
	s_or_b32 exec_lo, exec_lo, s18
	v_cmp_eq_u32_e32 vcc_lo, s16, v6
	s_bitcmp1_b32 s17, 0
	s_cselect_b32 s17, -1, 0
	s_and_b32 s17, s17, vcc_lo
	s_delay_alu instid0(SALU_CYCLE_1)
	s_and_saveexec_b32 s18, s17
	s_cbranch_execz .LBB329_6
; %bb.5:
	s_lshl_b64 s[10:11], s[10:11], 1
	s_mov_b32 s17, 0
	s_add_u32 s10, s14, s10
	s_addc_u32 s11, s15, s11
	s_lshl_b64 s[8:9], s[8:9], 1
	v_mov_b32_e32 v1, 0
	s_add_u32 s8, s10, s8
	s_addc_u32 s9, s11, s9
	s_lshl_b64 s[6:7], s[6:7], 1
	s_delay_alu instid0(SALU_CYCLE_1) | instskip(SKIP_2) | instid1(SALU_CYCLE_1)
	s_add_u32 s6, s0, s6
	s_addc_u32 s7, s1, s7
	s_lshl_b64 s[0:1], s[4:5], 1
	s_add_u32 s4, s6, s0
	s_addc_u32 s5, s7, s1
	s_lshl_b64 s[0:1], s[16:17], 1
	s_delay_alu instid0(SALU_CYCLE_1)
	s_add_u32 s4, s4, s0
	s_addc_u32 s5, s5, s1
	s_add_u32 s0, s8, s0
	s_addc_u32 s1, s9, s1
	s_clause 0x1
	global_load_u16 v2, v1, s[4:5]
	global_load_u16 v1, v1, s[0:1]
	s_waitcnt vmcnt(0)
	v_fma_mix_f32 v5, v2, v1, v5 op_sel_hi:[1,1,0]
.LBB329_6:
	s_or_b32 exec_lo, exec_lo, s18
	v_and_b32_e32 v7, 31, v0
	v_cmp_gt_u32_e32 vcc_lo, 32, v0
	s_delay_alu instid0(VALU_DEP_2)
	v_lshlrev_b32_e32 v1, 2, v7
	s_and_saveexec_b32 s0, vcc_lo
	s_cbranch_execz .LBB329_8
; %bb.7:
	v_mov_b32_e32 v2, 0
	ds_store_b32 v1, v2
.LBB329_8:
	s_or_b32 exec_lo, exec_lo, s0
	v_mbcnt_lo_u32_b32 v6, -1, 0
	s_mov_b32 s1, exec_lo
	s_waitcnt lgkmcnt(0)
	s_barrier
	buffer_gl0_inv
	v_cmp_gt_u32_e64 s0, 16, v6
	s_delay_alu instid0(VALU_DEP_1) | instskip(SKIP_1) | instid1(VALU_DEP_2)
	v_cndmask_b32_e64 v2, 0, 1, s0
	v_cmp_gt_u32_e64 s0, 24, v6
	v_lshlrev_b32_e32 v2, 4, v2
	s_delay_alu instid0(VALU_DEP_2) | instskip(SKIP_1) | instid1(VALU_DEP_3)
	v_cndmask_b32_e64 v3, 0, 1, s0
	v_cmp_gt_u32_e64 s0, 28, v6
	v_add_lshl_u32 v2, v2, v6, 2
	ds_bpermute_b32 v4, v2, v5
	s_waitcnt lgkmcnt(0)
	v_add_f32_e32 v5, v5, v4
	v_lshlrev_b32_e32 v3, 3, v3
	v_cndmask_b32_e64 v4, 0, 1, s0
	v_cmp_gt_u32_e64 s0, 30, v6
	s_delay_alu instid0(VALU_DEP_3) | instskip(NEXT) | instid1(VALU_DEP_3)
	v_add_lshl_u32 v3, v3, v6, 2
	v_lshlrev_b32_e32 v4, 2, v4
	ds_bpermute_b32 v8, v3, v5
	v_add_lshl_u32 v4, v4, v6, 2
	s_waitcnt lgkmcnt(0)
	v_add_f32_e32 v8, v5, v8
	v_cndmask_b32_e64 v5, 0, 1, s0
	v_cmp_ne_u32_e64 s0, 31, v6
	ds_bpermute_b32 v9, v4, v8
	v_lshlrev_b32_e32 v5, 1, v5
	s_delay_alu instid0(VALU_DEP_1) | instskip(SKIP_1) | instid1(VALU_DEP_1)
	v_add_lshl_u32 v5, v5, v6, 2
	v_add_co_ci_u32_e64 v6, s0, 0, v6, s0
	v_lshlrev_b32_e32 v6, 2, v6
	s_waitcnt lgkmcnt(0)
	v_add_f32_e32 v8, v8, v9
	ds_bpermute_b32 v9, v5, v8
	s_waitcnt lgkmcnt(0)
	v_add_f32_e32 v8, v8, v9
	ds_bpermute_b32 v9, v6, v8
	v_cmpx_eq_u32_e32 0, v7
	s_cbranch_execz .LBB329_10
; %bb.9:
	v_lshrrev_b32_e32 v7, 3, v0
	s_waitcnt lgkmcnt(0)
	s_delay_alu instid0(VALU_DEP_1)
	v_dual_add_f32 v8, v8, v9 :: v_dual_and_b32 v7, 0x7c, v7
	ds_store_b32 v7, v8
.LBB329_10:
	s_or_b32 exec_lo, exec_lo, s1
	v_mov_b32_e32 v7, 0
	s_waitcnt lgkmcnt(0)
	s_barrier
	buffer_gl0_inv
	s_and_saveexec_b32 s0, vcc_lo
	s_cbranch_execz .LBB329_12
; %bb.11:
	ds_load_b32 v7, v1
.LBB329_12:
	s_or_b32 exec_lo, exec_lo, s0
	s_and_saveexec_b32 s0, vcc_lo
	s_cbranch_execz .LBB329_14
; %bb.13:
	s_waitcnt lgkmcnt(0)
	ds_bpermute_b32 v1, v2, v7
	s_waitcnt lgkmcnt(0)
	v_add_f32_e32 v1, v7, v1
	ds_bpermute_b32 v2, v3, v1
	s_waitcnt lgkmcnt(0)
	v_add_f32_e32 v1, v1, v2
	;; [unrolled: 3-line block ×5, first 2 shown]
.LBB329_14:
	s_or_b32 exec_lo, exec_lo, s0
	s_delay_alu instid0(SALU_CYCLE_1)
	s_mov_b32 s0, exec_lo
	v_cmpx_eq_u32_e32 0, v0
	s_cbranch_execz .LBB329_16
; %bb.15:
	s_lshl_b64 s[0:1], s[2:3], 2
	v_mov_b32_e32 v0, 0
	s_add_u32 s0, s12, s0
	s_addc_u32 s1, s13, s1
	s_waitcnt lgkmcnt(0)
	global_store_b32 v0, v7, s[0:1]
.LBB329_16:
	s_nop 0
	s_sendmsg sendmsg(MSG_DEALLOC_VGPRS)
	s_endpgm
	.section	.rodata,"a",@progbits
	.p2align	6, 0x0
	.amdhsa_kernel _ZL26rocblas_dot_kernel_inc1by2ILb1ELi1024ELi32ELb0EfPKDF16_fEviT4_llS2_lliPT5_PT3_
		.amdhsa_group_segment_fixed_size 128
		.amdhsa_private_segment_fixed_size 0
		.amdhsa_kernarg_size 80
		.amdhsa_user_sgpr_count 14
		.amdhsa_user_sgpr_dispatch_ptr 0
		.amdhsa_user_sgpr_queue_ptr 0
		.amdhsa_user_sgpr_kernarg_segment_ptr 1
		.amdhsa_user_sgpr_dispatch_id 0
		.amdhsa_user_sgpr_private_segment_size 0
		.amdhsa_wavefront_size32 1
		.amdhsa_uses_dynamic_stack 0
		.amdhsa_enable_private_segment 0
		.amdhsa_system_sgpr_workgroup_id_x 1
		.amdhsa_system_sgpr_workgroup_id_y 0
		.amdhsa_system_sgpr_workgroup_id_z 1
		.amdhsa_system_sgpr_workgroup_info 0
		.amdhsa_system_vgpr_workitem_id 0
		.amdhsa_next_free_vgpr 10
		.amdhsa_next_free_sgpr 24
		.amdhsa_reserve_vcc 1
		.amdhsa_float_round_mode_32 0
		.amdhsa_float_round_mode_16_64 0
		.amdhsa_float_denorm_mode_32 3
		.amdhsa_float_denorm_mode_16_64 3
		.amdhsa_dx10_clamp 1
		.amdhsa_ieee_mode 1
		.amdhsa_fp16_overflow 0
		.amdhsa_workgroup_processor_mode 1
		.amdhsa_memory_ordered 1
		.amdhsa_forward_progress 0
		.amdhsa_shared_vgpr_count 0
		.amdhsa_exception_fp_ieee_invalid_op 0
		.amdhsa_exception_fp_denorm_src 0
		.amdhsa_exception_fp_ieee_div_zero 0
		.amdhsa_exception_fp_ieee_overflow 0
		.amdhsa_exception_fp_ieee_underflow 0
		.amdhsa_exception_fp_ieee_inexact 0
		.amdhsa_exception_int_div_zero 0
	.end_amdhsa_kernel
	.section	.text._ZL26rocblas_dot_kernel_inc1by2ILb1ELi1024ELi32ELb0EfPKDF16_fEviT4_llS2_lliPT5_PT3_,"axG",@progbits,_ZL26rocblas_dot_kernel_inc1by2ILb1ELi1024ELi32ELb0EfPKDF16_fEviT4_llS2_lliPT5_PT3_,comdat
.Lfunc_end329:
	.size	_ZL26rocblas_dot_kernel_inc1by2ILb1ELi1024ELi32ELb0EfPKDF16_fEviT4_llS2_lliPT5_PT3_, .Lfunc_end329-_ZL26rocblas_dot_kernel_inc1by2ILb1ELi1024ELi32ELb0EfPKDF16_fEviT4_llS2_lliPT5_PT3_
                                        ; -- End function
	.section	.AMDGPU.csdata,"",@progbits
; Kernel info:
; codeLenInByte = 1016
; NumSgprs: 26
; NumVgprs: 10
; ScratchSize: 0
; MemoryBound: 0
; FloatMode: 240
; IeeeMode: 1
; LDSByteSize: 128 bytes/workgroup (compile time only)
; SGPRBlocks: 3
; VGPRBlocks: 1
; NumSGPRsForWavesPerEU: 26
; NumVGPRsForWavesPerEU: 10
; Occupancy: 16
; WaveLimiterHint : 0
; COMPUTE_PGM_RSRC2:SCRATCH_EN: 0
; COMPUTE_PGM_RSRC2:USER_SGPR: 14
; COMPUTE_PGM_RSRC2:TRAP_HANDLER: 0
; COMPUTE_PGM_RSRC2:TGID_X_EN: 1
; COMPUTE_PGM_RSRC2:TGID_Y_EN: 0
; COMPUTE_PGM_RSRC2:TGID_Z_EN: 1
; COMPUTE_PGM_RSRC2:TIDIG_COMP_CNT: 0
	.section	.text._ZL18rocblas_dot_kernelIlLb1ELi1024ELi32ELb0EfPKDF16_fEviT5_lT_lS2_lS3_liPT6_PT4_,"axG",@progbits,_ZL18rocblas_dot_kernelIlLb1ELi1024ELi32ELb0EfPKDF16_fEviT5_lT_lS2_lS3_liPT6_PT4_,comdat
	.globl	_ZL18rocblas_dot_kernelIlLb1ELi1024ELi32ELb0EfPKDF16_fEviT5_lT_lS2_lS3_liPT6_PT4_ ; -- Begin function _ZL18rocblas_dot_kernelIlLb1ELi1024ELi32ELb0EfPKDF16_fEviT5_lT_lS2_lS3_liPT6_PT4_
	.p2align	8
	.type	_ZL18rocblas_dot_kernelIlLb1ELi1024ELi32ELb0EfPKDF16_fEviT5_lT_lS2_lS3_liPT6_PT4_,@function
_ZL18rocblas_dot_kernelIlLb1ELi1024ELi32ELb0EfPKDF16_fEviT5_lT_lS2_lS3_liPT6_PT4_: ; @_ZL18rocblas_dot_kernelIlLb1ELi1024ELi32ELb0EfPKDF16_fEviT5_lT_lS2_lS3_liPT6_PT4_
; %bb.0:
	s_clause 0x1
	s_load_b32 s18, s[0:1], 0x0
	s_load_b64 s[2:3], s[0:1], 0x58
	v_mov_b32_e32 v6, 0
	s_mov_b32 s16, s15
	s_mov_b32 s17, 0
	s_mov_b32 s19, exec_lo
	s_waitcnt lgkmcnt(0)
	v_cmpx_gt_i32_e64 s18, v0
	s_cbranch_execz .LBB330_4
; %bb.1:
	s_clause 0x4
	s_load_b32 s24, s[0:1], 0x60
	s_load_b256 s[4:11], s[0:1], 0x20
	s_load_b128 s[12:15], s[0:1], 0x10
	s_load_b64 s[20:21], s[0:1], 0x40
	s_load_b64 s[22:23], s[0:1], 0x8
	s_waitcnt lgkmcnt(0)
	s_lshl_b32 s1, s24, 10
	v_mad_u64_u32 v[3:4], null, s10, v0, 0
	v_mad_u64_u32 v[1:2], null, s14, v0, 0
	v_or_b32_e32 v5, s1, v0
	s_mul_i32 s0, s5, s16
	s_mul_hi_u32 s5, s4, s16
	s_mul_i32 s4, s4, s16
	s_add_i32 s5, s5, s0
	s_lshl_b64 s[12:13], s[12:13], 1
	s_delay_alu instid0(VALU_DEP_2)
	v_mad_u64_u32 v[6:7], null, s15, v0, v[2:3]
	v_mad_u64_u32 v[7:8], null, s11, v0, v[4:5]
	s_lshl_b64 s[4:5], s[4:5], 1
	s_add_u32 s12, s22, s12
	s_addc_u32 s13, s23, s13
	s_add_u32 s22, s12, s4
	s_delay_alu instid0(VALU_DEP_2)
	v_mov_b32_e32 v2, v6
	s_addc_u32 s23, s13, s5
	s_ashr_i32 s4, s1, 31
	s_mul_hi_u32 s0, s14, s1
	s_mul_i32 s5, s14, s4
	v_mov_b32_e32 v4, v7
	s_mul_i32 s21, s21, s16
	s_mul_hi_u32 s25, s20, s16
	s_mul_i32 s26, s15, s1
	s_add_i32 s0, s0, s5
	v_lshlrev_b64 v[1:2], 1, v[1:2]
	s_mul_i32 s20, s20, s16
	s_mul_i32 s24, s14, s1
	s_add_i32 s21, s25, s21
	s_add_i32 s25, s0, s26
	s_lshl_b64 s[8:9], s[8:9], 1
	v_lshlrev_b64 v[3:4], 1, v[3:4]
	s_lshl_b64 s[12:13], s[20:21], 1
	s_mul_i32 s0, s10, s4
	s_lshl_b64 s[4:5], s[24:25], 1
	s_add_u32 s6, s6, s8
	s_addc_u32 s7, s7, s9
	v_add_co_u32 v1, vcc_lo, s22, v1
	s_add_u32 s6, s6, s12
	v_add_co_ci_u32_e32 v2, vcc_lo, s23, v2, vcc_lo
	s_mul_hi_u32 s8, s10, s1
	s_addc_u32 s7, s7, s13
	v_add_co_u32 v3, vcc_lo, s6, v3
	s_add_i32 s0, s8, s0
	s_mul_i32 s8, s11, s1
	v_add_co_ci_u32_e32 v4, vcc_lo, s7, v4, vcc_lo
	v_mov_b32_e32 v6, 0
	s_add_i32 s7, s0, s8
	s_mul_i32 s6, s10, s1
	s_mov_b32 s8, s17
	s_lshl_b64 s[6:7], s[6:7], 1
	s_mov_b32 s9, s17
	.p2align	6
.LBB330_2:                              ; =>This Inner Loop Header: Depth=1
	global_load_u16 v7, v[3:4], off
	global_load_u16 v8, v[1:2], off
	v_add_co_u32 v1, s0, v1, s4
	s_delay_alu instid0(VALU_DEP_1)
	v_add_co_ci_u32_e64 v2, s0, s5, v2, s0
	s_add_i32 s10, s9, 1
	v_cmp_le_i32_e32 vcc_lo, s18, v5
	v_add_co_u32 v3, s0, v3, s6
	s_cmp_gt_u32 s9, 30
	v_add_co_ci_u32_e64 v4, s0, s7, v4, s0
	s_cselect_b32 s0, -1, 0
	v_add_nc_u32_e32 v5, s1, v5
	s_or_b32 s0, s0, vcc_lo
	s_mov_b32 s9, s10
	s_and_b32 s0, exec_lo, s0
	s_delay_alu instid0(SALU_CYCLE_1)
	s_or_b32 s8, s0, s8
	s_waitcnt vmcnt(0)
	v_fma_mix_f32 v6, v7, v8, v6 op_sel_hi:[1,1,0]
	s_and_not1_b32 exec_lo, exec_lo, s8
	s_cbranch_execnz .LBB330_2
; %bb.3:
	s_or_b32 exec_lo, exec_lo, s8
.LBB330_4:
	s_delay_alu instid0(SALU_CYCLE_1) | instskip(SKIP_2) | instid1(VALU_DEP_2)
	s_or_b32 exec_lo, exec_lo, s19
	v_and_b32_e32 v7, 31, v0
	v_cmp_gt_u32_e32 vcc_lo, 32, v0
	v_lshlrev_b32_e32 v1, 2, v7
	s_and_saveexec_b32 s0, vcc_lo
	s_cbranch_execz .LBB330_6
; %bb.5:
	v_mov_b32_e32 v2, 0
	ds_store_b32 v1, v2
.LBB330_6:
	s_or_b32 exec_lo, exec_lo, s0
	v_mbcnt_lo_u32_b32 v8, -1, 0
	s_mov_b32 s1, exec_lo
	s_waitcnt lgkmcnt(0)
	s_barrier
	buffer_gl0_inv
	v_cmp_gt_u32_e64 s0, 16, v8
	s_delay_alu instid0(VALU_DEP_1) | instskip(SKIP_1) | instid1(VALU_DEP_2)
	v_cndmask_b32_e64 v2, 0, 1, s0
	v_cmp_gt_u32_e64 s0, 24, v8
	v_lshlrev_b32_e32 v2, 4, v2
	s_delay_alu instid0(VALU_DEP_2) | instskip(SKIP_1) | instid1(VALU_DEP_3)
	v_cndmask_b32_e64 v3, 0, 1, s0
	v_cmp_gt_u32_e64 s0, 28, v8
	v_add_lshl_u32 v2, v2, v8, 2
	ds_bpermute_b32 v4, v2, v6
	s_waitcnt lgkmcnt(0)
	v_add_f32_e32 v5, v6, v4
	v_lshlrev_b32_e32 v3, 3, v3
	v_cndmask_b32_e64 v4, 0, 1, s0
	v_cmp_gt_u32_e64 s0, 30, v8
	s_delay_alu instid0(VALU_DEP_3) | instskip(NEXT) | instid1(VALU_DEP_3)
	v_add_lshl_u32 v3, v3, v8, 2
	v_lshlrev_b32_e32 v4, 2, v4
	ds_bpermute_b32 v6, v3, v5
	v_add_lshl_u32 v4, v4, v8, 2
	s_waitcnt lgkmcnt(0)
	v_add_f32_e32 v6, v5, v6
	v_cndmask_b32_e64 v5, 0, 1, s0
	v_cmp_ne_u32_e64 s0, 31, v8
	ds_bpermute_b32 v9, v4, v6
	v_lshlrev_b32_e32 v5, 1, v5
	v_add_co_ci_u32_e64 v10, s0, 0, v8, s0
	s_delay_alu instid0(VALU_DEP_2)
	v_add_lshl_u32 v5, v5, v8, 2
	s_waitcnt lgkmcnt(0)
	v_add_f32_e32 v6, v6, v9
	ds_bpermute_b32 v9, v5, v6
	s_waitcnt lgkmcnt(0)
	v_add_f32_e32 v8, v6, v9
	v_lshlrev_b32_e32 v6, 2, v10
	ds_bpermute_b32 v9, v6, v8
	v_cmpx_eq_u32_e32 0, v7
	s_cbranch_execz .LBB330_8
; %bb.7:
	v_lshrrev_b32_e32 v7, 3, v0
	s_waitcnt lgkmcnt(0)
	s_delay_alu instid0(VALU_DEP_1)
	v_dual_add_f32 v8, v8, v9 :: v_dual_and_b32 v7, 0x7c, v7
	ds_store_b32 v7, v8
.LBB330_8:
	s_or_b32 exec_lo, exec_lo, s1
	v_mov_b32_e32 v7, 0
	s_waitcnt lgkmcnt(0)
	s_barrier
	buffer_gl0_inv
	s_and_saveexec_b32 s0, vcc_lo
	s_cbranch_execz .LBB330_10
; %bb.9:
	ds_load_b32 v7, v1
.LBB330_10:
	s_or_b32 exec_lo, exec_lo, s0
	s_and_saveexec_b32 s0, vcc_lo
	s_cbranch_execz .LBB330_12
; %bb.11:
	s_waitcnt lgkmcnt(0)
	ds_bpermute_b32 v1, v2, v7
	s_waitcnt lgkmcnt(0)
	v_add_f32_e32 v1, v7, v1
	ds_bpermute_b32 v2, v3, v1
	s_waitcnt lgkmcnt(0)
	v_add_f32_e32 v1, v1, v2
	;; [unrolled: 3-line block ×5, first 2 shown]
.LBB330_12:
	s_or_b32 exec_lo, exec_lo, s0
	s_delay_alu instid0(SALU_CYCLE_1)
	s_mov_b32 s0, exec_lo
	v_cmpx_eq_u32_e32 0, v0
	s_cbranch_execz .LBB330_14
; %bb.13:
	s_lshl_b64 s[0:1], s[16:17], 2
	v_mov_b32_e32 v0, 0
	s_add_u32 s0, s2, s0
	s_addc_u32 s1, s3, s1
	s_waitcnt lgkmcnt(0)
	global_store_b32 v0, v7, s[0:1]
.LBB330_14:
	s_nop 0
	s_sendmsg sendmsg(MSG_DEALLOC_VGPRS)
	s_endpgm
	.section	.rodata,"a",@progbits
	.p2align	6, 0x0
	.amdhsa_kernel _ZL18rocblas_dot_kernelIlLb1ELi1024ELi32ELb0EfPKDF16_fEviT5_lT_lS2_lS3_liPT6_PT4_
		.amdhsa_group_segment_fixed_size 128
		.amdhsa_private_segment_fixed_size 0
		.amdhsa_kernarg_size 352
		.amdhsa_user_sgpr_count 14
		.amdhsa_user_sgpr_dispatch_ptr 0
		.amdhsa_user_sgpr_queue_ptr 0
		.amdhsa_user_sgpr_kernarg_segment_ptr 1
		.amdhsa_user_sgpr_dispatch_id 0
		.amdhsa_user_sgpr_private_segment_size 0
		.amdhsa_wavefront_size32 1
		.amdhsa_uses_dynamic_stack 0
		.amdhsa_enable_private_segment 0
		.amdhsa_system_sgpr_workgroup_id_x 1
		.amdhsa_system_sgpr_workgroup_id_y 0
		.amdhsa_system_sgpr_workgroup_id_z 1
		.amdhsa_system_sgpr_workgroup_info 0
		.amdhsa_system_vgpr_workitem_id 0
		.amdhsa_next_free_vgpr 11
		.amdhsa_next_free_sgpr 27
		.amdhsa_reserve_vcc 1
		.amdhsa_float_round_mode_32 0
		.amdhsa_float_round_mode_16_64 0
		.amdhsa_float_denorm_mode_32 3
		.amdhsa_float_denorm_mode_16_64 3
		.amdhsa_dx10_clamp 1
		.amdhsa_ieee_mode 1
		.amdhsa_fp16_overflow 0
		.amdhsa_workgroup_processor_mode 1
		.amdhsa_memory_ordered 1
		.amdhsa_forward_progress 0
		.amdhsa_shared_vgpr_count 0
		.amdhsa_exception_fp_ieee_invalid_op 0
		.amdhsa_exception_fp_denorm_src 0
		.amdhsa_exception_fp_ieee_div_zero 0
		.amdhsa_exception_fp_ieee_overflow 0
		.amdhsa_exception_fp_ieee_underflow 0
		.amdhsa_exception_fp_ieee_inexact 0
		.amdhsa_exception_int_div_zero 0
	.end_amdhsa_kernel
	.section	.text._ZL18rocblas_dot_kernelIlLb1ELi1024ELi32ELb0EfPKDF16_fEviT5_lT_lS2_lS3_liPT6_PT4_,"axG",@progbits,_ZL18rocblas_dot_kernelIlLb1ELi1024ELi32ELb0EfPKDF16_fEviT5_lT_lS2_lS3_liPT6_PT4_,comdat
.Lfunc_end330:
	.size	_ZL18rocblas_dot_kernelIlLb1ELi1024ELi32ELb0EfPKDF16_fEviT5_lT_lS2_lS3_liPT6_PT4_, .Lfunc_end330-_ZL18rocblas_dot_kernelIlLb1ELi1024ELi32ELb0EfPKDF16_fEviT5_lT_lS2_lS3_liPT6_PT4_
                                        ; -- End function
	.section	.AMDGPU.csdata,"",@progbits
; Kernel info:
; codeLenInByte = 992
; NumSgprs: 29
; NumVgprs: 11
; ScratchSize: 0
; MemoryBound: 0
; FloatMode: 240
; IeeeMode: 1
; LDSByteSize: 128 bytes/workgroup (compile time only)
; SGPRBlocks: 3
; VGPRBlocks: 1
; NumSGPRsForWavesPerEU: 29
; NumVGPRsForWavesPerEU: 11
; Occupancy: 16
; WaveLimiterHint : 0
; COMPUTE_PGM_RSRC2:SCRATCH_EN: 0
; COMPUTE_PGM_RSRC2:USER_SGPR: 14
; COMPUTE_PGM_RSRC2:TRAP_HANDLER: 0
; COMPUTE_PGM_RSRC2:TGID_X_EN: 1
; COMPUTE_PGM_RSRC2:TGID_Y_EN: 0
; COMPUTE_PGM_RSRC2:TGID_Z_EN: 1
; COMPUTE_PGM_RSRC2:TIDIG_COMP_CNT: 0
	.section	.text._ZL24rocblas_dot_kernel_magsqIlLb1ELi1024ELi32ELb0EfPKDF16_fEviT5_lT_liPT6_PT4_,"axG",@progbits,_ZL24rocblas_dot_kernel_magsqIlLb1ELi1024ELi32ELb0EfPKDF16_fEviT5_lT_liPT6_PT4_,comdat
	.globl	_ZL24rocblas_dot_kernel_magsqIlLb1ELi1024ELi32ELb0EfPKDF16_fEviT5_lT_liPT6_PT4_ ; -- Begin function _ZL24rocblas_dot_kernel_magsqIlLb1ELi1024ELi32ELb0EfPKDF16_fEviT5_lT_liPT6_PT4_
	.p2align	8
	.type	_ZL24rocblas_dot_kernel_magsqIlLb1ELi1024ELi32ELb0EfPKDF16_fEviT5_lT_liPT6_PT4_,@function
_ZL24rocblas_dot_kernel_magsqIlLb1ELi1024ELi32ELb0EfPKDF16_fEviT5_lT_liPT6_PT4_: ; @_ZL24rocblas_dot_kernel_magsqIlLb1ELi1024ELi32ELb0EfPKDF16_fEviT5_lT_liPT6_PT4_
; %bb.0:
	s_clause 0x1
	s_load_b32 s8, s[0:1], 0x0
	s_load_b64 s[2:3], s[0:1], 0x38
	v_mov_b32_e32 v3, 0
	s_mov_b32 s4, s15
	s_mov_b32 s5, 0
	s_mov_b32 s9, exec_lo
	s_waitcnt lgkmcnt(0)
	v_cmpx_gt_i32_e64 s8, v0
	s_cbranch_execz .LBB331_4
; %bb.1:
	s_clause 0x3
	s_load_b128 s[12:15], s[0:1], 0x10
	s_load_b32 s16, s[0:1], 0x40
	s_load_b64 s[6:7], s[0:1], 0x20
	s_load_b64 s[10:11], s[0:1], 0x8
	s_waitcnt lgkmcnt(0)
	v_mad_u64_u32 v[1:2], null, s14, v0, 0
	s_mul_i32 s0, s7, s4
	s_mul_hi_u32 s7, s6, s4
	s_mul_i32 s6, s6, s4
	s_add_i32 s7, s7, s0
	s_lshl_b64 s[12:13], s[12:13], 1
	s_lshl_b32 s1, s16, 10
	s_delay_alu instid0(VALU_DEP_1)
	v_mad_u64_u32 v[3:4], null, s15, v0, v[2:3]
	s_lshl_b64 s[6:7], s[6:7], 1
	s_add_u32 s0, s10, s12
	s_addc_u32 s10, s11, s13
	s_add_u32 s0, s0, s6
	s_addc_u32 s10, s10, s7
	s_ashr_i32 s6, s1, 31
	s_delay_alu instid0(VALU_DEP_1) | instskip(SKIP_3) | instid1(VALU_DEP_1)
	v_dual_mov_b32 v2, v3 :: v_dual_mov_b32 v3, 0
	s_mul_hi_u32 s7, s14, s1
	s_mul_i32 s6, s14, s6
	s_mul_i32 s11, s15, s1
	v_lshlrev_b64 v[1:2], 1, v[1:2]
	s_add_i32 s7, s7, s6
	v_or_b32_e32 v4, s1, v0
	s_mul_i32 s6, s14, s1
	s_add_i32 s7, s7, s11
	s_mov_b32 s11, s5
	v_add_co_u32 v1, vcc_lo, s0, v1
	v_add_co_ci_u32_e32 v2, vcc_lo, s10, v2, vcc_lo
	s_lshl_b64 s[6:7], s[6:7], 1
	s_mov_b32 s10, s5
	.p2align	6
.LBB331_2:                              ; =>This Inner Loop Header: Depth=1
	global_load_u16 v5, v[1:2], off
	s_add_i32 s12, s11, 1
	v_cmp_le_i32_e32 vcc_lo, s8, v4
	v_add_co_u32 v1, s0, v1, s6
	s_cmp_gt_u32 s11, 30
	v_add_co_ci_u32_e64 v2, s0, s7, v2, s0
	s_cselect_b32 s0, -1, 0
	v_add_nc_u32_e32 v4, s1, v4
	s_or_b32 s0, s0, vcc_lo
	s_mov_b32 s11, s12
	s_and_b32 s0, exec_lo, s0
	s_delay_alu instid0(SALU_CYCLE_1)
	s_or_b32 s10, s0, s10
	s_waitcnt vmcnt(0)
	v_fma_mix_f32 v3, v5, v5, v3 op_sel_hi:[1,1,0]
	s_and_not1_b32 exec_lo, exec_lo, s10
	s_cbranch_execnz .LBB331_2
; %bb.3:
	s_or_b32 exec_lo, exec_lo, s10
.LBB331_4:
	s_delay_alu instid0(SALU_CYCLE_1) | instskip(SKIP_2) | instid1(VALU_DEP_2)
	s_or_b32 exec_lo, exec_lo, s9
	v_and_b32_e32 v7, 31, v0
	v_cmp_gt_u32_e32 vcc_lo, 32, v0
	v_lshlrev_b32_e32 v1, 2, v7
	s_and_saveexec_b32 s0, vcc_lo
	s_cbranch_execz .LBB331_6
; %bb.5:
	v_mov_b32_e32 v2, 0
	ds_store_b32 v1, v2
.LBB331_6:
	s_or_b32 exec_lo, exec_lo, s0
	v_mbcnt_lo_u32_b32 v6, -1, 0
	s_mov_b32 s1, exec_lo
	s_waitcnt lgkmcnt(0)
	s_barrier
	buffer_gl0_inv
	v_cmp_gt_u32_e64 s0, 16, v6
	s_delay_alu instid0(VALU_DEP_1) | instskip(SKIP_1) | instid1(VALU_DEP_2)
	v_cndmask_b32_e64 v2, 0, 1, s0
	v_cmp_gt_u32_e64 s0, 24, v6
	v_lshlrev_b32_e32 v2, 4, v2
	s_delay_alu instid0(VALU_DEP_2) | instskip(SKIP_1) | instid1(VALU_DEP_3)
	v_cndmask_b32_e64 v4, 0, 1, s0
	v_cmp_gt_u32_e64 s0, 28, v6
	v_add_lshl_u32 v2, v2, v6, 2
	s_delay_alu instid0(VALU_DEP_3)
	v_lshlrev_b32_e32 v4, 3, v4
	ds_bpermute_b32 v5, v2, v3
	v_add_lshl_u32 v4, v4, v6, 2
	s_waitcnt lgkmcnt(0)
	v_add_f32_e32 v5, v3, v5
	v_cndmask_b32_e64 v3, 0, 1, s0
	v_cmp_gt_u32_e64 s0, 30, v6
	ds_bpermute_b32 v8, v4, v5
	s_waitcnt lgkmcnt(0)
	v_dual_add_f32 v8, v5, v8 :: v_dual_lshlrev_b32 v3, 2, v3
	s_delay_alu instid0(VALU_DEP_1) | instskip(SKIP_4) | instid1(VALU_DEP_1)
	v_add_lshl_u32 v3, v3, v6, 2
	v_cndmask_b32_e64 v5, 0, 1, s0
	v_cmp_ne_u32_e64 s0, 31, v6
	ds_bpermute_b32 v9, v3, v8
	v_lshlrev_b32_e32 v5, 1, v5
	v_add_lshl_u32 v5, v5, v6, 2
	v_add_co_ci_u32_e64 v6, s0, 0, v6, s0
	s_delay_alu instid0(VALU_DEP_1)
	v_lshlrev_b32_e32 v6, 2, v6
	s_waitcnt lgkmcnt(0)
	v_add_f32_e32 v8, v8, v9
	ds_bpermute_b32 v9, v5, v8
	s_waitcnt lgkmcnt(0)
	v_add_f32_e32 v8, v8, v9
	ds_bpermute_b32 v9, v6, v8
	v_cmpx_eq_u32_e32 0, v7
	s_cbranch_execz .LBB331_8
; %bb.7:
	v_lshrrev_b32_e32 v7, 3, v0
	s_waitcnt lgkmcnt(0)
	s_delay_alu instid0(VALU_DEP_1)
	v_dual_add_f32 v8, v8, v9 :: v_dual_and_b32 v7, 0x7c, v7
	ds_store_b32 v7, v8
.LBB331_8:
	s_or_b32 exec_lo, exec_lo, s1
	v_mov_b32_e32 v7, 0
	s_waitcnt lgkmcnt(0)
	s_barrier
	buffer_gl0_inv
	s_and_saveexec_b32 s0, vcc_lo
	s_cbranch_execz .LBB331_10
; %bb.9:
	ds_load_b32 v7, v1
.LBB331_10:
	s_or_b32 exec_lo, exec_lo, s0
	s_and_saveexec_b32 s0, vcc_lo
	s_cbranch_execz .LBB331_12
; %bb.11:
	s_waitcnt lgkmcnt(0)
	ds_bpermute_b32 v1, v2, v7
	s_waitcnt lgkmcnt(0)
	v_add_f32_e32 v1, v7, v1
	ds_bpermute_b32 v2, v4, v1
	s_waitcnt lgkmcnt(0)
	v_add_f32_e32 v1, v1, v2
	ds_bpermute_b32 v2, v3, v1
	s_waitcnt lgkmcnt(0)
	v_add_f32_e32 v1, v1, v2
	ds_bpermute_b32 v2, v5, v1
	s_waitcnt lgkmcnt(0)
	v_add_f32_e32 v1, v1, v2
	ds_bpermute_b32 v2, v6, v1
	s_waitcnt lgkmcnt(0)
	v_add_f32_e32 v7, v1, v2
.LBB331_12:
	s_or_b32 exec_lo, exec_lo, s0
	s_delay_alu instid0(SALU_CYCLE_1)
	s_mov_b32 s0, exec_lo
	v_cmpx_eq_u32_e32 0, v0
	s_cbranch_execz .LBB331_14
; %bb.13:
	s_lshl_b64 s[0:1], s[4:5], 2
	v_mov_b32_e32 v0, 0
	s_add_u32 s0, s2, s0
	s_addc_u32 s1, s3, s1
	s_waitcnt lgkmcnt(0)
	global_store_b32 v0, v7, s[0:1]
.LBB331_14:
	s_nop 0
	s_sendmsg sendmsg(MSG_DEALLOC_VGPRS)
	s_endpgm
	.section	.rodata,"a",@progbits
	.p2align	6, 0x0
	.amdhsa_kernel _ZL24rocblas_dot_kernel_magsqIlLb1ELi1024ELi32ELb0EfPKDF16_fEviT5_lT_liPT6_PT4_
		.amdhsa_group_segment_fixed_size 128
		.amdhsa_private_segment_fixed_size 0
		.amdhsa_kernarg_size 320
		.amdhsa_user_sgpr_count 14
		.amdhsa_user_sgpr_dispatch_ptr 0
		.amdhsa_user_sgpr_queue_ptr 0
		.amdhsa_user_sgpr_kernarg_segment_ptr 1
		.amdhsa_user_sgpr_dispatch_id 0
		.amdhsa_user_sgpr_private_segment_size 0
		.amdhsa_wavefront_size32 1
		.amdhsa_uses_dynamic_stack 0
		.amdhsa_enable_private_segment 0
		.amdhsa_system_sgpr_workgroup_id_x 1
		.amdhsa_system_sgpr_workgroup_id_y 0
		.amdhsa_system_sgpr_workgroup_id_z 1
		.amdhsa_system_sgpr_workgroup_info 0
		.amdhsa_system_vgpr_workitem_id 0
		.amdhsa_next_free_vgpr 10
		.amdhsa_next_free_sgpr 17
		.amdhsa_reserve_vcc 1
		.amdhsa_float_round_mode_32 0
		.amdhsa_float_round_mode_16_64 0
		.amdhsa_float_denorm_mode_32 3
		.amdhsa_float_denorm_mode_16_64 3
		.amdhsa_dx10_clamp 1
		.amdhsa_ieee_mode 1
		.amdhsa_fp16_overflow 0
		.amdhsa_workgroup_processor_mode 1
		.amdhsa_memory_ordered 1
		.amdhsa_forward_progress 0
		.amdhsa_shared_vgpr_count 0
		.amdhsa_exception_fp_ieee_invalid_op 0
		.amdhsa_exception_fp_denorm_src 0
		.amdhsa_exception_fp_ieee_div_zero 0
		.amdhsa_exception_fp_ieee_overflow 0
		.amdhsa_exception_fp_ieee_underflow 0
		.amdhsa_exception_fp_ieee_inexact 0
		.amdhsa_exception_int_div_zero 0
	.end_amdhsa_kernel
	.section	.text._ZL24rocblas_dot_kernel_magsqIlLb1ELi1024ELi32ELb0EfPKDF16_fEviT5_lT_liPT6_PT4_,"axG",@progbits,_ZL24rocblas_dot_kernel_magsqIlLb1ELi1024ELi32ELb0EfPKDF16_fEviT5_lT_liPT6_PT4_,comdat
.Lfunc_end331:
	.size	_ZL24rocblas_dot_kernel_magsqIlLb1ELi1024ELi32ELb0EfPKDF16_fEviT5_lT_liPT6_PT4_, .Lfunc_end331-_ZL24rocblas_dot_kernel_magsqIlLb1ELi1024ELi32ELb0EfPKDF16_fEviT5_lT_liPT6_PT4_
                                        ; -- End function
	.section	.AMDGPU.csdata,"",@progbits
; Kernel info:
; codeLenInByte = 852
; NumSgprs: 19
; NumVgprs: 10
; ScratchSize: 0
; MemoryBound: 0
; FloatMode: 240
; IeeeMode: 1
; LDSByteSize: 128 bytes/workgroup (compile time only)
; SGPRBlocks: 2
; VGPRBlocks: 1
; NumSGPRsForWavesPerEU: 19
; NumVGPRsForWavesPerEU: 10
; Occupancy: 16
; WaveLimiterHint : 0
; COMPUTE_PGM_RSRC2:SCRATCH_EN: 0
; COMPUTE_PGM_RSRC2:USER_SGPR: 14
; COMPUTE_PGM_RSRC2:TRAP_HANDLER: 0
; COMPUTE_PGM_RSRC2:TGID_X_EN: 1
; COMPUTE_PGM_RSRC2:TGID_Y_EN: 0
; COMPUTE_PGM_RSRC2:TGID_Z_EN: 1
; COMPUTE_PGM_RSRC2:TIDIG_COMP_CNT: 0
	.section	.text._ZL23rocblas_dot_kernel_inc1ILb0ELi512ELi4ELb0EfPKDF16_fEviT4_llS2_lliPT5_PT3_,"axG",@progbits,_ZL23rocblas_dot_kernel_inc1ILb0ELi512ELi4ELb0EfPKDF16_fEviT4_llS2_lliPT5_PT3_,comdat
	.globl	_ZL23rocblas_dot_kernel_inc1ILb0ELi512ELi4ELb0EfPKDF16_fEviT4_llS2_lliPT5_PT3_ ; -- Begin function _ZL23rocblas_dot_kernel_inc1ILb0ELi512ELi4ELb0EfPKDF16_fEviT4_llS2_lliPT5_PT3_
	.p2align	8
	.type	_ZL23rocblas_dot_kernel_inc1ILb0ELi512ELi4ELb0EfPKDF16_fEviT4_llS2_lliPT5_PT3_,@function
_ZL23rocblas_dot_kernel_inc1ILb0ELi512ELi4ELb0EfPKDF16_fEviT4_llS2_lliPT5_PT3_: ; @_ZL23rocblas_dot_kernel_inc1ILb0ELi512ELi4ELb0EfPKDF16_fEviT4_llS2_lliPT5_PT3_
; %bb.0:
	s_clause 0x2
	s_load_b32 s12, s[0:1], 0x50
	s_load_b32 s13, s[0:1], 0x0
	s_load_b128 s[4:7], s[0:1], 0x40
	v_lshl_or_b32 v1, s14, 9, v0
	v_mov_b32_e32 v4, 0
	s_mov_b32 s2, s15
	s_mov_b32 s3, 0
	s_mov_b32 s15, exec_lo
	s_waitcnt lgkmcnt(0)
	v_cmpx_gt_i32_e64 s13, v1
	s_cbranch_execz .LBB332_4
; %bb.1:
	s_clause 0x3
	s_load_b128 s[8:11], s[0:1], 0x10
	s_load_b128 s[20:23], s[0:1], 0x28
	s_load_b64 s[16:17], s[0:1], 0x8
	s_load_b64 s[18:19], s[0:1], 0x20
	v_ashrrev_i32_e32 v2, 31, v1
	s_delay_alu instid0(VALU_DEP_1)
	v_lshlrev_b64 v[2:3], 1, v[1:2]
	s_waitcnt lgkmcnt(0)
	s_mul_i32 s1, s2, s11
	s_mul_hi_u32 s11, s2, s10
	s_mul_i32 s0, s2, s10
	s_add_i32 s1, s11, s1
	s_mul_i32 s11, s2, s23
	s_lshl_b64 s[0:1], s[0:1], 1
	s_mul_hi_u32 s23, s2, s22
	s_add_u32 s0, s16, s0
	s_addc_u32 s16, s17, s1
	s_lshl_b64 s[8:9], s[8:9], 1
	s_mul_i32 s10, s2, s22
	s_add_u32 s1, s0, s8
	s_addc_u32 s16, s16, s9
	s_add_i32 s11, s23, s11
	s_delay_alu instid0(SALU_CYCLE_1) | instskip(NEXT) | instid1(SALU_CYCLE_1)
	s_lshl_b64 s[8:9], s[10:11], 1
	s_add_u32 s0, s18, s8
	s_addc_u32 s10, s19, s9
	s_lshl_b64 s[8:9], s[20:21], 1
	s_mov_b32 s19, s3
	s_add_u32 s17, s0, s8
	s_addc_u32 s18, s10, s9
	s_lshl_b32 s8, s12, 9
	s_delay_alu instid0(SALU_CYCLE_1) | instskip(SKIP_1) | instid1(SALU_CYCLE_1)
	v_dual_mov_b32 v4, 0 :: v_dual_add_nc_u32 v1, s8, v1
	s_ashr_i32 s9, s8, 31
	s_lshl_b64 s[10:11], s[8:9], 1
	s_mov_b32 s9, s3
	.p2align	6
.LBB332_2:                              ; =>This Inner Loop Header: Depth=1
	v_add_co_u32 v5, vcc_lo, s17, v2
	v_add_co_ci_u32_e32 v6, vcc_lo, s18, v3, vcc_lo
	v_add_co_u32 v7, vcc_lo, s1, v2
	v_add_co_ci_u32_e32 v8, vcc_lo, s16, v3, vcc_lo
	s_add_i32 s20, s19, 1
	global_load_u16 v5, v[5:6], off
	global_load_u16 v6, v[7:8], off
	v_cmp_le_i32_e32 vcc_lo, s13, v1
	v_add_co_u32 v2, s0, v2, s10
	s_cmp_gt_u32 s19, 2
	v_add_co_ci_u32_e64 v3, s0, s11, v3, s0
	s_cselect_b32 s0, -1, 0
	v_add_nc_u32_e32 v1, s8, v1
	s_or_b32 s0, s0, vcc_lo
	s_mov_b32 s19, s20
	s_and_b32 s0, exec_lo, s0
	s_delay_alu instid0(SALU_CYCLE_1)
	s_or_b32 s9, s0, s9
	s_waitcnt vmcnt(0)
	v_fma_mix_f32 v4, v5, v6, v4 op_sel_hi:[1,1,0]
	s_and_not1_b32 exec_lo, exec_lo, s9
	s_cbranch_execnz .LBB332_2
; %bb.3:
	s_or_b32 exec_lo, exec_lo, s9
.LBB332_4:
	s_delay_alu instid0(SALU_CYCLE_1) | instskip(SKIP_2) | instid1(VALU_DEP_2)
	s_or_b32 exec_lo, exec_lo, s15
	v_and_b32_e32 v2, 31, v0
	v_cmp_gt_u32_e32 vcc_lo, 32, v0
	v_lshlrev_b32_e32 v1, 2, v2
	s_and_saveexec_b32 s0, vcc_lo
	s_cbranch_execz .LBB332_6
; %bb.5:
	v_mov_b32_e32 v3, 0
	ds_store_b32 v1, v3
.LBB332_6:
	s_or_b32 exec_lo, exec_lo, s0
	v_mbcnt_lo_u32_b32 v6, -1, 0
	s_mov_b32 s1, exec_lo
	s_waitcnt lgkmcnt(0)
	s_barrier
	buffer_gl0_inv
	v_cmp_gt_u32_e64 s0, 16, v6
	s_delay_alu instid0(VALU_DEP_1) | instskip(SKIP_1) | instid1(VALU_DEP_2)
	v_cndmask_b32_e64 v3, 0, 1, s0
	v_cmp_gt_u32_e64 s0, 24, v6
	v_lshlrev_b32_e32 v3, 4, v3
	s_delay_alu instid0(VALU_DEP_1) | instskip(SKIP_3) | instid1(VALU_DEP_2)
	v_add_lshl_u32 v3, v3, v6, 2
	ds_bpermute_b32 v5, v3, v4
	v_cndmask_b32_e64 v3, 0, 1, s0
	v_cmp_gt_u32_e64 s0, 28, v6
	v_lshlrev_b32_e32 v3, 3, v3
	s_delay_alu instid0(VALU_DEP_1) | instskip(SKIP_4) | instid1(VALU_DEP_2)
	v_add_lshl_u32 v3, v3, v6, 2
	s_waitcnt lgkmcnt(0)
	v_add_f32_e32 v5, v4, v5
	v_cndmask_b32_e64 v4, 0, 1, s0
	v_cmp_gt_u32_e64 s0, 30, v6
	v_lshlrev_b32_e32 v4, 2, v4
	ds_bpermute_b32 v7, v3, v5
	v_add_lshl_u32 v4, v4, v6, 2
	s_waitcnt lgkmcnt(0)
	v_add_f32_e32 v7, v5, v7
	v_cndmask_b32_e64 v5, 0, 1, s0
	v_cmp_ne_u32_e64 s0, 31, v6
	s_delay_alu instid0(VALU_DEP_2) | instskip(NEXT) | instid1(VALU_DEP_1)
	v_lshlrev_b32_e32 v5, 1, v5
	v_add_lshl_u32 v5, v5, v6, 2
	s_delay_alu instid0(VALU_DEP_3) | instskip(NEXT) | instid1(VALU_DEP_1)
	v_add_co_ci_u32_e64 v6, s0, 0, v6, s0
	v_lshlrev_b32_e32 v6, 2, v6
	ds_bpermute_b32 v8, v4, v7
	s_waitcnt lgkmcnt(0)
	v_add_f32_e32 v7, v7, v8
	ds_bpermute_b32 v8, v5, v7
	s_waitcnt lgkmcnt(0)
	v_add_f32_e32 v7, v7, v8
	ds_bpermute_b32 v8, v6, v7
	v_cmpx_eq_u32_e32 0, v2
	s_cbranch_execz .LBB332_8
; %bb.7:
	v_lshrrev_b32_e32 v2, 3, v0
	s_waitcnt lgkmcnt(0)
	s_delay_alu instid0(VALU_DEP_1)
	v_dual_add_f32 v7, v7, v8 :: v_dual_and_b32 v2, 60, v2
	ds_store_b32 v2, v7
.LBB332_8:
	s_or_b32 exec_lo, exec_lo, s1
	v_mov_b32_e32 v2, 0
	s_mov_b32 s1, exec_lo
	s_waitcnt lgkmcnt(0)
	s_barrier
	buffer_gl0_inv
	v_cmpx_gt_u32_e32 16, v0
	s_cbranch_execz .LBB332_10
; %bb.9:
	ds_load_b32 v2, v1
.LBB332_10:
	s_or_b32 exec_lo, exec_lo, s1
	s_and_saveexec_b32 s0, vcc_lo
	s_cbranch_execz .LBB332_12
; %bb.11:
	s_waitcnt lgkmcnt(0)
	ds_bpermute_b32 v1, v3, v2
	s_waitcnt lgkmcnt(0)
	v_add_f32_e32 v1, v2, v1
	ds_bpermute_b32 v2, v4, v1
	s_waitcnt lgkmcnt(0)
	v_add_f32_e32 v1, v1, v2
	;; [unrolled: 3-line block ×4, first 2 shown]
.LBB332_12:
	s_or_b32 exec_lo, exec_lo, s0
	s_delay_alu instid0(SALU_CYCLE_1)
	s_mov_b32 s0, exec_lo
	v_cmpx_eq_u32_e32 0, v0
	s_cbranch_execz .LBB332_18
; %bb.13:
	s_cmp_lg_u32 s12, 1
	s_cbranch_scc0 .LBB332_15
; %bb.14:
	s_mul_hi_u32 s1, s12, s2
	s_mul_i32 s0, s12, s2
	s_mov_b32 s15, 0
	s_lshl_b64 s[0:1], s[0:1], 2
	s_delay_alu instid0(SALU_CYCLE_1) | instskip(SKIP_2) | instid1(SALU_CYCLE_1)
	s_add_u32 s4, s4, s0
	s_addc_u32 s5, s5, s1
	s_lshl_b64 s[0:1], s[14:15], 2
	s_add_u32 s0, s4, s0
	s_addc_u32 s1, s5, s1
	s_cbranch_execz .LBB332_16
	s_branch .LBB332_17
.LBB332_15:
                                        ; implicit-def: $sgpr0_sgpr1
.LBB332_16:
	s_lshl_b64 s[0:1], s[2:3], 2
	s_delay_alu instid0(SALU_CYCLE_1)
	s_add_u32 s0, s6, s0
	s_addc_u32 s1, s7, s1
.LBB332_17:
	v_mov_b32_e32 v0, 0
	s_waitcnt lgkmcnt(0)
	global_store_b32 v0, v2, s[0:1]
.LBB332_18:
	s_nop 0
	s_sendmsg sendmsg(MSG_DEALLOC_VGPRS)
	s_endpgm
	.section	.rodata,"a",@progbits
	.p2align	6, 0x0
	.amdhsa_kernel _ZL23rocblas_dot_kernel_inc1ILb0ELi512ELi4ELb0EfPKDF16_fEviT4_llS2_lliPT5_PT3_
		.amdhsa_group_segment_fixed_size 128
		.amdhsa_private_segment_fixed_size 0
		.amdhsa_kernarg_size 336
		.amdhsa_user_sgpr_count 14
		.amdhsa_user_sgpr_dispatch_ptr 0
		.amdhsa_user_sgpr_queue_ptr 0
		.amdhsa_user_sgpr_kernarg_segment_ptr 1
		.amdhsa_user_sgpr_dispatch_id 0
		.amdhsa_user_sgpr_private_segment_size 0
		.amdhsa_wavefront_size32 1
		.amdhsa_uses_dynamic_stack 0
		.amdhsa_enable_private_segment 0
		.amdhsa_system_sgpr_workgroup_id_x 1
		.amdhsa_system_sgpr_workgroup_id_y 0
		.amdhsa_system_sgpr_workgroup_id_z 1
		.amdhsa_system_sgpr_workgroup_info 0
		.amdhsa_system_vgpr_workitem_id 0
		.amdhsa_next_free_vgpr 9
		.amdhsa_next_free_sgpr 24
		.amdhsa_reserve_vcc 1
		.amdhsa_float_round_mode_32 0
		.amdhsa_float_round_mode_16_64 0
		.amdhsa_float_denorm_mode_32 3
		.amdhsa_float_denorm_mode_16_64 3
		.amdhsa_dx10_clamp 1
		.amdhsa_ieee_mode 1
		.amdhsa_fp16_overflow 0
		.amdhsa_workgroup_processor_mode 1
		.amdhsa_memory_ordered 1
		.amdhsa_forward_progress 0
		.amdhsa_shared_vgpr_count 0
		.amdhsa_exception_fp_ieee_invalid_op 0
		.amdhsa_exception_fp_denorm_src 0
		.amdhsa_exception_fp_ieee_div_zero 0
		.amdhsa_exception_fp_ieee_overflow 0
		.amdhsa_exception_fp_ieee_underflow 0
		.amdhsa_exception_fp_ieee_inexact 0
		.amdhsa_exception_int_div_zero 0
	.end_amdhsa_kernel
	.section	.text._ZL23rocblas_dot_kernel_inc1ILb0ELi512ELi4ELb0EfPKDF16_fEviT4_llS2_lliPT5_PT3_,"axG",@progbits,_ZL23rocblas_dot_kernel_inc1ILb0ELi512ELi4ELb0EfPKDF16_fEviT4_llS2_lliPT5_PT3_,comdat
.Lfunc_end332:
	.size	_ZL23rocblas_dot_kernel_inc1ILb0ELi512ELi4ELb0EfPKDF16_fEviT4_llS2_lliPT5_PT3_, .Lfunc_end332-_ZL23rocblas_dot_kernel_inc1ILb0ELi512ELi4ELb0EfPKDF16_fEviT4_llS2_lliPT5_PT3_
                                        ; -- End function
	.section	.AMDGPU.csdata,"",@progbits
; Kernel info:
; codeLenInByte = 936
; NumSgprs: 26
; NumVgprs: 9
; ScratchSize: 0
; MemoryBound: 0
; FloatMode: 240
; IeeeMode: 1
; LDSByteSize: 128 bytes/workgroup (compile time only)
; SGPRBlocks: 3
; VGPRBlocks: 1
; NumSGPRsForWavesPerEU: 26
; NumVGPRsForWavesPerEU: 9
; Occupancy: 16
; WaveLimiterHint : 0
; COMPUTE_PGM_RSRC2:SCRATCH_EN: 0
; COMPUTE_PGM_RSRC2:USER_SGPR: 14
; COMPUTE_PGM_RSRC2:TRAP_HANDLER: 0
; COMPUTE_PGM_RSRC2:TGID_X_EN: 1
; COMPUTE_PGM_RSRC2:TGID_Y_EN: 0
; COMPUTE_PGM_RSRC2:TGID_Z_EN: 1
; COMPUTE_PGM_RSRC2:TIDIG_COMP_CNT: 0
	.section	.text._ZL18rocblas_dot_kernelIlLb0ELi512ELi4ELb0EfPKDF16_fEviT5_lT_lS2_lS3_liPT6_PT4_,"axG",@progbits,_ZL18rocblas_dot_kernelIlLb0ELi512ELi4ELb0EfPKDF16_fEviT5_lT_lS2_lS3_liPT6_PT4_,comdat
	.globl	_ZL18rocblas_dot_kernelIlLb0ELi512ELi4ELb0EfPKDF16_fEviT5_lT_lS2_lS3_liPT6_PT4_ ; -- Begin function _ZL18rocblas_dot_kernelIlLb0ELi512ELi4ELb0EfPKDF16_fEviT5_lT_lS2_lS3_liPT6_PT4_
	.p2align	8
	.type	_ZL18rocblas_dot_kernelIlLb0ELi512ELi4ELb0EfPKDF16_fEviT5_lT_lS2_lS3_liPT6_PT4_,@function
_ZL18rocblas_dot_kernelIlLb0ELi512ELi4ELb0EfPKDF16_fEviT5_lT_lS2_lS3_liPT6_PT4_: ; @_ZL18rocblas_dot_kernelIlLb0ELi512ELi4ELb0EfPKDF16_fEviT5_lT_lS2_lS3_liPT6_PT4_
; %bb.0:
	s_clause 0x2
	s_load_b32 s12, s[0:1], 0x60
	s_load_b32 s13, s[0:1], 0x0
	s_load_b128 s[16:19], s[0:1], 0x50
	v_lshl_or_b32 v1, s14, 9, v0
	v_mov_b32_e32 v6, 0
	s_mov_b32 s2, s15
	s_mov_b32 s3, 0
	s_mov_b32 s15, exec_lo
	s_waitcnt lgkmcnt(0)
	v_cmpx_gt_i32_e64 s13, v1
	s_cbranch_execz .LBB333_4
; %bb.1:
	s_clause 0x2
	s_load_b128 s[20:23], s[0:1], 0x10
	s_load_b256 s[4:11], s[0:1], 0x20
	s_load_b64 s[26:27], s[0:1], 0x8
	v_ashrrev_i32_e32 v4, 31, v1
	s_load_b64 s[0:1], s[0:1], 0x40
	s_lshl_b32 s24, s12, 9
	s_delay_alu instid0(SALU_CYCLE_1)
	v_add_nc_u32_e32 v5, s24, v1
	s_waitcnt lgkmcnt(0)
	v_mul_lo_u32 v8, s23, v1
	v_mul_lo_u32 v9, s22, v4
	v_mad_u64_u32 v[2:3], null, s22, v1, 0
	s_mul_i32 s5, s5, s2
	s_mul_hi_u32 s25, s4, s2
	s_mul_i32 s4, s4, s2
	v_mul_lo_u32 v10, s11, v1
	v_mul_lo_u32 v4, s10, v4
	s_add_i32 s5, s25, s5
	s_delay_alu instid0(VALU_DEP_3)
	v_add3_u32 v3, v3, v9, v8
	v_mad_u64_u32 v[6:7], null, s10, v1, 0
	s_lshl_b64 s[20:21], s[20:21], 1
	s_lshl_b64 s[4:5], s[4:5], 1
	s_add_u32 s20, s26, s20
	s_addc_u32 s21, s27, s21
	v_lshlrev_b64 v[1:2], 1, v[2:3]
	s_add_u32 s20, s20, s4
	s_addc_u32 s21, s21, s5
	s_ashr_i32 s25, s24, 31
	s_mul_hi_u32 s4, s22, s24
	s_mul_i32 s5, s22, s25
	v_add3_u32 v7, v7, v4, v10
	s_mul_i32 s23, s23, s24
	s_add_i32 s5, s4, s5
	v_add_co_u32 v1, vcc_lo, s20, v1
	s_mul_i32 s1, s1, s2
	s_mul_hi_u32 s20, s0, s2
	s_mul_i32 s4, s22, s24
	s_add_i32 s5, s5, s23
	s_add_i32 s1, s20, s1
	s_mul_i32 s0, s0, s2
	v_lshlrev_b64 v[3:4], 1, v[6:7]
	v_mov_b32_e32 v6, 0
	s_lshl_b64 s[8:9], s[8:9], 1
	s_lshl_b64 s[4:5], s[4:5], 1
	;; [unrolled: 1-line block ×3, first 2 shown]
	s_add_u32 s6, s6, s8
	s_addc_u32 s7, s7, s9
	s_add_u32 s0, s6, s0
	v_add_co_ci_u32_e32 v2, vcc_lo, s21, v2, vcc_lo
	s_mul_i32 s6, s10, s25
	s_mul_hi_u32 s8, s10, s24
	s_addc_u32 s1, s7, s1
	v_add_co_u32 v3, vcc_lo, s0, v3
	s_add_i32 s6, s8, s6
	s_mul_i32 s7, s11, s24
	v_add_co_ci_u32_e32 v4, vcc_lo, s1, v4, vcc_lo
	s_add_i32 s1, s6, s7
	s_mul_i32 s0, s10, s24
	s_mov_b32 s8, s3
	s_lshl_b64 s[6:7], s[0:1], 1
	s_mov_b32 s1, s3
	.p2align	6
.LBB333_2:                              ; =>This Inner Loop Header: Depth=1
	global_load_u16 v7, v[3:4], off
	global_load_u16 v8, v[1:2], off
	v_add_co_u32 v1, s0, v1, s4
	s_delay_alu instid0(VALU_DEP_1)
	v_add_co_ci_u32_e64 v2, s0, s5, v2, s0
	s_add_i32 s9, s8, 1
	v_cmp_le_i32_e32 vcc_lo, s13, v5
	v_add_co_u32 v3, s0, v3, s6
	s_cmp_gt_u32 s8, 2
	v_add_co_ci_u32_e64 v4, s0, s7, v4, s0
	s_cselect_b32 s0, -1, 0
	v_add_nc_u32_e32 v5, s24, v5
	s_or_b32 s0, s0, vcc_lo
	s_mov_b32 s8, s9
	s_and_b32 s0, exec_lo, s0
	s_delay_alu instid0(SALU_CYCLE_1)
	s_or_b32 s1, s0, s1
	s_waitcnt vmcnt(0)
	v_fma_mix_f32 v6, v7, v8, v6 op_sel_hi:[1,1,0]
	s_and_not1_b32 exec_lo, exec_lo, s1
	s_cbranch_execnz .LBB333_2
; %bb.3:
	s_or_b32 exec_lo, exec_lo, s1
.LBB333_4:
	s_delay_alu instid0(SALU_CYCLE_1) | instskip(SKIP_2) | instid1(VALU_DEP_2)
	s_or_b32 exec_lo, exec_lo, s15
	v_and_b32_e32 v2, 31, v0
	v_cmp_gt_u32_e32 vcc_lo, 32, v0
	v_lshlrev_b32_e32 v1, 2, v2
	s_and_saveexec_b32 s0, vcc_lo
	s_cbranch_execz .LBB333_6
; %bb.5:
	v_mov_b32_e32 v3, 0
	ds_store_b32 v1, v3
.LBB333_6:
	s_or_b32 exec_lo, exec_lo, s0
	v_mbcnt_lo_u32_b32 v7, -1, 0
	s_mov_b32 s1, exec_lo
	s_waitcnt lgkmcnt(0)
	s_barrier
	buffer_gl0_inv
	v_cmp_gt_u32_e64 s0, 16, v7
	s_delay_alu instid0(VALU_DEP_1) | instskip(SKIP_1) | instid1(VALU_DEP_2)
	v_cndmask_b32_e64 v3, 0, 1, s0
	v_cmp_gt_u32_e64 s0, 24, v7
	v_lshlrev_b32_e32 v3, 4, v3
	s_delay_alu instid0(VALU_DEP_1) | instskip(SKIP_3) | instid1(VALU_DEP_2)
	v_add_lshl_u32 v3, v3, v7, 2
	ds_bpermute_b32 v4, v3, v6
	v_cndmask_b32_e64 v3, 0, 1, s0
	v_cmp_gt_u32_e64 s0, 28, v7
	v_lshlrev_b32_e32 v3, 3, v3
	s_delay_alu instid0(VALU_DEP_1)
	v_add_lshl_u32 v3, v3, v7, 2
	s_waitcnt lgkmcnt(0)
	v_add_f32_e32 v5, v6, v4
	v_cndmask_b32_e64 v4, 0, 1, s0
	v_cmp_gt_u32_e64 s0, 30, v7
	ds_bpermute_b32 v6, v3, v5
	v_lshlrev_b32_e32 v4, 2, v4
	s_delay_alu instid0(VALU_DEP_1)
	v_add_lshl_u32 v4, v4, v7, 2
	s_waitcnt lgkmcnt(0)
	v_add_f32_e32 v6, v5, v6
	v_cndmask_b32_e64 v5, 0, 1, s0
	v_cmp_ne_u32_e64 s0, 31, v7
	ds_bpermute_b32 v8, v4, v6
	v_lshlrev_b32_e32 v5, 1, v5
	v_add_co_ci_u32_e64 v9, s0, 0, v7, s0
	s_delay_alu instid0(VALU_DEP_2)
	v_add_lshl_u32 v5, v5, v7, 2
	s_waitcnt lgkmcnt(0)
	v_add_f32_e32 v6, v6, v8
	ds_bpermute_b32 v8, v5, v6
	s_waitcnt lgkmcnt(0)
	v_dual_add_f32 v7, v6, v8 :: v_dual_lshlrev_b32 v6, 2, v9
	ds_bpermute_b32 v8, v6, v7
	v_cmpx_eq_u32_e32 0, v2
	s_cbranch_execz .LBB333_8
; %bb.7:
	v_lshrrev_b32_e32 v2, 3, v0
	s_waitcnt lgkmcnt(0)
	s_delay_alu instid0(VALU_DEP_1)
	v_dual_add_f32 v7, v7, v8 :: v_dual_and_b32 v2, 60, v2
	ds_store_b32 v2, v7
.LBB333_8:
	s_or_b32 exec_lo, exec_lo, s1
	v_mov_b32_e32 v2, 0
	s_mov_b32 s1, exec_lo
	s_waitcnt lgkmcnt(0)
	s_barrier
	buffer_gl0_inv
	v_cmpx_gt_u32_e32 16, v0
	s_cbranch_execz .LBB333_10
; %bb.9:
	ds_load_b32 v2, v1
.LBB333_10:
	s_or_b32 exec_lo, exec_lo, s1
	s_and_saveexec_b32 s0, vcc_lo
	s_cbranch_execz .LBB333_12
; %bb.11:
	s_waitcnt lgkmcnt(0)
	ds_bpermute_b32 v1, v3, v2
	s_waitcnt lgkmcnt(0)
	v_add_f32_e32 v1, v2, v1
	ds_bpermute_b32 v2, v4, v1
	s_waitcnt lgkmcnt(0)
	v_add_f32_e32 v1, v1, v2
	;; [unrolled: 3-line block ×4, first 2 shown]
.LBB333_12:
	s_or_b32 exec_lo, exec_lo, s0
	s_delay_alu instid0(SALU_CYCLE_1)
	s_mov_b32 s0, exec_lo
	v_cmpx_eq_u32_e32 0, v0
	s_cbranch_execz .LBB333_18
; %bb.13:
	s_cmp_lg_u32 s12, 1
	s_cbranch_scc0 .LBB333_15
; %bb.14:
	s_mul_hi_u32 s1, s12, s2
	s_mul_i32 s0, s12, s2
	s_mov_b32 s15, 0
	s_lshl_b64 s[0:1], s[0:1], 2
	s_delay_alu instid0(SALU_CYCLE_1) | instskip(SKIP_2) | instid1(SALU_CYCLE_1)
	s_add_u32 s4, s16, s0
	s_addc_u32 s5, s17, s1
	s_lshl_b64 s[0:1], s[14:15], 2
	s_add_u32 s0, s4, s0
	s_addc_u32 s1, s5, s1
	s_cbranch_execz .LBB333_16
	s_branch .LBB333_17
.LBB333_15:
                                        ; implicit-def: $sgpr0_sgpr1
.LBB333_16:
	s_lshl_b64 s[0:1], s[2:3], 2
	s_delay_alu instid0(SALU_CYCLE_1)
	s_add_u32 s0, s18, s0
	s_addc_u32 s1, s19, s1
.LBB333_17:
	v_mov_b32_e32 v0, 0
	s_waitcnt lgkmcnt(0)
	global_store_b32 v0, v2, s[0:1]
.LBB333_18:
	s_nop 0
	s_sendmsg sendmsg(MSG_DEALLOC_VGPRS)
	s_endpgm
	.section	.rodata,"a",@progbits
	.p2align	6, 0x0
	.amdhsa_kernel _ZL18rocblas_dot_kernelIlLb0ELi512ELi4ELb0EfPKDF16_fEviT5_lT_lS2_lS3_liPT6_PT4_
		.amdhsa_group_segment_fixed_size 128
		.amdhsa_private_segment_fixed_size 0
		.amdhsa_kernarg_size 352
		.amdhsa_user_sgpr_count 14
		.amdhsa_user_sgpr_dispatch_ptr 0
		.amdhsa_user_sgpr_queue_ptr 0
		.amdhsa_user_sgpr_kernarg_segment_ptr 1
		.amdhsa_user_sgpr_dispatch_id 0
		.amdhsa_user_sgpr_private_segment_size 0
		.amdhsa_wavefront_size32 1
		.amdhsa_uses_dynamic_stack 0
		.amdhsa_enable_private_segment 0
		.amdhsa_system_sgpr_workgroup_id_x 1
		.amdhsa_system_sgpr_workgroup_id_y 0
		.amdhsa_system_sgpr_workgroup_id_z 1
		.amdhsa_system_sgpr_workgroup_info 0
		.amdhsa_system_vgpr_workitem_id 0
		.amdhsa_next_free_vgpr 11
		.amdhsa_next_free_sgpr 28
		.amdhsa_reserve_vcc 1
		.amdhsa_float_round_mode_32 0
		.amdhsa_float_round_mode_16_64 0
		.amdhsa_float_denorm_mode_32 3
		.amdhsa_float_denorm_mode_16_64 3
		.amdhsa_dx10_clamp 1
		.amdhsa_ieee_mode 1
		.amdhsa_fp16_overflow 0
		.amdhsa_workgroup_processor_mode 1
		.amdhsa_memory_ordered 1
		.amdhsa_forward_progress 0
		.amdhsa_shared_vgpr_count 0
		.amdhsa_exception_fp_ieee_invalid_op 0
		.amdhsa_exception_fp_denorm_src 0
		.amdhsa_exception_fp_ieee_div_zero 0
		.amdhsa_exception_fp_ieee_overflow 0
		.amdhsa_exception_fp_ieee_underflow 0
		.amdhsa_exception_fp_ieee_inexact 0
		.amdhsa_exception_int_div_zero 0
	.end_amdhsa_kernel
	.section	.text._ZL18rocblas_dot_kernelIlLb0ELi512ELi4ELb0EfPKDF16_fEviT5_lT_lS2_lS3_liPT6_PT4_,"axG",@progbits,_ZL18rocblas_dot_kernelIlLb0ELi512ELi4ELb0EfPKDF16_fEviT5_lT_lS2_lS3_liPT6_PT4_,comdat
.Lfunc_end333:
	.size	_ZL18rocblas_dot_kernelIlLb0ELi512ELi4ELb0EfPKDF16_fEviT5_lT_lS2_lS3_liPT6_PT4_, .Lfunc_end333-_ZL18rocblas_dot_kernelIlLb0ELi512ELi4ELb0EfPKDF16_fEviT5_lT_lS2_lS3_liPT6_PT4_
                                        ; -- End function
	.section	.AMDGPU.csdata,"",@progbits
; Kernel info:
; codeLenInByte = 1076
; NumSgprs: 30
; NumVgprs: 11
; ScratchSize: 0
; MemoryBound: 0
; FloatMode: 240
; IeeeMode: 1
; LDSByteSize: 128 bytes/workgroup (compile time only)
; SGPRBlocks: 3
; VGPRBlocks: 1
; NumSGPRsForWavesPerEU: 30
; NumVGPRsForWavesPerEU: 11
; Occupancy: 16
; WaveLimiterHint : 0
; COMPUTE_PGM_RSRC2:SCRATCH_EN: 0
; COMPUTE_PGM_RSRC2:USER_SGPR: 14
; COMPUTE_PGM_RSRC2:TRAP_HANDLER: 0
; COMPUTE_PGM_RSRC2:TGID_X_EN: 1
; COMPUTE_PGM_RSRC2:TGID_Y_EN: 0
; COMPUTE_PGM_RSRC2:TGID_Z_EN: 1
; COMPUTE_PGM_RSRC2:TIDIG_COMP_CNT: 0
	.section	.text._ZL24rocblas_dot_kernel_magsqIlLb0ELi512ELi4ELb0EfPKDF16_fEviT5_lT_liPT6_PT4_,"axG",@progbits,_ZL24rocblas_dot_kernel_magsqIlLb0ELi512ELi4ELb0EfPKDF16_fEviT5_lT_liPT6_PT4_,comdat
	.globl	_ZL24rocblas_dot_kernel_magsqIlLb0ELi512ELi4ELb0EfPKDF16_fEviT5_lT_liPT6_PT4_ ; -- Begin function _ZL24rocblas_dot_kernel_magsqIlLb0ELi512ELi4ELb0EfPKDF16_fEviT5_lT_liPT6_PT4_
	.p2align	8
	.type	_ZL24rocblas_dot_kernel_magsqIlLb0ELi512ELi4ELb0EfPKDF16_fEviT5_lT_liPT6_PT4_,@function
_ZL24rocblas_dot_kernel_magsqIlLb0ELi512ELi4ELb0EfPKDF16_fEviT5_lT_liPT6_PT4_: ; @_ZL24rocblas_dot_kernel_magsqIlLb0ELi512ELi4ELb0EfPKDF16_fEviT5_lT_liPT6_PT4_
; %bb.0:
	s_clause 0x2
	s_load_b32 s11, s[0:1], 0x0
	s_load_b128 s[4:7], s[0:1], 0x30
	s_load_b32 s10, s[0:1], 0x40
	v_lshl_or_b32 v1, s14, 9, v0
	v_mov_b32_e32 v3, 0
	s_mov_b32 s2, s15
	s_mov_b32 s3, 0
	s_mov_b32 s12, exec_lo
	s_waitcnt lgkmcnt(0)
	v_cmpx_gt_i32_e64 s11, v1
	s_cbranch_execz .LBB334_4
; %bb.1:
	s_clause 0x2
	s_load_b128 s[16:19], s[0:1], 0x10
	s_load_b64 s[8:9], s[0:1], 0x20
	s_load_b64 s[20:21], s[0:1], 0x8
	v_ashrrev_i32_e32 v2, 31, v1
	s_lshl_b32 s1, s10, 9
	s_delay_alu instid0(SALU_CYCLE_1)
	v_add_nc_u32_e32 v4, s1, v1
	s_waitcnt lgkmcnt(0)
	v_mul_lo_u32 v5, s19, v1
	v_mul_lo_u32 v6, s18, v2
	v_mad_u64_u32 v[2:3], null, s18, v1, 0
	s_mul_i32 s0, s9, s2
	s_mul_hi_u32 s9, s8, s2
	s_mul_i32 s8, s8, s2
	s_add_i32 s9, s9, s0
	s_lshl_b64 s[16:17], s[16:17], 1
	s_lshl_b64 s[8:9], s[8:9], 1
	s_delay_alu instid0(VALU_DEP_1)
	v_add3_u32 v3, v3, v6, v5
	s_add_u32 s0, s20, s16
	s_addc_u32 s13, s21, s17
	s_add_u32 s0, s0, s8
	s_addc_u32 s13, s13, s9
	v_lshlrev_b64 v[1:2], 1, v[2:3]
	v_mov_b32_e32 v3, 0
	s_ashr_i32 s8, s1, 31
	s_mul_hi_u32 s9, s18, s1
	s_mul_i32 s8, s18, s8
	s_mul_i32 s15, s19, s1
	v_add_co_u32 v1, vcc_lo, s0, v1
	s_add_i32 s9, s9, s8
	v_add_co_ci_u32_e32 v2, vcc_lo, s13, v2, vcc_lo
	s_mul_i32 s8, s18, s1
	s_add_i32 s9, s9, s15
	s_mov_b32 s13, s3
	s_lshl_b64 s[8:9], s[8:9], 1
	s_mov_b32 s15, s3
	.p2align	6
.LBB334_2:                              ; =>This Inner Loop Header: Depth=1
	global_load_u16 v5, v[1:2], off
	s_add_i32 s16, s15, 1
	v_cmp_le_i32_e32 vcc_lo, s11, v4
	v_add_co_u32 v1, s0, v1, s8
	s_cmp_gt_u32 s15, 2
	v_add_co_ci_u32_e64 v2, s0, s9, v2, s0
	s_cselect_b32 s0, -1, 0
	v_add_nc_u32_e32 v4, s1, v4
	s_or_b32 s0, s0, vcc_lo
	s_mov_b32 s15, s16
	s_and_b32 s0, exec_lo, s0
	s_delay_alu instid0(SALU_CYCLE_1)
	s_or_b32 s13, s0, s13
	s_waitcnt vmcnt(0)
	v_fma_mix_f32 v3, v5, v5, v3 op_sel_hi:[1,1,0]
	s_and_not1_b32 exec_lo, exec_lo, s13
	s_cbranch_execnz .LBB334_2
; %bb.3:
	s_or_b32 exec_lo, exec_lo, s13
.LBB334_4:
	s_delay_alu instid0(SALU_CYCLE_1) | instskip(SKIP_2) | instid1(VALU_DEP_2)
	s_or_b32 exec_lo, exec_lo, s12
	v_and_b32_e32 v2, 31, v0
	v_cmp_gt_u32_e32 vcc_lo, 32, v0
	v_lshlrev_b32_e32 v1, 2, v2
	s_and_saveexec_b32 s0, vcc_lo
	s_cbranch_execz .LBB334_6
; %bb.5:
	v_mov_b32_e32 v4, 0
	ds_store_b32 v1, v4
.LBB334_6:
	s_or_b32 exec_lo, exec_lo, s0
	v_mbcnt_lo_u32_b32 v6, -1, 0
	s_mov_b32 s1, exec_lo
	s_waitcnt lgkmcnt(0)
	s_barrier
	buffer_gl0_inv
	v_cmp_gt_u32_e64 s0, 16, v6
	s_delay_alu instid0(VALU_DEP_1) | instskip(SKIP_1) | instid1(VALU_DEP_2)
	v_cndmask_b32_e64 v4, 0, 1, s0
	v_cmp_gt_u32_e64 s0, 24, v6
	v_lshlrev_b32_e32 v4, 4, v4
	s_delay_alu instid0(VALU_DEP_1) | instskip(SKIP_4) | instid1(VALU_DEP_2)
	v_add_lshl_u32 v4, v4, v6, 2
	ds_bpermute_b32 v5, v4, v3
	v_cndmask_b32_e64 v4, 0, 1, s0
	v_cmp_gt_u32_e64 s0, 28, v6
	s_waitcnt lgkmcnt(0)
	v_dual_add_f32 v5, v3, v5 :: v_dual_lshlrev_b32 v4, 3, v4
	s_delay_alu instid0(VALU_DEP_2) | instskip(SKIP_1) | instid1(VALU_DEP_3)
	v_cndmask_b32_e64 v3, 0, 1, s0
	v_cmp_gt_u32_e64 s0, 30, v6
	v_add_lshl_u32 v4, v4, v6, 2
	s_delay_alu instid0(VALU_DEP_3)
	v_lshlrev_b32_e32 v3, 2, v3
	ds_bpermute_b32 v7, v4, v5
	v_add_lshl_u32 v3, v3, v6, 2
	s_waitcnt lgkmcnt(0)
	v_add_f32_e32 v7, v5, v7
	v_cndmask_b32_e64 v5, 0, 1, s0
	v_cmp_ne_u32_e64 s0, 31, v6
	ds_bpermute_b32 v8, v3, v7
	v_lshlrev_b32_e32 v5, 1, v5
	s_delay_alu instid0(VALU_DEP_1) | instskip(SKIP_2) | instid1(VALU_DEP_1)
	v_add_lshl_u32 v5, v5, v6, 2
	v_add_co_ci_u32_e64 v6, s0, 0, v6, s0
	s_waitcnt lgkmcnt(0)
	v_dual_add_f32 v7, v7, v8 :: v_dual_lshlrev_b32 v6, 2, v6
	ds_bpermute_b32 v8, v5, v7
	s_waitcnt lgkmcnt(0)
	v_add_f32_e32 v7, v7, v8
	ds_bpermute_b32 v8, v6, v7
	v_cmpx_eq_u32_e32 0, v2
	s_cbranch_execz .LBB334_8
; %bb.7:
	v_lshrrev_b32_e32 v2, 3, v0
	s_waitcnt lgkmcnt(0)
	s_delay_alu instid0(VALU_DEP_1)
	v_dual_add_f32 v7, v7, v8 :: v_dual_and_b32 v2, 60, v2
	ds_store_b32 v2, v7
.LBB334_8:
	s_or_b32 exec_lo, exec_lo, s1
	v_mov_b32_e32 v2, 0
	s_mov_b32 s1, exec_lo
	s_waitcnt lgkmcnt(0)
	s_barrier
	buffer_gl0_inv
	v_cmpx_gt_u32_e32 16, v0
	s_cbranch_execz .LBB334_10
; %bb.9:
	ds_load_b32 v2, v1
.LBB334_10:
	s_or_b32 exec_lo, exec_lo, s1
	s_and_saveexec_b32 s0, vcc_lo
	s_cbranch_execz .LBB334_12
; %bb.11:
	s_waitcnt lgkmcnt(0)
	ds_bpermute_b32 v1, v4, v2
	s_waitcnt lgkmcnt(0)
	v_add_f32_e32 v1, v2, v1
	ds_bpermute_b32 v2, v3, v1
	s_waitcnt lgkmcnt(0)
	v_add_f32_e32 v1, v1, v2
	;; [unrolled: 3-line block ×4, first 2 shown]
.LBB334_12:
	s_or_b32 exec_lo, exec_lo, s0
	s_delay_alu instid0(SALU_CYCLE_1)
	s_mov_b32 s0, exec_lo
	v_cmpx_eq_u32_e32 0, v0
	s_cbranch_execz .LBB334_18
; %bb.13:
	s_cmp_lg_u32 s10, 1
	s_cbranch_scc0 .LBB334_15
; %bb.14:
	s_mul_hi_u32 s1, s10, s2
	s_mul_i32 s0, s10, s2
	s_mov_b32 s15, 0
	s_lshl_b64 s[0:1], s[0:1], 2
	s_delay_alu instid0(SALU_CYCLE_1) | instskip(SKIP_2) | instid1(SALU_CYCLE_1)
	s_add_u32 s4, s4, s0
	s_addc_u32 s5, s5, s1
	s_lshl_b64 s[0:1], s[14:15], 2
	s_add_u32 s0, s4, s0
	s_addc_u32 s1, s5, s1
	s_cbranch_execz .LBB334_16
	s_branch .LBB334_17
.LBB334_15:
                                        ; implicit-def: $sgpr0_sgpr1
.LBB334_16:
	s_lshl_b64 s[0:1], s[2:3], 2
	s_delay_alu instid0(SALU_CYCLE_1)
	s_add_u32 s0, s6, s0
	s_addc_u32 s1, s7, s1
.LBB334_17:
	v_mov_b32_e32 v0, 0
	s_waitcnt lgkmcnt(0)
	global_store_b32 v0, v2, s[0:1]
.LBB334_18:
	s_nop 0
	s_sendmsg sendmsg(MSG_DEALLOC_VGPRS)
	s_endpgm
	.section	.rodata,"a",@progbits
	.p2align	6, 0x0
	.amdhsa_kernel _ZL24rocblas_dot_kernel_magsqIlLb0ELi512ELi4ELb0EfPKDF16_fEviT5_lT_liPT6_PT4_
		.amdhsa_group_segment_fixed_size 128
		.amdhsa_private_segment_fixed_size 0
		.amdhsa_kernarg_size 320
		.amdhsa_user_sgpr_count 14
		.amdhsa_user_sgpr_dispatch_ptr 0
		.amdhsa_user_sgpr_queue_ptr 0
		.amdhsa_user_sgpr_kernarg_segment_ptr 1
		.amdhsa_user_sgpr_dispatch_id 0
		.amdhsa_user_sgpr_private_segment_size 0
		.amdhsa_wavefront_size32 1
		.amdhsa_uses_dynamic_stack 0
		.amdhsa_enable_private_segment 0
		.amdhsa_system_sgpr_workgroup_id_x 1
		.amdhsa_system_sgpr_workgroup_id_y 0
		.amdhsa_system_sgpr_workgroup_id_z 1
		.amdhsa_system_sgpr_workgroup_info 0
		.amdhsa_system_vgpr_workitem_id 0
		.amdhsa_next_free_vgpr 9
		.amdhsa_next_free_sgpr 22
		.amdhsa_reserve_vcc 1
		.amdhsa_float_round_mode_32 0
		.amdhsa_float_round_mode_16_64 0
		.amdhsa_float_denorm_mode_32 3
		.amdhsa_float_denorm_mode_16_64 3
		.amdhsa_dx10_clamp 1
		.amdhsa_ieee_mode 1
		.amdhsa_fp16_overflow 0
		.amdhsa_workgroup_processor_mode 1
		.amdhsa_memory_ordered 1
		.amdhsa_forward_progress 0
		.amdhsa_shared_vgpr_count 0
		.amdhsa_exception_fp_ieee_invalid_op 0
		.amdhsa_exception_fp_denorm_src 0
		.amdhsa_exception_fp_ieee_div_zero 0
		.amdhsa_exception_fp_ieee_overflow 0
		.amdhsa_exception_fp_ieee_underflow 0
		.amdhsa_exception_fp_ieee_inexact 0
		.amdhsa_exception_int_div_zero 0
	.end_amdhsa_kernel
	.section	.text._ZL24rocblas_dot_kernel_magsqIlLb0ELi512ELi4ELb0EfPKDF16_fEviT5_lT_liPT6_PT4_,"axG",@progbits,_ZL24rocblas_dot_kernel_magsqIlLb0ELi512ELi4ELb0EfPKDF16_fEviT5_lT_liPT6_PT4_,comdat
.Lfunc_end334:
	.size	_ZL24rocblas_dot_kernel_magsqIlLb0ELi512ELi4ELb0EfPKDF16_fEviT5_lT_liPT6_PT4_, .Lfunc_end334-_ZL24rocblas_dot_kernel_magsqIlLb0ELi512ELi4ELb0EfPKDF16_fEviT5_lT_liPT6_PT4_
                                        ; -- End function
	.section	.AMDGPU.csdata,"",@progbits
; Kernel info:
; codeLenInByte = 920
; NumSgprs: 24
; NumVgprs: 9
; ScratchSize: 0
; MemoryBound: 0
; FloatMode: 240
; IeeeMode: 1
; LDSByteSize: 128 bytes/workgroup (compile time only)
; SGPRBlocks: 2
; VGPRBlocks: 1
; NumSGPRsForWavesPerEU: 24
; NumVGPRsForWavesPerEU: 9
; Occupancy: 16
; WaveLimiterHint : 0
; COMPUTE_PGM_RSRC2:SCRATCH_EN: 0
; COMPUTE_PGM_RSRC2:USER_SGPR: 14
; COMPUTE_PGM_RSRC2:TRAP_HANDLER: 0
; COMPUTE_PGM_RSRC2:TGID_X_EN: 1
; COMPUTE_PGM_RSRC2:TGID_Y_EN: 0
; COMPUTE_PGM_RSRC2:TGID_Z_EN: 1
; COMPUTE_PGM_RSRC2:TIDIG_COMP_CNT: 0
	.section	.text._ZL28rocblas_dot_batched_4_kernelIlLi32ELi4ELb0EffPKPKDF16_EviT5_lT_lS4_lS5_liPT4_,"axG",@progbits,_ZL28rocblas_dot_batched_4_kernelIlLi32ELi4ELb0EffPKPKDF16_EviT5_lT_lS4_lS5_liPT4_,comdat
	.globl	_ZL28rocblas_dot_batched_4_kernelIlLi32ELi4ELb0EffPKPKDF16_EviT5_lT_lS4_lS5_liPT4_ ; -- Begin function _ZL28rocblas_dot_batched_4_kernelIlLi32ELi4ELb0EffPKPKDF16_EviT5_lT_lS4_lS5_liPT4_
	.p2align	8
	.type	_ZL28rocblas_dot_batched_4_kernelIlLi32ELi4ELb0EffPKPKDF16_EviT5_lT_lS4_lS5_liPT4_,@function
_ZL28rocblas_dot_batched_4_kernelIlLi32ELi4ELb0EffPKPKDF16_EviT5_lT_lS4_lS5_liPT4_: ; @_ZL28rocblas_dot_batched_4_kernelIlLi32ELi4ELb0EffPKPKDF16_EviT5_lT_lS4_lS5_liPT4_
; %bb.0:
	s_load_b32 s2, s[0:1], 0x48
	v_bfe_u32 v1, v0, 10, 10
	s_delay_alu instid0(VALU_DEP_1) | instskip(SKIP_1) | instid1(VALU_DEP_1)
	v_lshl_add_u32 v1, s15, 2, v1
	s_waitcnt lgkmcnt(0)
	v_cmp_gt_u32_e32 vcc_lo, s2, v1
	s_and_saveexec_b32 s2, vcc_lo
	s_cbranch_execz .LBB335_7
; %bb.1:
	s_clause 0x1
	s_load_b32 s10, s[0:1], 0x0
	s_load_b64 s[8:9], s[0:1], 0x50
	v_mov_b32_e32 v2, 0
	v_and_b32_e32 v0, 0x3ff, v0
	s_mov_b32 s11, exec_lo
	s_delay_alu instid0(VALU_DEP_2) | instskip(SKIP_1) | instid1(VALU_DEP_2)
	v_mov_b32_e32 v7, v2
	s_waitcnt lgkmcnt(0)
	v_cmpx_gt_i32_e64 s10, v0
	s_cbranch_execz .LBB335_5
; %bb.2:
	s_clause 0x1
	s_load_b64 s[12:13], s[0:1], 0x8
	s_load_b64 s[14:15], s[0:1], 0x28
	v_lshlrev_b64 v[3:4], 3, v[1:2]
	s_clause 0x1
	s_load_b128 s[4:7], s[0:1], 0x10
	s_load_b128 s[0:3], s[0:1], 0x30
	s_waitcnt lgkmcnt(0)
	s_delay_alu instid0(VALU_DEP_1)
	v_add_co_u32 v5, vcc_lo, s12, v3
	v_add_co_ci_u32_e32 v6, vcc_lo, s13, v4, vcc_lo
	v_add_co_u32 v3, vcc_lo, s14, v3
	v_add_co_ci_u32_e32 v4, vcc_lo, s15, v4, vcc_lo
	v_mad_u64_u32 v[10:11], null, s2, v0, 0
	global_load_b64 v[5:6], v[5:6], off
	global_load_b64 v[8:9], v[3:4], off
	v_mad_u64_u32 v[3:4], null, s6, v0, 0
	s_lshl_b64 s[4:5], s[4:5], 1
	s_lshl_b64 s[0:1], s[0:1], 1
	v_mov_b32_e32 v7, v11
	s_waitcnt vmcnt(1)
	s_delay_alu instid0(VALU_DEP_2) | instskip(SKIP_1) | instid1(VALU_DEP_2)
	v_mad_u64_u32 v[11:12], null, s7, v0, v[4:5]
	s_waitcnt vmcnt(0)
	v_mad_u64_u32 v[12:13], null, s3, v0, v[7:8]
	v_mov_b32_e32 v7, 0
	s_lshl_b64 s[2:3], s[2:3], 6
	s_delay_alu instid0(VALU_DEP_2) | instskip(NEXT) | instid1(VALU_DEP_1)
	v_dual_mov_b32 v4, v11 :: v_dual_mov_b32 v11, v12
	v_lshlrev_b64 v[3:4], 1, v[3:4]
	s_delay_alu instid0(VALU_DEP_2) | instskip(NEXT) | instid1(VALU_DEP_2)
	v_lshlrev_b64 v[10:11], 1, v[10:11]
	v_add_co_u32 v3, vcc_lo, v3, s4
	s_delay_alu instid0(VALU_DEP_3) | instskip(NEXT) | instid1(VALU_DEP_3)
	v_add_co_ci_u32_e32 v4, vcc_lo, s5, v4, vcc_lo
	v_add_co_u32 v10, vcc_lo, v10, s0
	s_delay_alu instid0(VALU_DEP_4) | instskip(NEXT) | instid1(VALU_DEP_4)
	v_add_co_ci_u32_e32 v11, vcc_lo, s1, v11, vcc_lo
	v_add_co_u32 v3, vcc_lo, v5, v3
	s_delay_alu instid0(VALU_DEP_4) | instskip(NEXT) | instid1(VALU_DEP_4)
	v_add_co_ci_u32_e32 v4, vcc_lo, v6, v4, vcc_lo
	v_add_co_u32 v5, vcc_lo, v8, v10
	s_delay_alu instid0(VALU_DEP_4)
	v_add_co_ci_u32_e32 v6, vcc_lo, v9, v11, vcc_lo
	v_mov_b32_e32 v8, v0
	s_lshl_b64 s[4:5], s[6:7], 6
	s_mov_b32 s1, 0
	.p2align	6
.LBB335_3:                              ; =>This Inner Loop Header: Depth=1
	global_load_u16 v9, v[3:4], off
	global_load_u16 v10, v[5:6], off
	v_add_nc_u32_e32 v8, 32, v8
	v_add_co_u32 v3, vcc_lo, v3, s4
	v_add_co_ci_u32_e32 v4, vcc_lo, s5, v4, vcc_lo
	v_add_co_u32 v5, vcc_lo, v5, s2
	s_delay_alu instid0(VALU_DEP_4) | instskip(SKIP_1) | instid1(VALU_DEP_2)
	v_cmp_le_i32_e64 s0, s10, v8
	v_add_co_ci_u32_e32 v6, vcc_lo, s3, v6, vcc_lo
	s_or_b32 s1, s0, s1
	s_waitcnt vmcnt(0)
	v_fma_mix_f32 v7, v9, v10, v7 op_sel_hi:[1,1,0]
	s_and_not1_b32 exec_lo, exec_lo, s1
	s_cbranch_execnz .LBB335_3
; %bb.4:
	s_or_b32 exec_lo, exec_lo, s1
.LBB335_5:
	s_delay_alu instid0(SALU_CYCLE_1)
	s_or_b32 exec_lo, exec_lo, s11
	v_mbcnt_lo_u32_b32 v3, -1, 0
	s_barrier
	buffer_gl0_inv
	v_cmp_gt_u32_e32 vcc_lo, 16, v3
	v_cndmask_b32_e64 v4, 0, 1, vcc_lo
	v_cmp_gt_u32_e32 vcc_lo, 24, v3
	s_delay_alu instid0(VALU_DEP_2) | instskip(SKIP_2) | instid1(VALU_DEP_3)
	v_lshlrev_b32_e32 v4, 4, v4
	v_cndmask_b32_e64 v5, 0, 1, vcc_lo
	v_cmp_gt_u32_e32 vcc_lo, 28, v3
	v_add_lshl_u32 v4, v4, v3, 2
	v_cndmask_b32_e64 v6, 0, 1, vcc_lo
	v_cmp_gt_u32_e32 vcc_lo, 30, v3
	ds_bpermute_b32 v4, v4, v7
	v_lshlrev_b32_e32 v5, 3, v5
	v_lshlrev_b32_e32 v6, 2, v6
	s_delay_alu instid0(VALU_DEP_1)
	v_add_lshl_u32 v6, v6, v3, 2
	s_waitcnt lgkmcnt(0)
	v_add_f32_e32 v4, v7, v4
	v_add_lshl_u32 v5, v5, v3, 2
	ds_bpermute_b32 v5, v5, v4
	s_waitcnt lgkmcnt(0)
	v_add_f32_e32 v4, v4, v5
	ds_bpermute_b32 v5, v6, v4
	v_cndmask_b32_e64 v6, 0, 1, vcc_lo
	v_cmp_ne_u32_e32 vcc_lo, 31, v3
	s_delay_alu instid0(VALU_DEP_2) | instskip(NEXT) | instid1(VALU_DEP_1)
	v_lshlrev_b32_e32 v6, 1, v6
	v_add_lshl_u32 v6, v6, v3, 2
	s_waitcnt lgkmcnt(0)
	v_add_f32_e32 v4, v4, v5
	ds_bpermute_b32 v5, v6, v4
	v_add_co_ci_u32_e32 v6, vcc_lo, 0, v3, vcc_lo
	v_cmp_eq_u32_e32 vcc_lo, 0, v0
	s_waitcnt lgkmcnt(0)
	s_delay_alu instid0(VALU_DEP_2)
	v_dual_add_f32 v3, v4, v5 :: v_dual_lshlrev_b32 v4, 2, v6
	ds_bpermute_b32 v4, v4, v3
	s_and_b32 exec_lo, exec_lo, vcc_lo
	s_cbranch_execz .LBB335_7
; %bb.6:
	v_lshlrev_b64 v[0:1], 2, v[1:2]
	s_waitcnt lgkmcnt(0)
	v_add_f32_e32 v2, v3, v4
	s_delay_alu instid0(VALU_DEP_2) | instskip(NEXT) | instid1(VALU_DEP_3)
	v_add_co_u32 v0, vcc_lo, s8, v0
	v_add_co_ci_u32_e32 v1, vcc_lo, s9, v1, vcc_lo
	global_store_b32 v[0:1], v2, off
.LBB335_7:
	s_nop 0
	s_sendmsg sendmsg(MSG_DEALLOC_VGPRS)
	s_endpgm
	.section	.rodata,"a",@progbits
	.p2align	6, 0x0
	.amdhsa_kernel _ZL28rocblas_dot_batched_4_kernelIlLi32ELi4ELb0EffPKPKDF16_EviT5_lT_lS4_lS5_liPT4_
		.amdhsa_group_segment_fixed_size 0
		.amdhsa_private_segment_fixed_size 0
		.amdhsa_kernarg_size 88
		.amdhsa_user_sgpr_count 15
		.amdhsa_user_sgpr_dispatch_ptr 0
		.amdhsa_user_sgpr_queue_ptr 0
		.amdhsa_user_sgpr_kernarg_segment_ptr 1
		.amdhsa_user_sgpr_dispatch_id 0
		.amdhsa_user_sgpr_private_segment_size 0
		.amdhsa_wavefront_size32 1
		.amdhsa_uses_dynamic_stack 0
		.amdhsa_enable_private_segment 0
		.amdhsa_system_sgpr_workgroup_id_x 1
		.amdhsa_system_sgpr_workgroup_id_y 0
		.amdhsa_system_sgpr_workgroup_id_z 0
		.amdhsa_system_sgpr_workgroup_info 0
		.amdhsa_system_vgpr_workitem_id 1
		.amdhsa_next_free_vgpr 14
		.amdhsa_next_free_sgpr 16
		.amdhsa_reserve_vcc 1
		.amdhsa_float_round_mode_32 0
		.amdhsa_float_round_mode_16_64 0
		.amdhsa_float_denorm_mode_32 3
		.amdhsa_float_denorm_mode_16_64 3
		.amdhsa_dx10_clamp 1
		.amdhsa_ieee_mode 1
		.amdhsa_fp16_overflow 0
		.amdhsa_workgroup_processor_mode 1
		.amdhsa_memory_ordered 1
		.amdhsa_forward_progress 0
		.amdhsa_shared_vgpr_count 0
		.amdhsa_exception_fp_ieee_invalid_op 0
		.amdhsa_exception_fp_denorm_src 0
		.amdhsa_exception_fp_ieee_div_zero 0
		.amdhsa_exception_fp_ieee_overflow 0
		.amdhsa_exception_fp_ieee_underflow 0
		.amdhsa_exception_fp_ieee_inexact 0
		.amdhsa_exception_int_div_zero 0
	.end_amdhsa_kernel
	.section	.text._ZL28rocblas_dot_batched_4_kernelIlLi32ELi4ELb0EffPKPKDF16_EviT5_lT_lS4_lS5_liPT4_,"axG",@progbits,_ZL28rocblas_dot_batched_4_kernelIlLi32ELi4ELb0EffPKPKDF16_EviT5_lT_lS4_lS5_liPT4_,comdat
.Lfunc_end335:
	.size	_ZL28rocblas_dot_batched_4_kernelIlLi32ELi4ELb0EffPKPKDF16_EviT5_lT_lS4_lS5_liPT4_, .Lfunc_end335-_ZL28rocblas_dot_batched_4_kernelIlLi32ELi4ELb0EffPKPKDF16_EviT5_lT_lS4_lS5_liPT4_
                                        ; -- End function
	.section	.AMDGPU.csdata,"",@progbits
; Kernel info:
; codeLenInByte = 744
; NumSgprs: 18
; NumVgprs: 14
; ScratchSize: 0
; MemoryBound: 0
; FloatMode: 240
; IeeeMode: 1
; LDSByteSize: 0 bytes/workgroup (compile time only)
; SGPRBlocks: 2
; VGPRBlocks: 1
; NumSGPRsForWavesPerEU: 18
; NumVGPRsForWavesPerEU: 14
; Occupancy: 16
; WaveLimiterHint : 0
; COMPUTE_PGM_RSRC2:SCRATCH_EN: 0
; COMPUTE_PGM_RSRC2:USER_SGPR: 15
; COMPUTE_PGM_RSRC2:TRAP_HANDLER: 0
; COMPUTE_PGM_RSRC2:TGID_X_EN: 1
; COMPUTE_PGM_RSRC2:TGID_Y_EN: 0
; COMPUTE_PGM_RSRC2:TGID_Z_EN: 0
; COMPUTE_PGM_RSRC2:TIDIG_COMP_CNT: 1
	.section	.text._ZL28rocblas_dot_batched_4_kernelIlLi64ELi4ELb0EffPKPKDF16_EviT5_lT_lS4_lS5_liPT4_,"axG",@progbits,_ZL28rocblas_dot_batched_4_kernelIlLi64ELi4ELb0EffPKPKDF16_EviT5_lT_lS4_lS5_liPT4_,comdat
	.globl	_ZL28rocblas_dot_batched_4_kernelIlLi64ELi4ELb0EffPKPKDF16_EviT5_lT_lS4_lS5_liPT4_ ; -- Begin function _ZL28rocblas_dot_batched_4_kernelIlLi64ELi4ELb0EffPKPKDF16_EviT5_lT_lS4_lS5_liPT4_
	.p2align	8
	.type	_ZL28rocblas_dot_batched_4_kernelIlLi64ELi4ELb0EffPKPKDF16_EviT5_lT_lS4_lS5_liPT4_,@function
_ZL28rocblas_dot_batched_4_kernelIlLi64ELi4ELb0EffPKPKDF16_EviT5_lT_lS4_lS5_liPT4_: ; @_ZL28rocblas_dot_batched_4_kernelIlLi64ELi4ELb0EffPKPKDF16_EviT5_lT_lS4_lS5_liPT4_
; %bb.0:
	s_load_b32 s2, s[0:1], 0x48
	v_bfe_u32 v1, v0, 10, 10
	s_delay_alu instid0(VALU_DEP_1) | instskip(SKIP_1) | instid1(VALU_DEP_1)
	v_lshl_add_u32 v1, s15, 2, v1
	s_waitcnt lgkmcnt(0)
	v_cmp_gt_u32_e32 vcc_lo, s2, v1
	s_and_saveexec_b32 s2, vcc_lo
	s_cbranch_execz .LBB336_7
; %bb.1:
	s_clause 0x1
	s_load_b32 s10, s[0:1], 0x0
	s_load_b64 s[8:9], s[0:1], 0x50
	v_mov_b32_e32 v2, 0
	v_and_b32_e32 v0, 0x3ff, v0
	s_mov_b32 s11, exec_lo
	s_delay_alu instid0(VALU_DEP_2) | instskip(SKIP_1) | instid1(VALU_DEP_2)
	v_mov_b32_e32 v7, v2
	s_waitcnt lgkmcnt(0)
	v_cmpx_gt_i32_e64 s10, v0
	s_cbranch_execz .LBB336_5
; %bb.2:
	s_clause 0x1
	s_load_b64 s[12:13], s[0:1], 0x8
	s_load_b64 s[14:15], s[0:1], 0x28
	v_lshlrev_b64 v[3:4], 3, v[1:2]
	s_clause 0x1
	s_load_b128 s[4:7], s[0:1], 0x10
	s_load_b128 s[0:3], s[0:1], 0x30
	s_waitcnt lgkmcnt(0)
	s_delay_alu instid0(VALU_DEP_1)
	v_add_co_u32 v5, vcc_lo, s12, v3
	v_add_co_ci_u32_e32 v6, vcc_lo, s13, v4, vcc_lo
	v_add_co_u32 v3, vcc_lo, s14, v3
	v_add_co_ci_u32_e32 v4, vcc_lo, s15, v4, vcc_lo
	v_mad_u64_u32 v[10:11], null, s2, v0, 0
	global_load_b64 v[5:6], v[5:6], off
	global_load_b64 v[8:9], v[3:4], off
	v_mad_u64_u32 v[3:4], null, s6, v0, 0
	s_lshl_b64 s[4:5], s[4:5], 1
	s_lshl_b64 s[0:1], s[0:1], 1
	v_mov_b32_e32 v7, v11
	s_waitcnt vmcnt(1)
	s_delay_alu instid0(VALU_DEP_2) | instskip(SKIP_1) | instid1(VALU_DEP_2)
	v_mad_u64_u32 v[11:12], null, s7, v0, v[4:5]
	s_waitcnt vmcnt(0)
	v_mad_u64_u32 v[12:13], null, s3, v0, v[7:8]
	v_mov_b32_e32 v7, 0
	s_lshl_b64 s[2:3], s[2:3], 7
	s_delay_alu instid0(VALU_DEP_2) | instskip(NEXT) | instid1(VALU_DEP_1)
	v_dual_mov_b32 v4, v11 :: v_dual_mov_b32 v11, v12
	v_lshlrev_b64 v[3:4], 1, v[3:4]
	s_delay_alu instid0(VALU_DEP_2) | instskip(NEXT) | instid1(VALU_DEP_2)
	v_lshlrev_b64 v[10:11], 1, v[10:11]
	v_add_co_u32 v3, vcc_lo, v3, s4
	s_delay_alu instid0(VALU_DEP_3) | instskip(NEXT) | instid1(VALU_DEP_3)
	v_add_co_ci_u32_e32 v4, vcc_lo, s5, v4, vcc_lo
	v_add_co_u32 v10, vcc_lo, v10, s0
	s_delay_alu instid0(VALU_DEP_4) | instskip(NEXT) | instid1(VALU_DEP_4)
	v_add_co_ci_u32_e32 v11, vcc_lo, s1, v11, vcc_lo
	v_add_co_u32 v3, vcc_lo, v5, v3
	s_delay_alu instid0(VALU_DEP_4) | instskip(NEXT) | instid1(VALU_DEP_4)
	v_add_co_ci_u32_e32 v4, vcc_lo, v6, v4, vcc_lo
	v_add_co_u32 v5, vcc_lo, v8, v10
	s_delay_alu instid0(VALU_DEP_4)
	v_add_co_ci_u32_e32 v6, vcc_lo, v9, v11, vcc_lo
	v_mov_b32_e32 v8, v0
	s_lshl_b64 s[4:5], s[6:7], 7
	s_mov_b32 s1, 0
	.p2align	6
.LBB336_3:                              ; =>This Inner Loop Header: Depth=1
	global_load_u16 v9, v[3:4], off
	global_load_u16 v10, v[5:6], off
	v_add_nc_u32_e32 v8, 64, v8
	v_add_co_u32 v3, vcc_lo, v3, s4
	v_add_co_ci_u32_e32 v4, vcc_lo, s5, v4, vcc_lo
	v_add_co_u32 v5, vcc_lo, v5, s2
	s_delay_alu instid0(VALU_DEP_4) | instskip(SKIP_1) | instid1(VALU_DEP_2)
	v_cmp_le_i32_e64 s0, s10, v8
	v_add_co_ci_u32_e32 v6, vcc_lo, s3, v6, vcc_lo
	s_or_b32 s1, s0, s1
	s_waitcnt vmcnt(0)
	v_fma_mix_f32 v7, v9, v10, v7 op_sel_hi:[1,1,0]
	s_and_not1_b32 exec_lo, exec_lo, s1
	s_cbranch_execnz .LBB336_3
; %bb.4:
	s_or_b32 exec_lo, exec_lo, s1
.LBB336_5:
	s_delay_alu instid0(SALU_CYCLE_1)
	s_or_b32 exec_lo, exec_lo, s11
	v_mbcnt_lo_u32_b32 v3, -1, 0
	s_barrier
	buffer_gl0_inv
	v_lshlrev_b32_e32 v4, 2, v3
	v_cmp_gt_u32_e32 vcc_lo, 16, v3
	ds_bpermute_b32 v4, v4, v7
	v_cndmask_b32_e64 v5, 0, 1, vcc_lo
	v_cmp_gt_u32_e32 vcc_lo, 24, v3
	s_delay_alu instid0(VALU_DEP_2) | instskip(SKIP_2) | instid1(VALU_DEP_2)
	v_lshlrev_b32_e32 v5, 4, v5
	v_cndmask_b32_e64 v6, 0, 1, vcc_lo
	v_cmp_gt_u32_e32 vcc_lo, 28, v3
	v_lshlrev_b32_e32 v6, 3, v6
	s_delay_alu instid0(VALU_DEP_1)
	v_add_lshl_u32 v6, v6, v3, 2
	s_waitcnt lgkmcnt(0)
	v_add_f32_e32 v4, v7, v4
	v_add_lshl_u32 v5, v5, v3, 2
	ds_bpermute_b32 v5, v5, v4
	s_waitcnt lgkmcnt(0)
	v_add_f32_e32 v4, v4, v5
	ds_bpermute_b32 v5, v6, v4
	v_cndmask_b32_e64 v6, 0, 1, vcc_lo
	v_cmp_gt_u32_e32 vcc_lo, 30, v3
	s_delay_alu instid0(VALU_DEP_2) | instskip(NEXT) | instid1(VALU_DEP_1)
	v_lshlrev_b32_e32 v6, 2, v6
	v_add_lshl_u32 v6, v6, v3, 2
	s_waitcnt lgkmcnt(0)
	v_add_f32_e32 v4, v4, v5
	ds_bpermute_b32 v5, v6, v4
	v_cndmask_b32_e64 v6, 0, 1, vcc_lo
	v_cmp_ne_u32_e32 vcc_lo, 31, v3
	s_delay_alu instid0(VALU_DEP_2) | instskip(NEXT) | instid1(VALU_DEP_1)
	v_lshlrev_b32_e32 v6, 1, v6
	v_add_lshl_u32 v6, v6, v3, 2
	s_waitcnt lgkmcnt(0)
	v_add_f32_e32 v4, v4, v5
	ds_bpermute_b32 v5, v6, v4
	v_add_co_ci_u32_e32 v6, vcc_lo, 0, v3, vcc_lo
	v_cmp_eq_u32_e32 vcc_lo, 0, v0
	s_waitcnt lgkmcnt(0)
	s_delay_alu instid0(VALU_DEP_2)
	v_dual_add_f32 v3, v4, v5 :: v_dual_lshlrev_b32 v4, 2, v6
	ds_bpermute_b32 v4, v4, v3
	s_and_b32 exec_lo, exec_lo, vcc_lo
	s_cbranch_execz .LBB336_7
; %bb.6:
	v_lshlrev_b64 v[0:1], 2, v[1:2]
	s_waitcnt lgkmcnt(0)
	v_add_f32_e32 v2, v3, v4
	s_delay_alu instid0(VALU_DEP_2) | instskip(NEXT) | instid1(VALU_DEP_3)
	v_add_co_u32 v0, vcc_lo, s8, v0
	v_add_co_ci_u32_e32 v1, vcc_lo, s9, v1, vcc_lo
	global_store_b32 v[0:1], v2, off
.LBB336_7:
	s_nop 0
	s_sendmsg sendmsg(MSG_DEALLOC_VGPRS)
	s_endpgm
	.section	.rodata,"a",@progbits
	.p2align	6, 0x0
	.amdhsa_kernel _ZL28rocblas_dot_batched_4_kernelIlLi64ELi4ELb0EffPKPKDF16_EviT5_lT_lS4_lS5_liPT4_
		.amdhsa_group_segment_fixed_size 0
		.amdhsa_private_segment_fixed_size 0
		.amdhsa_kernarg_size 88
		.amdhsa_user_sgpr_count 15
		.amdhsa_user_sgpr_dispatch_ptr 0
		.amdhsa_user_sgpr_queue_ptr 0
		.amdhsa_user_sgpr_kernarg_segment_ptr 1
		.amdhsa_user_sgpr_dispatch_id 0
		.amdhsa_user_sgpr_private_segment_size 0
		.amdhsa_wavefront_size32 1
		.amdhsa_uses_dynamic_stack 0
		.amdhsa_enable_private_segment 0
		.amdhsa_system_sgpr_workgroup_id_x 1
		.amdhsa_system_sgpr_workgroup_id_y 0
		.amdhsa_system_sgpr_workgroup_id_z 0
		.amdhsa_system_sgpr_workgroup_info 0
		.amdhsa_system_vgpr_workitem_id 1
		.amdhsa_next_free_vgpr 14
		.amdhsa_next_free_sgpr 16
		.amdhsa_reserve_vcc 1
		.amdhsa_float_round_mode_32 0
		.amdhsa_float_round_mode_16_64 0
		.amdhsa_float_denorm_mode_32 3
		.amdhsa_float_denorm_mode_16_64 3
		.amdhsa_dx10_clamp 1
		.amdhsa_ieee_mode 1
		.amdhsa_fp16_overflow 0
		.amdhsa_workgroup_processor_mode 1
		.amdhsa_memory_ordered 1
		.amdhsa_forward_progress 0
		.amdhsa_shared_vgpr_count 0
		.amdhsa_exception_fp_ieee_invalid_op 0
		.amdhsa_exception_fp_denorm_src 0
		.amdhsa_exception_fp_ieee_div_zero 0
		.amdhsa_exception_fp_ieee_overflow 0
		.amdhsa_exception_fp_ieee_underflow 0
		.amdhsa_exception_fp_ieee_inexact 0
		.amdhsa_exception_int_div_zero 0
	.end_amdhsa_kernel
	.section	.text._ZL28rocblas_dot_batched_4_kernelIlLi64ELi4ELb0EffPKPKDF16_EviT5_lT_lS4_lS5_liPT4_,"axG",@progbits,_ZL28rocblas_dot_batched_4_kernelIlLi64ELi4ELb0EffPKPKDF16_EviT5_lT_lS4_lS5_liPT4_,comdat
.Lfunc_end336:
	.size	_ZL28rocblas_dot_batched_4_kernelIlLi64ELi4ELb0EffPKPKDF16_EviT5_lT_lS4_lS5_liPT4_, .Lfunc_end336-_ZL28rocblas_dot_batched_4_kernelIlLi64ELi4ELb0EffPKPKDF16_EviT5_lT_lS4_lS5_liPT4_
                                        ; -- End function
	.section	.AMDGPU.csdata,"",@progbits
; Kernel info:
; codeLenInByte = 768
; NumSgprs: 18
; NumVgprs: 14
; ScratchSize: 0
; MemoryBound: 0
; FloatMode: 240
; IeeeMode: 1
; LDSByteSize: 0 bytes/workgroup (compile time only)
; SGPRBlocks: 2
; VGPRBlocks: 1
; NumSGPRsForWavesPerEU: 18
; NumVGPRsForWavesPerEU: 14
; Occupancy: 16
; WaveLimiterHint : 0
; COMPUTE_PGM_RSRC2:SCRATCH_EN: 0
; COMPUTE_PGM_RSRC2:USER_SGPR: 15
; COMPUTE_PGM_RSRC2:TRAP_HANDLER: 0
; COMPUTE_PGM_RSRC2:TGID_X_EN: 1
; COMPUTE_PGM_RSRC2:TGID_Y_EN: 0
; COMPUTE_PGM_RSRC2:TGID_Z_EN: 0
; COMPUTE_PGM_RSRC2:TIDIG_COMP_CNT: 1
	.section	.text._ZL26rocblas_dot_kernel_inc1by2ILb1ELi1024ELi32ELb0EfPKPKDF16_fEviT4_llS4_lliPT5_PT3_,"axG",@progbits,_ZL26rocblas_dot_kernel_inc1by2ILb1ELi1024ELi32ELb0EfPKPKDF16_fEviT4_llS4_lliPT5_PT3_,comdat
	.globl	_ZL26rocblas_dot_kernel_inc1by2ILb1ELi1024ELi32ELb0EfPKPKDF16_fEviT4_llS4_lliPT5_PT3_ ; -- Begin function _ZL26rocblas_dot_kernel_inc1by2ILb1ELi1024ELi32ELb0EfPKPKDF16_fEviT4_llS4_lliPT5_PT3_
	.p2align	8
	.type	_ZL26rocblas_dot_kernel_inc1by2ILb1ELi1024ELi32ELb0EfPKPKDF16_fEviT4_llS4_lliPT5_PT3_,@function
_ZL26rocblas_dot_kernel_inc1by2ILb1ELi1024ELi32ELb0EfPKPKDF16_fEviT4_llS4_lliPT5_PT3_: ; @_ZL26rocblas_dot_kernel_inc1by2ILb1ELi1024ELi32ELb0EfPKPKDF16_fEviT4_llS4_lliPT5_PT3_
; %bb.0:
	s_clause 0x1
	s_load_b128 s[8:11], s[0:1], 0x8
	s_load_b128 s[4:7], s[0:1], 0x20
	s_mov_b32 s2, s15
	s_mov_b32 s3, 0
	s_clause 0x1
	s_load_b32 s14, s[0:1], 0x0
	s_load_b64 s[12:13], s[0:1], 0x48
	s_lshl_b64 s[16:17], s[2:3], 3
	v_dual_mov_b32 v5, 0 :: v_dual_lshlrev_b32 v6, 1, v0
	s_waitcnt lgkmcnt(0)
	s_add_u32 s0, s8, s16
	s_addc_u32 s1, s9, s17
	s_add_u32 s4, s4, s16
	s_addc_u32 s5, s5, s17
	s_load_b64 s[8:9], s[0:1], 0x0
	s_load_b64 s[4:5], s[4:5], 0x0
	s_add_i32 s0, s14, -1
	s_mov_b32 s1, exec_lo
	v_cmpx_gt_i32_e64 s0, v6
	s_cbranch_execz .LBB337_4
; %bb.1:
	v_lshlrev_b32_e32 v3, 2, v0
	s_lshl_b64 s[16:17], s[6:7], 1
	v_mov_b32_e32 v5, 0
	s_waitcnt lgkmcnt(0)
	s_add_u32 s15, s4, s16
	s_addc_u32 s18, s5, s17
	s_lshl_b64 s[16:17], s[10:11], 1
	v_add_co_u32 v1, s15, s15, v3
	s_delay_alu instid0(VALU_DEP_1) | instskip(SKIP_3) | instid1(VALU_DEP_1)
	v_add_co_ci_u32_e64 v2, null, s18, 0, s15
	s_add_u32 s15, s8, s16
	s_addc_u32 s16, s9, s17
	v_add_co_u32 v3, s15, s15, v3
	v_add_co_ci_u32_e64 v4, null, s16, 0, s15
	s_mov_b32 s15, s3
	s_mov_b32 s16, s3
	.p2align	6
.LBB337_2:                              ; =>This Inner Loop Header: Depth=1
	global_load_b32 v7, v[1:2], off
	global_load_b32 v8, v[3:4], off
	v_add_co_u32 v1, vcc_lo, 0x1000, v1
	v_add_nc_u32_e32 v6, 0x800, v6
	v_add_co_ci_u32_e32 v2, vcc_lo, 0, v2, vcc_lo
	v_add_co_u32 v3, vcc_lo, 0x1000, v3
	v_add_co_ci_u32_e32 v4, vcc_lo, 0, v4, vcc_lo
	s_add_i32 s17, s16, 1
	s_cmp_gt_u32 s16, 30
	s_cselect_b32 s16, -1, 0
	s_waitcnt vmcnt(0)
	v_dot2acc_f32_f16 v5, v7, v8
	v_cmp_le_i32_e32 vcc_lo, s0, v6
	s_or_b32 s16, s16, vcc_lo
	s_delay_alu instid0(SALU_CYCLE_1) | instskip(NEXT) | instid1(SALU_CYCLE_1)
	s_and_b32 s16, exec_lo, s16
	s_or_b32 s15, s16, s15
	s_mov_b32 s16, s17
	s_and_not1_b32 exec_lo, exec_lo, s15
	s_cbranch_execnz .LBB337_2
; %bb.3:
	s_or_b32 exec_lo, exec_lo, s15
.LBB337_4:
	s_delay_alu instid0(SALU_CYCLE_1) | instskip(SKIP_3) | instid1(SALU_CYCLE_1)
	s_or_b32 exec_lo, exec_lo, s1
	v_cmp_eq_u32_e32 vcc_lo, s0, v6
	s_bitcmp1_b32 s14, 0
	s_cselect_b32 s1, -1, 0
	s_and_b32 s1, s1, vcc_lo
	s_delay_alu instid0(SALU_CYCLE_1)
	s_and_saveexec_b32 s14, s1
	s_cbranch_execz .LBB337_6
; %bb.5:
	s_lshl_b64 s[10:11], s[10:11], 1
	s_mov_b32 s1, 0
	s_waitcnt lgkmcnt(0)
	s_add_u32 s8, s8, s10
	s_addc_u32 s9, s9, s11
	s_lshl_b64 s[6:7], s[6:7], 1
	v_mov_b32_e32 v1, 0
	s_add_u32 s4, s4, s6
	s_addc_u32 s5, s5, s7
	s_lshl_b64 s[0:1], s[0:1], 1
	s_delay_alu instid0(SALU_CYCLE_1)
	s_add_u32 s4, s4, s0
	s_addc_u32 s5, s5, s1
	s_add_u32 s0, s8, s0
	s_addc_u32 s1, s9, s1
	s_clause 0x1
	global_load_u16 v2, v1, s[4:5]
	global_load_u16 v1, v1, s[0:1]
	s_waitcnt vmcnt(0)
	v_fma_mix_f32 v5, v2, v1, v5 op_sel_hi:[1,1,0]
.LBB337_6:
	s_or_b32 exec_lo, exec_lo, s14
	v_and_b32_e32 v7, 31, v0
	v_cmp_gt_u32_e32 vcc_lo, 32, v0
	s_delay_alu instid0(VALU_DEP_2)
	v_lshlrev_b32_e32 v1, 2, v7
	s_and_saveexec_b32 s0, vcc_lo
	s_cbranch_execz .LBB337_8
; %bb.7:
	v_mov_b32_e32 v2, 0
	ds_store_b32 v1, v2
.LBB337_8:
	s_or_b32 exec_lo, exec_lo, s0
	v_mbcnt_lo_u32_b32 v6, -1, 0
	s_mov_b32 s1, exec_lo
	s_waitcnt lgkmcnt(0)
	s_barrier
	buffer_gl0_inv
	v_cmp_gt_u32_e64 s0, 16, v6
	s_delay_alu instid0(VALU_DEP_1) | instskip(SKIP_1) | instid1(VALU_DEP_2)
	v_cndmask_b32_e64 v2, 0, 1, s0
	v_cmp_gt_u32_e64 s0, 24, v6
	v_lshlrev_b32_e32 v2, 4, v2
	s_delay_alu instid0(VALU_DEP_2) | instskip(SKIP_1) | instid1(VALU_DEP_3)
	v_cndmask_b32_e64 v3, 0, 1, s0
	v_cmp_gt_u32_e64 s0, 28, v6
	v_add_lshl_u32 v2, v2, v6, 2
	ds_bpermute_b32 v4, v2, v5
	s_waitcnt lgkmcnt(0)
	v_add_f32_e32 v5, v5, v4
	v_lshlrev_b32_e32 v3, 3, v3
	v_cndmask_b32_e64 v4, 0, 1, s0
	v_cmp_gt_u32_e64 s0, 30, v6
	s_delay_alu instid0(VALU_DEP_3) | instskip(NEXT) | instid1(VALU_DEP_3)
	v_add_lshl_u32 v3, v3, v6, 2
	v_lshlrev_b32_e32 v4, 2, v4
	ds_bpermute_b32 v8, v3, v5
	v_add_lshl_u32 v4, v4, v6, 2
	s_waitcnt lgkmcnt(0)
	v_add_f32_e32 v8, v5, v8
	v_cndmask_b32_e64 v5, 0, 1, s0
	v_cmp_ne_u32_e64 s0, 31, v6
	ds_bpermute_b32 v9, v4, v8
	v_lshlrev_b32_e32 v5, 1, v5
	s_delay_alu instid0(VALU_DEP_1) | instskip(SKIP_1) | instid1(VALU_DEP_1)
	v_add_lshl_u32 v5, v5, v6, 2
	v_add_co_ci_u32_e64 v6, s0, 0, v6, s0
	v_lshlrev_b32_e32 v6, 2, v6
	s_waitcnt lgkmcnt(0)
	v_add_f32_e32 v8, v8, v9
	ds_bpermute_b32 v9, v5, v8
	s_waitcnt lgkmcnt(0)
	v_add_f32_e32 v8, v8, v9
	ds_bpermute_b32 v9, v6, v8
	v_cmpx_eq_u32_e32 0, v7
	s_cbranch_execz .LBB337_10
; %bb.9:
	v_lshrrev_b32_e32 v7, 3, v0
	s_waitcnt lgkmcnt(0)
	s_delay_alu instid0(VALU_DEP_1)
	v_dual_add_f32 v8, v8, v9 :: v_dual_and_b32 v7, 0x7c, v7
	ds_store_b32 v7, v8
.LBB337_10:
	s_or_b32 exec_lo, exec_lo, s1
	v_mov_b32_e32 v7, 0
	s_waitcnt lgkmcnt(0)
	s_barrier
	buffer_gl0_inv
	s_and_saveexec_b32 s0, vcc_lo
	s_cbranch_execz .LBB337_12
; %bb.11:
	ds_load_b32 v7, v1
.LBB337_12:
	s_or_b32 exec_lo, exec_lo, s0
	s_and_saveexec_b32 s0, vcc_lo
	s_cbranch_execz .LBB337_14
; %bb.13:
	s_waitcnt lgkmcnt(0)
	ds_bpermute_b32 v1, v2, v7
	s_waitcnt lgkmcnt(0)
	v_add_f32_e32 v1, v7, v1
	ds_bpermute_b32 v2, v3, v1
	s_waitcnt lgkmcnt(0)
	v_add_f32_e32 v1, v1, v2
	;; [unrolled: 3-line block ×5, first 2 shown]
.LBB337_14:
	s_or_b32 exec_lo, exec_lo, s0
	s_delay_alu instid0(SALU_CYCLE_1)
	s_mov_b32 s0, exec_lo
	v_cmpx_eq_u32_e32 0, v0
	s_cbranch_execz .LBB337_16
; %bb.15:
	s_lshl_b64 s[0:1], s[2:3], 2
	v_mov_b32_e32 v0, 0
	s_add_u32 s0, s12, s0
	s_addc_u32 s1, s13, s1
	s_waitcnt lgkmcnt(0)
	global_store_b32 v0, v7, s[0:1]
.LBB337_16:
	s_nop 0
	s_sendmsg sendmsg(MSG_DEALLOC_VGPRS)
	s_endpgm
	.section	.rodata,"a",@progbits
	.p2align	6, 0x0
	.amdhsa_kernel _ZL26rocblas_dot_kernel_inc1by2ILb1ELi1024ELi32ELb0EfPKPKDF16_fEviT4_llS4_lliPT5_PT3_
		.amdhsa_group_segment_fixed_size 128
		.amdhsa_private_segment_fixed_size 0
		.amdhsa_kernarg_size 80
		.amdhsa_user_sgpr_count 14
		.amdhsa_user_sgpr_dispatch_ptr 0
		.amdhsa_user_sgpr_queue_ptr 0
		.amdhsa_user_sgpr_kernarg_segment_ptr 1
		.amdhsa_user_sgpr_dispatch_id 0
		.amdhsa_user_sgpr_private_segment_size 0
		.amdhsa_wavefront_size32 1
		.amdhsa_uses_dynamic_stack 0
		.amdhsa_enable_private_segment 0
		.amdhsa_system_sgpr_workgroup_id_x 1
		.amdhsa_system_sgpr_workgroup_id_y 0
		.amdhsa_system_sgpr_workgroup_id_z 1
		.amdhsa_system_sgpr_workgroup_info 0
		.amdhsa_system_vgpr_workitem_id 0
		.amdhsa_next_free_vgpr 10
		.amdhsa_next_free_sgpr 19
		.amdhsa_reserve_vcc 1
		.amdhsa_float_round_mode_32 0
		.amdhsa_float_round_mode_16_64 0
		.amdhsa_float_denorm_mode_32 3
		.amdhsa_float_denorm_mode_16_64 3
		.amdhsa_dx10_clamp 1
		.amdhsa_ieee_mode 1
		.amdhsa_fp16_overflow 0
		.amdhsa_workgroup_processor_mode 1
		.amdhsa_memory_ordered 1
		.amdhsa_forward_progress 0
		.amdhsa_shared_vgpr_count 0
		.amdhsa_exception_fp_ieee_invalid_op 0
		.amdhsa_exception_fp_denorm_src 0
		.amdhsa_exception_fp_ieee_div_zero 0
		.amdhsa_exception_fp_ieee_overflow 0
		.amdhsa_exception_fp_ieee_underflow 0
		.amdhsa_exception_fp_ieee_inexact 0
		.amdhsa_exception_int_div_zero 0
	.end_amdhsa_kernel
	.section	.text._ZL26rocblas_dot_kernel_inc1by2ILb1ELi1024ELi32ELb0EfPKPKDF16_fEviT4_llS4_lliPT5_PT3_,"axG",@progbits,_ZL26rocblas_dot_kernel_inc1by2ILb1ELi1024ELi32ELb0EfPKPKDF16_fEviT4_llS4_lliPT5_PT3_,comdat
.Lfunc_end337:
	.size	_ZL26rocblas_dot_kernel_inc1by2ILb1ELi1024ELi32ELb0EfPKPKDF16_fEviT4_llS4_lliPT5_PT3_, .Lfunc_end337-_ZL26rocblas_dot_kernel_inc1by2ILb1ELi1024ELi32ELb0EfPKPKDF16_fEviT4_llS4_lliPT5_PT3_
                                        ; -- End function
	.section	.AMDGPU.csdata,"",@progbits
; Kernel info:
; codeLenInByte = 964
; NumSgprs: 21
; NumVgprs: 10
; ScratchSize: 0
; MemoryBound: 0
; FloatMode: 240
; IeeeMode: 1
; LDSByteSize: 128 bytes/workgroup (compile time only)
; SGPRBlocks: 2
; VGPRBlocks: 1
; NumSGPRsForWavesPerEU: 21
; NumVGPRsForWavesPerEU: 10
; Occupancy: 16
; WaveLimiterHint : 1
; COMPUTE_PGM_RSRC2:SCRATCH_EN: 0
; COMPUTE_PGM_RSRC2:USER_SGPR: 14
; COMPUTE_PGM_RSRC2:TRAP_HANDLER: 0
; COMPUTE_PGM_RSRC2:TGID_X_EN: 1
; COMPUTE_PGM_RSRC2:TGID_Y_EN: 0
; COMPUTE_PGM_RSRC2:TGID_Z_EN: 1
; COMPUTE_PGM_RSRC2:TIDIG_COMP_CNT: 0
	.section	.text._ZL18rocblas_dot_kernelIlLb1ELi1024ELi32ELb0EfPKPKDF16_fEviT5_lT_lS4_lS5_liPT6_PT4_,"axG",@progbits,_ZL18rocblas_dot_kernelIlLb1ELi1024ELi32ELb0EfPKPKDF16_fEviT5_lT_lS4_lS5_liPT6_PT4_,comdat
	.globl	_ZL18rocblas_dot_kernelIlLb1ELi1024ELi32ELb0EfPKPKDF16_fEviT5_lT_lS4_lS5_liPT6_PT4_ ; -- Begin function _ZL18rocblas_dot_kernelIlLb1ELi1024ELi32ELb0EfPKPKDF16_fEviT5_lT_lS4_lS5_liPT6_PT4_
	.p2align	8
	.type	_ZL18rocblas_dot_kernelIlLb1ELi1024ELi32ELb0EfPKPKDF16_fEviT5_lT_lS4_lS5_liPT6_PT4_,@function
_ZL18rocblas_dot_kernelIlLb1ELi1024ELi32ELb0EfPKPKDF16_fEviT5_lT_lS4_lS5_liPT6_PT4_: ; @_ZL18rocblas_dot_kernelIlLb1ELi1024ELi32ELb0EfPKPKDF16_fEviT5_lT_lS4_lS5_liPT6_PT4_
; %bb.0:
	s_clause 0x1
	s_load_b32 s14, s[0:1], 0x0
	s_load_b64 s[2:3], s[0:1], 0x58
	v_mov_b32_e32 v5, 0
	s_mov_b32 s12, s15
	s_mov_b32 s13, 0
	s_mov_b32 s15, exec_lo
	s_waitcnt lgkmcnt(0)
	v_cmpx_gt_i32_e64 s14, v0
	s_cbranch_execz .LBB338_4
; %bb.1:
	s_clause 0x4
	s_load_b64 s[16:17], s[0:1], 0x8
	s_load_b128 s[8:11], s[0:1], 0x10
	s_load_b128 s[4:7], s[0:1], 0x30
	s_load_b64 s[18:19], s[0:1], 0x28
	s_load_b32 s20, s[0:1], 0x60
	s_lshl_b64 s[0:1], s[12:13], 3
	s_waitcnt lgkmcnt(0)
	s_add_u32 s16, s16, s0
	v_mad_u64_u32 v[1:2], null, s10, v0, 0
	v_mad_u64_u32 v[3:4], null, s6, v0, 0
	s_addc_u32 s17, s17, s1
	s_add_u32 s18, s18, s0
	s_load_b64 s[16:17], s[16:17], 0x0
	s_addc_u32 s19, s19, s1
	s_lshl_b64 s[8:9], s[8:9], 1
	s_load_b64 s[18:19], s[18:19], 0x0
	s_delay_alu instid0(VALU_DEP_1) | instskip(SKIP_2) | instid1(SALU_CYCLE_1)
	v_mad_u64_u32 v[7:8], null, s11, v0, v[2:3]
	v_mov_b32_e32 v5, 0
	s_lshl_b32 s1, s20, 10
	s_mul_hi_u32 s0, s10, s1
	s_mul_i32 s11, s11, s1
	s_mul_i32 s20, s10, s1
	s_delay_alu instid0(VALU_DEP_2) | instskip(SKIP_3) | instid1(VALU_DEP_2)
	v_mov_b32_e32 v2, v7
	v_mad_u64_u32 v[8:9], null, s7, v0, v[4:5]
	s_mul_hi_u32 s23, s6, s1
	s_mul_i32 s22, s6, s1
	v_lshlrev_b64 v[1:2], 1, v[1:2]
	s_mul_i32 s7, s7, s1
	v_or_b32_e32 v6, s1, v0
	s_waitcnt lgkmcnt(0)
	s_add_u32 s16, s16, s8
	v_mov_b32_e32 v4, v8
	s_addc_u32 s17, s17, s9
	s_ashr_i32 s24, s1, 31
	s_lshl_b64 s[8:9], s[4:5], 1
	s_mul_i32 s4, s10, s24
	v_lshlrev_b64 v[3:4], 1, v[3:4]
	s_add_i32 s0, s0, s4
	v_add_co_u32 v1, vcc_lo, s16, v1
	s_add_i32 s21, s0, s11
	s_mul_i32 s0, s6, s24
	s_lshl_b64 s[4:5], s[20:21], 1
	s_add_u32 s6, s18, s8
	v_add_co_ci_u32_e32 v2, vcc_lo, s17, v2, vcc_lo
	s_addc_u32 s8, s19, s9
	v_add_co_u32 v3, vcc_lo, s6, v3
	s_add_i32 s0, s23, s0
	v_add_co_ci_u32_e32 v4, vcc_lo, s8, v4, vcc_lo
	s_add_i32 s23, s0, s7
	s_mov_b32 s8, s13
	s_lshl_b64 s[6:7], s[22:23], 1
	s_mov_b32 s9, s13
	.p2align	6
.LBB338_2:                              ; =>This Inner Loop Header: Depth=1
	global_load_u16 v7, v[3:4], off
	global_load_u16 v8, v[1:2], off
	v_add_co_u32 v1, s0, v1, s4
	s_delay_alu instid0(VALU_DEP_1)
	v_add_co_ci_u32_e64 v2, s0, s5, v2, s0
	s_add_i32 s10, s9, 1
	v_cmp_le_i32_e32 vcc_lo, s14, v6
	v_add_co_u32 v3, s0, v3, s6
	s_cmp_gt_u32 s9, 30
	v_add_co_ci_u32_e64 v4, s0, s7, v4, s0
	s_cselect_b32 s0, -1, 0
	v_add_nc_u32_e32 v6, s1, v6
	s_or_b32 s0, s0, vcc_lo
	s_mov_b32 s9, s10
	s_and_b32 s0, exec_lo, s0
	s_delay_alu instid0(SALU_CYCLE_1)
	s_or_b32 s8, s0, s8
	s_waitcnt vmcnt(0)
	v_fma_mix_f32 v5, v7, v8, v5 op_sel_hi:[1,1,0]
	s_and_not1_b32 exec_lo, exec_lo, s8
	s_cbranch_execnz .LBB338_2
; %bb.3:
	s_or_b32 exec_lo, exec_lo, s8
.LBB338_4:
	s_delay_alu instid0(SALU_CYCLE_1) | instskip(SKIP_2) | instid1(VALU_DEP_2)
	s_or_b32 exec_lo, exec_lo, s15
	v_and_b32_e32 v7, 31, v0
	v_cmp_gt_u32_e32 vcc_lo, 32, v0
	v_lshlrev_b32_e32 v1, 2, v7
	s_and_saveexec_b32 s0, vcc_lo
	s_cbranch_execz .LBB338_6
; %bb.5:
	v_mov_b32_e32 v2, 0
	ds_store_b32 v1, v2
.LBB338_6:
	s_or_b32 exec_lo, exec_lo, s0
	v_mbcnt_lo_u32_b32 v6, -1, 0
	s_mov_b32 s1, exec_lo
	s_waitcnt lgkmcnt(0)
	s_barrier
	buffer_gl0_inv
	v_cmp_gt_u32_e64 s0, 16, v6
	s_delay_alu instid0(VALU_DEP_1) | instskip(SKIP_1) | instid1(VALU_DEP_2)
	v_cndmask_b32_e64 v2, 0, 1, s0
	v_cmp_gt_u32_e64 s0, 24, v6
	v_lshlrev_b32_e32 v2, 4, v2
	s_delay_alu instid0(VALU_DEP_2) | instskip(SKIP_1) | instid1(VALU_DEP_3)
	v_cndmask_b32_e64 v3, 0, 1, s0
	v_cmp_gt_u32_e64 s0, 28, v6
	v_add_lshl_u32 v2, v2, v6, 2
	ds_bpermute_b32 v4, v2, v5
	s_waitcnt lgkmcnt(0)
	v_add_f32_e32 v5, v5, v4
	v_lshlrev_b32_e32 v3, 3, v3
	v_cndmask_b32_e64 v4, 0, 1, s0
	v_cmp_gt_u32_e64 s0, 30, v6
	s_delay_alu instid0(VALU_DEP_3) | instskip(NEXT) | instid1(VALU_DEP_3)
	v_add_lshl_u32 v3, v3, v6, 2
	v_lshlrev_b32_e32 v4, 2, v4
	ds_bpermute_b32 v8, v3, v5
	v_add_lshl_u32 v4, v4, v6, 2
	s_waitcnt lgkmcnt(0)
	v_add_f32_e32 v8, v5, v8
	v_cndmask_b32_e64 v5, 0, 1, s0
	v_cmp_ne_u32_e64 s0, 31, v6
	ds_bpermute_b32 v9, v4, v8
	v_lshlrev_b32_e32 v5, 1, v5
	s_delay_alu instid0(VALU_DEP_1) | instskip(SKIP_1) | instid1(VALU_DEP_1)
	v_add_lshl_u32 v5, v5, v6, 2
	v_add_co_ci_u32_e64 v6, s0, 0, v6, s0
	v_lshlrev_b32_e32 v6, 2, v6
	s_waitcnt lgkmcnt(0)
	v_add_f32_e32 v8, v8, v9
	ds_bpermute_b32 v9, v5, v8
	s_waitcnt lgkmcnt(0)
	v_add_f32_e32 v8, v8, v9
	ds_bpermute_b32 v9, v6, v8
	v_cmpx_eq_u32_e32 0, v7
	s_cbranch_execz .LBB338_8
; %bb.7:
	v_lshrrev_b32_e32 v7, 3, v0
	s_waitcnt lgkmcnt(0)
	s_delay_alu instid0(VALU_DEP_1)
	v_dual_add_f32 v8, v8, v9 :: v_dual_and_b32 v7, 0x7c, v7
	ds_store_b32 v7, v8
.LBB338_8:
	s_or_b32 exec_lo, exec_lo, s1
	v_mov_b32_e32 v7, 0
	s_waitcnt lgkmcnt(0)
	s_barrier
	buffer_gl0_inv
	s_and_saveexec_b32 s0, vcc_lo
	s_cbranch_execz .LBB338_10
; %bb.9:
	ds_load_b32 v7, v1
.LBB338_10:
	s_or_b32 exec_lo, exec_lo, s0
	s_and_saveexec_b32 s0, vcc_lo
	s_cbranch_execz .LBB338_12
; %bb.11:
	s_waitcnt lgkmcnt(0)
	ds_bpermute_b32 v1, v2, v7
	s_waitcnt lgkmcnt(0)
	v_add_f32_e32 v1, v7, v1
	ds_bpermute_b32 v2, v3, v1
	s_waitcnt lgkmcnt(0)
	v_add_f32_e32 v1, v1, v2
	;; [unrolled: 3-line block ×5, first 2 shown]
.LBB338_12:
	s_or_b32 exec_lo, exec_lo, s0
	s_delay_alu instid0(SALU_CYCLE_1)
	s_mov_b32 s0, exec_lo
	v_cmpx_eq_u32_e32 0, v0
	s_cbranch_execz .LBB338_14
; %bb.13:
	s_lshl_b64 s[0:1], s[12:13], 2
	v_mov_b32_e32 v0, 0
	s_add_u32 s0, s2, s0
	s_addc_u32 s1, s3, s1
	s_waitcnt lgkmcnt(0)
	global_store_b32 v0, v7, s[0:1]
.LBB338_14:
	s_nop 0
	s_sendmsg sendmsg(MSG_DEALLOC_VGPRS)
	s_endpgm
	.section	.rodata,"a",@progbits
	.p2align	6, 0x0
	.amdhsa_kernel _ZL18rocblas_dot_kernelIlLb1ELi1024ELi32ELb0EfPKPKDF16_fEviT5_lT_lS4_lS5_liPT6_PT4_
		.amdhsa_group_segment_fixed_size 128
		.amdhsa_private_segment_fixed_size 0
		.amdhsa_kernarg_size 352
		.amdhsa_user_sgpr_count 14
		.amdhsa_user_sgpr_dispatch_ptr 0
		.amdhsa_user_sgpr_queue_ptr 0
		.amdhsa_user_sgpr_kernarg_segment_ptr 1
		.amdhsa_user_sgpr_dispatch_id 0
		.amdhsa_user_sgpr_private_segment_size 0
		.amdhsa_wavefront_size32 1
		.amdhsa_uses_dynamic_stack 0
		.amdhsa_enable_private_segment 0
		.amdhsa_system_sgpr_workgroup_id_x 1
		.amdhsa_system_sgpr_workgroup_id_y 0
		.amdhsa_system_sgpr_workgroup_id_z 1
		.amdhsa_system_sgpr_workgroup_info 0
		.amdhsa_system_vgpr_workitem_id 0
		.amdhsa_next_free_vgpr 10
		.amdhsa_next_free_sgpr 25
		.amdhsa_reserve_vcc 1
		.amdhsa_float_round_mode_32 0
		.amdhsa_float_round_mode_16_64 0
		.amdhsa_float_denorm_mode_32 3
		.amdhsa_float_denorm_mode_16_64 3
		.amdhsa_dx10_clamp 1
		.amdhsa_ieee_mode 1
		.amdhsa_fp16_overflow 0
		.amdhsa_workgroup_processor_mode 1
		.amdhsa_memory_ordered 1
		.amdhsa_forward_progress 0
		.amdhsa_shared_vgpr_count 0
		.amdhsa_exception_fp_ieee_invalid_op 0
		.amdhsa_exception_fp_denorm_src 0
		.amdhsa_exception_fp_ieee_div_zero 0
		.amdhsa_exception_fp_ieee_overflow 0
		.amdhsa_exception_fp_ieee_underflow 0
		.amdhsa_exception_fp_ieee_inexact 0
		.amdhsa_exception_int_div_zero 0
	.end_amdhsa_kernel
	.section	.text._ZL18rocblas_dot_kernelIlLb1ELi1024ELi32ELb0EfPKPKDF16_fEviT5_lT_lS4_lS5_liPT6_PT4_,"axG",@progbits,_ZL18rocblas_dot_kernelIlLb1ELi1024ELi32ELb0EfPKPKDF16_fEviT5_lT_lS4_lS5_liPT6_PT4_,comdat
.Lfunc_end338:
	.size	_ZL18rocblas_dot_kernelIlLb1ELi1024ELi32ELb0EfPKPKDF16_fEviT5_lT_lS4_lS5_liPT6_PT4_, .Lfunc_end338-_ZL18rocblas_dot_kernelIlLb1ELi1024ELi32ELb0EfPKPKDF16_fEviT5_lT_lS4_lS5_liPT6_PT4_
                                        ; -- End function
	.section	.AMDGPU.csdata,"",@progbits
; Kernel info:
; codeLenInByte = 976
; NumSgprs: 27
; NumVgprs: 10
; ScratchSize: 0
; MemoryBound: 0
; FloatMode: 240
; IeeeMode: 1
; LDSByteSize: 128 bytes/workgroup (compile time only)
; SGPRBlocks: 3
; VGPRBlocks: 1
; NumSGPRsForWavesPerEU: 27
; NumVGPRsForWavesPerEU: 10
; Occupancy: 16
; WaveLimiterHint : 0
; COMPUTE_PGM_RSRC2:SCRATCH_EN: 0
; COMPUTE_PGM_RSRC2:USER_SGPR: 14
; COMPUTE_PGM_RSRC2:TRAP_HANDLER: 0
; COMPUTE_PGM_RSRC2:TGID_X_EN: 1
; COMPUTE_PGM_RSRC2:TGID_Y_EN: 0
; COMPUTE_PGM_RSRC2:TGID_Z_EN: 1
; COMPUTE_PGM_RSRC2:TIDIG_COMP_CNT: 0
	.section	.text._ZL24rocblas_dot_kernel_magsqIlLb1ELi1024ELi32ELb0EfPKPKDF16_fEviT5_lT_liPT6_PT4_,"axG",@progbits,_ZL24rocblas_dot_kernel_magsqIlLb1ELi1024ELi32ELb0EfPKPKDF16_fEviT5_lT_liPT6_PT4_,comdat
	.globl	_ZL24rocblas_dot_kernel_magsqIlLb1ELi1024ELi32ELb0EfPKPKDF16_fEviT5_lT_liPT6_PT4_ ; -- Begin function _ZL24rocblas_dot_kernel_magsqIlLb1ELi1024ELi32ELb0EfPKPKDF16_fEviT5_lT_liPT6_PT4_
	.p2align	8
	.type	_ZL24rocblas_dot_kernel_magsqIlLb1ELi1024ELi32ELb0EfPKPKDF16_fEviT5_lT_liPT6_PT4_,@function
_ZL24rocblas_dot_kernel_magsqIlLb1ELi1024ELi32ELb0EfPKPKDF16_fEviT5_lT_liPT6_PT4_: ; @_ZL24rocblas_dot_kernel_magsqIlLb1ELi1024ELi32ELb0EfPKPKDF16_fEviT5_lT_liPT6_PT4_
; %bb.0:
	s_clause 0x1
	s_load_b32 s8, s[0:1], 0x0
	s_load_b64 s[2:3], s[0:1], 0x38
	v_mov_b32_e32 v3, 0
	s_mov_b32 s4, s15
	s_mov_b32 s5, 0
	s_mov_b32 s9, exec_lo
	s_waitcnt lgkmcnt(0)
	v_cmpx_gt_i32_e64 s8, v0
	s_cbranch_execz .LBB339_4
; %bb.1:
	s_clause 0x1
	s_load_b64 s[6:7], s[0:1], 0x8
	s_load_b128 s[12:15], s[0:1], 0x10
	s_lshl_b64 s[10:11], s[4:5], 3
	s_load_b32 s16, s[0:1], 0x40
	s_waitcnt lgkmcnt(0)
	s_add_u32 s0, s6, s10
	v_mad_u64_u32 v[1:2], null, s14, v0, 0
	s_addc_u32 s1, s7, s11
	s_lshl_b64 s[10:11], s[12:13], 1
	s_load_b64 s[6:7], s[0:1], 0x0
	s_lshl_b32 s1, s16, 10
	s_delay_alu instid0(SALU_CYCLE_1) | instskip(NEXT) | instid1(VALU_DEP_1)
	s_mul_hi_u32 s0, s14, s1
	v_mad_u64_u32 v[3:4], null, s15, v0, v[2:3]
	v_or_b32_e32 v4, s1, v0
	s_delay_alu instid0(VALU_DEP_2) | instskip(NEXT) | instid1(VALU_DEP_1)
	v_dual_mov_b32 v2, v3 :: v_dual_mov_b32 v3, 0
	v_lshlrev_b64 v[1:2], 1, v[1:2]
	s_waitcnt lgkmcnt(0)
	s_add_u32 s10, s6, s10
	s_addc_u32 s11, s7, s11
	s_ashr_i32 s6, s1, 31
	s_delay_alu instid0(VALU_DEP_1)
	v_add_co_u32 v1, vcc_lo, s10, v1
	s_mul_i32 s6, s14, s6
	s_mul_i32 s7, s15, s1
	s_add_i32 s0, s0, s6
	v_add_co_ci_u32_e32 v2, vcc_lo, s11, v2, vcc_lo
	s_mul_i32 s6, s14, s1
	s_add_i32 s7, s0, s7
	s_mov_b32 s10, s5
	s_lshl_b64 s[6:7], s[6:7], 1
	s_mov_b32 s11, s5
	.p2align	6
.LBB339_2:                              ; =>This Inner Loop Header: Depth=1
	global_load_u16 v5, v[1:2], off
	s_add_i32 s12, s11, 1
	v_cmp_le_i32_e32 vcc_lo, s8, v4
	v_add_co_u32 v1, s0, v1, s6
	s_cmp_gt_u32 s11, 30
	v_add_co_ci_u32_e64 v2, s0, s7, v2, s0
	s_cselect_b32 s0, -1, 0
	v_add_nc_u32_e32 v4, s1, v4
	s_or_b32 s0, s0, vcc_lo
	s_mov_b32 s11, s12
	s_and_b32 s0, exec_lo, s0
	s_delay_alu instid0(SALU_CYCLE_1)
	s_or_b32 s10, s0, s10
	s_waitcnt vmcnt(0)
	v_fma_mix_f32 v3, v5, v5, v3 op_sel_hi:[1,1,0]
	s_and_not1_b32 exec_lo, exec_lo, s10
	s_cbranch_execnz .LBB339_2
; %bb.3:
	s_or_b32 exec_lo, exec_lo, s10
.LBB339_4:
	s_delay_alu instid0(SALU_CYCLE_1) | instskip(SKIP_2) | instid1(VALU_DEP_2)
	s_or_b32 exec_lo, exec_lo, s9
	v_and_b32_e32 v7, 31, v0
	v_cmp_gt_u32_e32 vcc_lo, 32, v0
	v_lshlrev_b32_e32 v1, 2, v7
	s_and_saveexec_b32 s0, vcc_lo
	s_cbranch_execz .LBB339_6
; %bb.5:
	v_mov_b32_e32 v2, 0
	ds_store_b32 v1, v2
.LBB339_6:
	s_or_b32 exec_lo, exec_lo, s0
	v_mbcnt_lo_u32_b32 v6, -1, 0
	s_mov_b32 s1, exec_lo
	s_waitcnt lgkmcnt(0)
	s_barrier
	buffer_gl0_inv
	v_cmp_gt_u32_e64 s0, 16, v6
	s_delay_alu instid0(VALU_DEP_1) | instskip(SKIP_1) | instid1(VALU_DEP_2)
	v_cndmask_b32_e64 v2, 0, 1, s0
	v_cmp_gt_u32_e64 s0, 24, v6
	v_lshlrev_b32_e32 v2, 4, v2
	s_delay_alu instid0(VALU_DEP_2) | instskip(SKIP_1) | instid1(VALU_DEP_3)
	v_cndmask_b32_e64 v4, 0, 1, s0
	v_cmp_gt_u32_e64 s0, 28, v6
	v_add_lshl_u32 v2, v2, v6, 2
	s_delay_alu instid0(VALU_DEP_3)
	v_lshlrev_b32_e32 v4, 3, v4
	ds_bpermute_b32 v5, v2, v3
	v_add_lshl_u32 v4, v4, v6, 2
	s_waitcnt lgkmcnt(0)
	v_add_f32_e32 v5, v3, v5
	v_cndmask_b32_e64 v3, 0, 1, s0
	v_cmp_gt_u32_e64 s0, 30, v6
	ds_bpermute_b32 v8, v4, v5
	s_waitcnt lgkmcnt(0)
	v_dual_add_f32 v8, v5, v8 :: v_dual_lshlrev_b32 v3, 2, v3
	s_delay_alu instid0(VALU_DEP_1) | instskip(SKIP_4) | instid1(VALU_DEP_1)
	v_add_lshl_u32 v3, v3, v6, 2
	v_cndmask_b32_e64 v5, 0, 1, s0
	v_cmp_ne_u32_e64 s0, 31, v6
	ds_bpermute_b32 v9, v3, v8
	v_lshlrev_b32_e32 v5, 1, v5
	v_add_lshl_u32 v5, v5, v6, 2
	v_add_co_ci_u32_e64 v6, s0, 0, v6, s0
	s_delay_alu instid0(VALU_DEP_1)
	v_lshlrev_b32_e32 v6, 2, v6
	s_waitcnt lgkmcnt(0)
	v_add_f32_e32 v8, v8, v9
	ds_bpermute_b32 v9, v5, v8
	s_waitcnt lgkmcnt(0)
	v_add_f32_e32 v8, v8, v9
	ds_bpermute_b32 v9, v6, v8
	v_cmpx_eq_u32_e32 0, v7
	s_cbranch_execz .LBB339_8
; %bb.7:
	v_lshrrev_b32_e32 v7, 3, v0
	s_waitcnt lgkmcnt(0)
	s_delay_alu instid0(VALU_DEP_1)
	v_dual_add_f32 v8, v8, v9 :: v_dual_and_b32 v7, 0x7c, v7
	ds_store_b32 v7, v8
.LBB339_8:
	s_or_b32 exec_lo, exec_lo, s1
	v_mov_b32_e32 v7, 0
	s_waitcnt lgkmcnt(0)
	s_barrier
	buffer_gl0_inv
	s_and_saveexec_b32 s0, vcc_lo
	s_cbranch_execz .LBB339_10
; %bb.9:
	ds_load_b32 v7, v1
.LBB339_10:
	s_or_b32 exec_lo, exec_lo, s0
	s_and_saveexec_b32 s0, vcc_lo
	s_cbranch_execz .LBB339_12
; %bb.11:
	s_waitcnt lgkmcnt(0)
	ds_bpermute_b32 v1, v2, v7
	s_waitcnt lgkmcnt(0)
	v_add_f32_e32 v1, v7, v1
	ds_bpermute_b32 v2, v4, v1
	s_waitcnt lgkmcnt(0)
	v_add_f32_e32 v1, v1, v2
	;; [unrolled: 3-line block ×5, first 2 shown]
.LBB339_12:
	s_or_b32 exec_lo, exec_lo, s0
	s_delay_alu instid0(SALU_CYCLE_1)
	s_mov_b32 s0, exec_lo
	v_cmpx_eq_u32_e32 0, v0
	s_cbranch_execz .LBB339_14
; %bb.13:
	s_lshl_b64 s[0:1], s[4:5], 2
	v_mov_b32_e32 v0, 0
	s_add_u32 s0, s2, s0
	s_addc_u32 s1, s3, s1
	s_waitcnt lgkmcnt(0)
	global_store_b32 v0, v7, s[0:1]
.LBB339_14:
	s_nop 0
	s_sendmsg sendmsg(MSG_DEALLOC_VGPRS)
	s_endpgm
	.section	.rodata,"a",@progbits
	.p2align	6, 0x0
	.amdhsa_kernel _ZL24rocblas_dot_kernel_magsqIlLb1ELi1024ELi32ELb0EfPKPKDF16_fEviT5_lT_liPT6_PT4_
		.amdhsa_group_segment_fixed_size 128
		.amdhsa_private_segment_fixed_size 0
		.amdhsa_kernarg_size 320
		.amdhsa_user_sgpr_count 14
		.amdhsa_user_sgpr_dispatch_ptr 0
		.amdhsa_user_sgpr_queue_ptr 0
		.amdhsa_user_sgpr_kernarg_segment_ptr 1
		.amdhsa_user_sgpr_dispatch_id 0
		.amdhsa_user_sgpr_private_segment_size 0
		.amdhsa_wavefront_size32 1
		.amdhsa_uses_dynamic_stack 0
		.amdhsa_enable_private_segment 0
		.amdhsa_system_sgpr_workgroup_id_x 1
		.amdhsa_system_sgpr_workgroup_id_y 0
		.amdhsa_system_sgpr_workgroup_id_z 1
		.amdhsa_system_sgpr_workgroup_info 0
		.amdhsa_system_vgpr_workitem_id 0
		.amdhsa_next_free_vgpr 10
		.amdhsa_next_free_sgpr 17
		.amdhsa_reserve_vcc 1
		.amdhsa_float_round_mode_32 0
		.amdhsa_float_round_mode_16_64 0
		.amdhsa_float_denorm_mode_32 3
		.amdhsa_float_denorm_mode_16_64 3
		.amdhsa_dx10_clamp 1
		.amdhsa_ieee_mode 1
		.amdhsa_fp16_overflow 0
		.amdhsa_workgroup_processor_mode 1
		.amdhsa_memory_ordered 1
		.amdhsa_forward_progress 0
		.amdhsa_shared_vgpr_count 0
		.amdhsa_exception_fp_ieee_invalid_op 0
		.amdhsa_exception_fp_denorm_src 0
		.amdhsa_exception_fp_ieee_div_zero 0
		.amdhsa_exception_fp_ieee_overflow 0
		.amdhsa_exception_fp_ieee_underflow 0
		.amdhsa_exception_fp_ieee_inexact 0
		.amdhsa_exception_int_div_zero 0
	.end_amdhsa_kernel
	.section	.text._ZL24rocblas_dot_kernel_magsqIlLb1ELi1024ELi32ELb0EfPKPKDF16_fEviT5_lT_liPT6_PT4_,"axG",@progbits,_ZL24rocblas_dot_kernel_magsqIlLb1ELi1024ELi32ELb0EfPKPKDF16_fEviT5_lT_liPT6_PT4_,comdat
.Lfunc_end339:
	.size	_ZL24rocblas_dot_kernel_magsqIlLb1ELi1024ELi32ELb0EfPKPKDF16_fEviT5_lT_liPT6_PT4_, .Lfunc_end339-_ZL24rocblas_dot_kernel_magsqIlLb1ELi1024ELi32ELb0EfPKPKDF16_fEviT5_lT_liPT6_PT4_
                                        ; -- End function
	.section	.AMDGPU.csdata,"",@progbits
; Kernel info:
; codeLenInByte = 844
; NumSgprs: 19
; NumVgprs: 10
; ScratchSize: 0
; MemoryBound: 0
; FloatMode: 240
; IeeeMode: 1
; LDSByteSize: 128 bytes/workgroup (compile time only)
; SGPRBlocks: 2
; VGPRBlocks: 1
; NumSGPRsForWavesPerEU: 19
; NumVGPRsForWavesPerEU: 10
; Occupancy: 16
; WaveLimiterHint : 0
; COMPUTE_PGM_RSRC2:SCRATCH_EN: 0
; COMPUTE_PGM_RSRC2:USER_SGPR: 14
; COMPUTE_PGM_RSRC2:TRAP_HANDLER: 0
; COMPUTE_PGM_RSRC2:TGID_X_EN: 1
; COMPUTE_PGM_RSRC2:TGID_Y_EN: 0
; COMPUTE_PGM_RSRC2:TGID_Z_EN: 1
; COMPUTE_PGM_RSRC2:TIDIG_COMP_CNT: 0
	.section	.text._ZL23rocblas_dot_kernel_inc1ILb0ELi512ELi4ELb0EfPKPKDF16_fEviT4_llS4_lliPT5_PT3_,"axG",@progbits,_ZL23rocblas_dot_kernel_inc1ILb0ELi512ELi4ELb0EfPKPKDF16_fEviT4_llS4_lliPT5_PT3_,comdat
	.globl	_ZL23rocblas_dot_kernel_inc1ILb0ELi512ELi4ELb0EfPKPKDF16_fEviT4_llS4_lliPT5_PT3_ ; -- Begin function _ZL23rocblas_dot_kernel_inc1ILb0ELi512ELi4ELb0EfPKPKDF16_fEviT4_llS4_lliPT5_PT3_
	.p2align	8
	.type	_ZL23rocblas_dot_kernel_inc1ILb0ELi512ELi4ELb0EfPKPKDF16_fEviT4_llS4_lliPT5_PT3_,@function
_ZL23rocblas_dot_kernel_inc1ILb0ELi512ELi4ELb0EfPKPKDF16_fEviT4_llS4_lliPT5_PT3_: ; @_ZL23rocblas_dot_kernel_inc1ILb0ELi512ELi4ELb0EfPKPKDF16_fEviT4_llS4_lliPT5_PT3_
; %bb.0:
	s_clause 0x2
	s_load_b32 s12, s[0:1], 0x50
	s_load_b32 s13, s[0:1], 0x0
	s_load_b128 s[4:7], s[0:1], 0x40
	v_lshl_or_b32 v3, s14, 9, v0
	v_mov_b32_e32 v5, 0
	s_mov_b32 s2, s15
	s_mov_b32 s3, 0
	s_mov_b32 s15, exec_lo
	s_waitcnt lgkmcnt(0)
	v_cmpx_gt_i32_e64 s13, v3
	s_cbranch_execz .LBB340_4
; %bb.1:
	s_clause 0x1
	s_load_b128 s[8:11], s[0:1], 0x8
	s_load_b128 s[20:23], s[0:1], 0x20
	s_lshl_b64 s[18:19], s[2:3], 3
	v_ashrrev_i32_e32 v4, 31, v3
	v_mov_b32_e32 v5, 0
	s_delay_alu instid0(VALU_DEP_2)
	v_lshlrev_b64 v[1:2], 1, v[3:4]
	s_waitcnt lgkmcnt(0)
	s_add_u32 s0, s8, s18
	s_addc_u32 s1, s9, s19
	s_lshl_b64 s[10:11], s[10:11], 1
	s_load_b64 s[8:9], s[0:1], 0x0
	s_waitcnt lgkmcnt(0)
	s_add_u32 s1, s8, s10
	s_addc_u32 s16, s9, s11
	s_add_u32 s8, s20, s18
	s_addc_u32 s9, s21, s19
	s_lshl_b64 s[10:11], s[22:23], 1
	s_load_b64 s[8:9], s[8:9], 0x0
	s_mov_b32 s19, s3
	s_waitcnt lgkmcnt(0)
	s_add_u32 s17, s8, s10
	s_addc_u32 s18, s9, s11
	s_lshl_b32 s8, s12, 9
	s_delay_alu instid0(SALU_CYCLE_1) | instskip(SKIP_1) | instid1(SALU_CYCLE_1)
	v_add_nc_u32_e32 v3, s8, v3
	s_ashr_i32 s9, s8, 31
	s_lshl_b64 s[10:11], s[8:9], 1
	s_mov_b32 s9, s3
	.p2align	6
.LBB340_2:                              ; =>This Inner Loop Header: Depth=1
	v_add_co_u32 v6, vcc_lo, s17, v1
	v_add_co_ci_u32_e32 v7, vcc_lo, s18, v2, vcc_lo
	v_add_co_u32 v8, vcc_lo, s1, v1
	v_add_co_ci_u32_e32 v9, vcc_lo, s16, v2, vcc_lo
	s_add_i32 s20, s19, 1
	global_load_u16 v4, v[6:7], off
	global_load_u16 v6, v[8:9], off
	v_cmp_le_i32_e32 vcc_lo, s13, v3
	v_add_co_u32 v1, s0, v1, s10
	s_cmp_gt_u32 s19, 2
	v_add_co_ci_u32_e64 v2, s0, s11, v2, s0
	s_cselect_b32 s0, -1, 0
	v_add_nc_u32_e32 v3, s8, v3
	s_or_b32 s0, s0, vcc_lo
	s_mov_b32 s19, s20
	s_and_b32 s0, exec_lo, s0
	s_delay_alu instid0(SALU_CYCLE_1)
	s_or_b32 s9, s0, s9
	s_waitcnt vmcnt(0)
	v_fma_mix_f32 v5, v4, v6, v5 op_sel_hi:[1,1,0]
	s_and_not1_b32 exec_lo, exec_lo, s9
	s_cbranch_execnz .LBB340_2
; %bb.3:
	s_or_b32 exec_lo, exec_lo, s9
.LBB340_4:
	s_delay_alu instid0(SALU_CYCLE_1) | instskip(SKIP_2) | instid1(VALU_DEP_2)
	s_or_b32 exec_lo, exec_lo, s15
	v_and_b32_e32 v2, 31, v0
	v_cmp_gt_u32_e32 vcc_lo, 32, v0
	v_lshlrev_b32_e32 v1, 2, v2
	s_and_saveexec_b32 s0, vcc_lo
	s_cbranch_execz .LBB340_6
; %bb.5:
	v_mov_b32_e32 v3, 0
	ds_store_b32 v1, v3
.LBB340_6:
	s_or_b32 exec_lo, exec_lo, s0
	v_mbcnt_lo_u32_b32 v6, -1, 0
	s_mov_b32 s1, exec_lo
	s_waitcnt lgkmcnt(0)
	s_barrier
	buffer_gl0_inv
	v_cmp_gt_u32_e64 s0, 16, v6
	s_delay_alu instid0(VALU_DEP_1) | instskip(SKIP_1) | instid1(VALU_DEP_2)
	v_cndmask_b32_e64 v3, 0, 1, s0
	v_cmp_gt_u32_e64 s0, 24, v6
	v_lshlrev_b32_e32 v3, 4, v3
	s_delay_alu instid0(VALU_DEP_1) | instskip(SKIP_3) | instid1(VALU_DEP_2)
	v_add_lshl_u32 v3, v3, v6, 2
	ds_bpermute_b32 v4, v3, v5
	v_cndmask_b32_e64 v3, 0, 1, s0
	v_cmp_gt_u32_e64 s0, 28, v6
	v_lshlrev_b32_e32 v3, 3, v3
	s_delay_alu instid0(VALU_DEP_1)
	v_add_lshl_u32 v3, v3, v6, 2
	s_waitcnt lgkmcnt(0)
	v_add_f32_e32 v5, v5, v4
	v_cndmask_b32_e64 v4, 0, 1, s0
	v_cmp_gt_u32_e64 s0, 30, v6
	ds_bpermute_b32 v7, v3, v5
	s_waitcnt lgkmcnt(0)
	v_dual_add_f32 v7, v5, v7 :: v_dual_lshlrev_b32 v4, 2, v4
	s_delay_alu instid0(VALU_DEP_1) | instskip(SKIP_4) | instid1(VALU_DEP_1)
	v_add_lshl_u32 v4, v4, v6, 2
	v_cndmask_b32_e64 v5, 0, 1, s0
	v_cmp_ne_u32_e64 s0, 31, v6
	ds_bpermute_b32 v8, v4, v7
	v_lshlrev_b32_e32 v5, 1, v5
	v_add_lshl_u32 v5, v5, v6, 2
	v_add_co_ci_u32_e64 v6, s0, 0, v6, s0
	s_waitcnt lgkmcnt(0)
	s_delay_alu instid0(VALU_DEP_1)
	v_dual_add_f32 v7, v7, v8 :: v_dual_lshlrev_b32 v6, 2, v6
	ds_bpermute_b32 v8, v5, v7
	s_waitcnt lgkmcnt(0)
	v_add_f32_e32 v7, v7, v8
	ds_bpermute_b32 v8, v6, v7
	v_cmpx_eq_u32_e32 0, v2
	s_cbranch_execz .LBB340_8
; %bb.7:
	v_lshrrev_b32_e32 v2, 3, v0
	s_waitcnt lgkmcnt(0)
	s_delay_alu instid0(VALU_DEP_1)
	v_dual_add_f32 v7, v7, v8 :: v_dual_and_b32 v2, 60, v2
	ds_store_b32 v2, v7
.LBB340_8:
	s_or_b32 exec_lo, exec_lo, s1
	v_mov_b32_e32 v2, 0
	s_mov_b32 s1, exec_lo
	s_waitcnt lgkmcnt(0)
	s_barrier
	buffer_gl0_inv
	v_cmpx_gt_u32_e32 16, v0
	s_cbranch_execz .LBB340_10
; %bb.9:
	ds_load_b32 v2, v1
.LBB340_10:
	s_or_b32 exec_lo, exec_lo, s1
	s_and_saveexec_b32 s0, vcc_lo
	s_cbranch_execz .LBB340_12
; %bb.11:
	s_waitcnt lgkmcnt(0)
	ds_bpermute_b32 v1, v3, v2
	s_waitcnt lgkmcnt(0)
	v_add_f32_e32 v1, v2, v1
	ds_bpermute_b32 v2, v4, v1
	s_waitcnt lgkmcnt(0)
	v_add_f32_e32 v1, v1, v2
	ds_bpermute_b32 v2, v5, v1
	s_waitcnt lgkmcnt(0)
	v_add_f32_e32 v1, v1, v2
	ds_bpermute_b32 v2, v6, v1
	s_waitcnt lgkmcnt(0)
	v_add_f32_e32 v2, v1, v2
.LBB340_12:
	s_or_b32 exec_lo, exec_lo, s0
	s_delay_alu instid0(SALU_CYCLE_1)
	s_mov_b32 s0, exec_lo
	v_cmpx_eq_u32_e32 0, v0
	s_cbranch_execz .LBB340_18
; %bb.13:
	s_cmp_lg_u32 s12, 1
	s_cbranch_scc0 .LBB340_15
; %bb.14:
	s_mul_hi_u32 s1, s12, s2
	s_mul_i32 s0, s12, s2
	s_mov_b32 s15, 0
	s_lshl_b64 s[0:1], s[0:1], 2
	s_delay_alu instid0(SALU_CYCLE_1) | instskip(SKIP_2) | instid1(SALU_CYCLE_1)
	s_add_u32 s4, s4, s0
	s_addc_u32 s5, s5, s1
	s_lshl_b64 s[0:1], s[14:15], 2
	s_add_u32 s0, s4, s0
	s_addc_u32 s1, s5, s1
	s_cbranch_execz .LBB340_16
	s_branch .LBB340_17
.LBB340_15:
                                        ; implicit-def: $sgpr0_sgpr1
.LBB340_16:
	s_lshl_b64 s[0:1], s[2:3], 2
	s_delay_alu instid0(SALU_CYCLE_1)
	s_add_u32 s0, s6, s0
	s_addc_u32 s1, s7, s1
.LBB340_17:
	v_mov_b32_e32 v0, 0
	s_waitcnt lgkmcnt(0)
	global_store_b32 v0, v2, s[0:1]
.LBB340_18:
	s_nop 0
	s_sendmsg sendmsg(MSG_DEALLOC_VGPRS)
	s_endpgm
	.section	.rodata,"a",@progbits
	.p2align	6, 0x0
	.amdhsa_kernel _ZL23rocblas_dot_kernel_inc1ILb0ELi512ELi4ELb0EfPKPKDF16_fEviT4_llS4_lliPT5_PT3_
		.amdhsa_group_segment_fixed_size 128
		.amdhsa_private_segment_fixed_size 0
		.amdhsa_kernarg_size 336
		.amdhsa_user_sgpr_count 14
		.amdhsa_user_sgpr_dispatch_ptr 0
		.amdhsa_user_sgpr_queue_ptr 0
		.amdhsa_user_sgpr_kernarg_segment_ptr 1
		.amdhsa_user_sgpr_dispatch_id 0
		.amdhsa_user_sgpr_private_segment_size 0
		.amdhsa_wavefront_size32 1
		.amdhsa_uses_dynamic_stack 0
		.amdhsa_enable_private_segment 0
		.amdhsa_system_sgpr_workgroup_id_x 1
		.amdhsa_system_sgpr_workgroup_id_y 0
		.amdhsa_system_sgpr_workgroup_id_z 1
		.amdhsa_system_sgpr_workgroup_info 0
		.amdhsa_system_vgpr_workitem_id 0
		.amdhsa_next_free_vgpr 10
		.amdhsa_next_free_sgpr 24
		.amdhsa_reserve_vcc 1
		.amdhsa_float_round_mode_32 0
		.amdhsa_float_round_mode_16_64 0
		.amdhsa_float_denorm_mode_32 3
		.amdhsa_float_denorm_mode_16_64 3
		.amdhsa_dx10_clamp 1
		.amdhsa_ieee_mode 1
		.amdhsa_fp16_overflow 0
		.amdhsa_workgroup_processor_mode 1
		.amdhsa_memory_ordered 1
		.amdhsa_forward_progress 0
		.amdhsa_shared_vgpr_count 0
		.amdhsa_exception_fp_ieee_invalid_op 0
		.amdhsa_exception_fp_denorm_src 0
		.amdhsa_exception_fp_ieee_div_zero 0
		.amdhsa_exception_fp_ieee_overflow 0
		.amdhsa_exception_fp_ieee_underflow 0
		.amdhsa_exception_fp_ieee_inexact 0
		.amdhsa_exception_int_div_zero 0
	.end_amdhsa_kernel
	.section	.text._ZL23rocblas_dot_kernel_inc1ILb0ELi512ELi4ELb0EfPKPKDF16_fEviT4_llS4_lliPT5_PT3_,"axG",@progbits,_ZL23rocblas_dot_kernel_inc1ILb0ELi512ELi4ELb0EfPKPKDF16_fEviT4_llS4_lliPT5_PT3_,comdat
.Lfunc_end340:
	.size	_ZL23rocblas_dot_kernel_inc1ILb0ELi512ELi4ELb0EfPKPKDF16_fEviT4_llS4_lliPT5_PT3_, .Lfunc_end340-_ZL23rocblas_dot_kernel_inc1ILb0ELi512ELi4ELb0EfPKPKDF16_fEviT4_llS4_lliPT5_PT3_
                                        ; -- End function
	.section	.AMDGPU.csdata,"",@progbits
; Kernel info:
; codeLenInByte = 904
; NumSgprs: 26
; NumVgprs: 10
; ScratchSize: 0
; MemoryBound: 0
; FloatMode: 240
; IeeeMode: 1
; LDSByteSize: 128 bytes/workgroup (compile time only)
; SGPRBlocks: 3
; VGPRBlocks: 1
; NumSGPRsForWavesPerEU: 26
; NumVGPRsForWavesPerEU: 10
; Occupancy: 16
; WaveLimiterHint : 1
; COMPUTE_PGM_RSRC2:SCRATCH_EN: 0
; COMPUTE_PGM_RSRC2:USER_SGPR: 14
; COMPUTE_PGM_RSRC2:TRAP_HANDLER: 0
; COMPUTE_PGM_RSRC2:TGID_X_EN: 1
; COMPUTE_PGM_RSRC2:TGID_Y_EN: 0
; COMPUTE_PGM_RSRC2:TGID_Z_EN: 1
; COMPUTE_PGM_RSRC2:TIDIG_COMP_CNT: 0
	.section	.text._ZL18rocblas_dot_kernelIlLb0ELi512ELi4ELb0EfPKPKDF16_fEviT5_lT_lS4_lS5_liPT6_PT4_,"axG",@progbits,_ZL18rocblas_dot_kernelIlLb0ELi512ELi4ELb0EfPKPKDF16_fEviT5_lT_lS4_lS5_liPT6_PT4_,comdat
	.globl	_ZL18rocblas_dot_kernelIlLb0ELi512ELi4ELb0EfPKPKDF16_fEviT5_lT_lS4_lS5_liPT6_PT4_ ; -- Begin function _ZL18rocblas_dot_kernelIlLb0ELi512ELi4ELb0EfPKPKDF16_fEviT5_lT_lS4_lS5_liPT6_PT4_
	.p2align	8
	.type	_ZL18rocblas_dot_kernelIlLb0ELi512ELi4ELb0EfPKPKDF16_fEviT5_lT_lS4_lS5_liPT6_PT4_,@function
_ZL18rocblas_dot_kernelIlLb0ELi512ELi4ELb0EfPKPKDF16_fEviT5_lT_lS4_lS5_liPT6_PT4_: ; @_ZL18rocblas_dot_kernelIlLb0ELi512ELi4ELb0EfPKPKDF16_fEviT5_lT_lS4_lS5_liPT6_PT4_
; %bb.0:
	s_clause 0x2
	s_load_b32 s12, s[0:1], 0x60
	s_load_b32 s13, s[0:1], 0x0
	s_load_b128 s[4:7], s[0:1], 0x50
	v_lshl_or_b32 v1, s14, 9, v0
	v_mov_b32_e32 v5, 0
	s_mov_b32 s2, s15
	s_mov_b32 s3, 0
	s_mov_b32 s15, exec_lo
	s_waitcnt lgkmcnt(0)
	v_cmpx_gt_i32_e64 s13, v1
	s_cbranch_execz .LBB341_4
; %bb.1:
	s_clause 0x3
	s_load_b64 s[20:21], s[0:1], 0x8
	s_load_b128 s[16:19], s[0:1], 0x10
	s_load_b128 s[8:11], s[0:1], 0x30
	s_load_b64 s[0:1], s[0:1], 0x28
	s_lshl_b64 s[22:23], s[2:3], 3
	v_ashrrev_i32_e32 v4, 31, v1
	s_waitcnt lgkmcnt(0)
	s_add_u32 s20, s20, s22
	s_addc_u32 s21, s21, s23
	v_mul_lo_u32 v9, s19, v1
	s_load_b64 s[20:21], s[20:21], 0x0
	s_add_u32 s22, s0, s22
	s_addc_u32 s23, s1, s23
	v_mul_lo_u32 v10, s18, v4
	v_mad_u64_u32 v[2:3], null, s18, v1, 0
	s_load_b64 s[22:23], s[22:23], 0x0
	v_mul_lo_u32 v11, s11, v1
	v_mul_lo_u32 v4, s10, v4
	v_mad_u64_u32 v[7:8], null, s10, v1, 0
	s_lshl_b64 s[16:17], s[16:17], 1
	s_delay_alu instid0(VALU_DEP_4) | instskip(SKIP_1) | instid1(SALU_CYCLE_1)
	v_add3_u32 v3, v3, v10, v9
	s_lshl_b32 s1, s12, 9
	v_dual_mov_b32 v5, 0 :: v_dual_add_nc_u32 v6, s1, v1
	s_mul_hi_u32 s0, s18, s1
	s_delay_alu instid0(VALU_DEP_3)
	v_add3_u32 v8, v8, v4, v11
	v_lshlrev_b64 v[1:2], 1, v[2:3]
	s_mul_i32 s19, s19, s1
	s_waitcnt lgkmcnt(0)
	s_add_u32 s20, s20, s16
	s_addc_u32 s21, s21, s17
	s_ashr_i32 s28, s1, 31
	v_lshlrev_b64 v[3:4], 1, v[7:8]
	s_mul_i32 s16, s18, s28
	s_mul_i32 s24, s18, s1
	s_add_i32 s0, s0, s16
	s_lshl_b64 s[16:17], s[8:9], 1
	s_add_i32 s25, s0, s19
	v_add_co_u32 v1, vcc_lo, s20, v1
	s_lshl_b64 s[8:9], s[24:25], 1
	s_mul_hi_u32 s27, s10, s1
	s_mul_i32 s26, s10, s1
	s_mul_i32 s0, s10, s28
	s_add_u32 s10, s22, s16
	v_add_co_ci_u32_e32 v2, vcc_lo, s21, v2, vcc_lo
	s_addc_u32 s16, s23, s17
	v_add_co_u32 v3, vcc_lo, s10, v3
	s_mul_i32 s11, s11, s1
	s_add_i32 s0, s27, s0
	v_add_co_ci_u32_e32 v4, vcc_lo, s16, v4, vcc_lo
	s_add_i32 s27, s0, s11
	s_mov_b32 s16, s3
	s_lshl_b64 s[10:11], s[26:27], 1
	s_mov_b32 s17, s3
	.p2align	6
.LBB341_2:                              ; =>This Inner Loop Header: Depth=1
	global_load_u16 v7, v[3:4], off
	global_load_u16 v8, v[1:2], off
	v_add_co_u32 v1, s0, v1, s8
	s_delay_alu instid0(VALU_DEP_1)
	v_add_co_ci_u32_e64 v2, s0, s9, v2, s0
	s_add_i32 s18, s17, 1
	v_cmp_le_i32_e32 vcc_lo, s13, v6
	v_add_co_u32 v3, s0, v3, s10
	s_cmp_gt_u32 s17, 2
	v_add_co_ci_u32_e64 v4, s0, s11, v4, s0
	s_cselect_b32 s0, -1, 0
	v_add_nc_u32_e32 v6, s1, v6
	s_or_b32 s0, s0, vcc_lo
	s_mov_b32 s17, s18
	s_and_b32 s0, exec_lo, s0
	s_delay_alu instid0(SALU_CYCLE_1)
	s_or_b32 s16, s0, s16
	s_waitcnt vmcnt(0)
	v_fma_mix_f32 v5, v7, v8, v5 op_sel_hi:[1,1,0]
	s_and_not1_b32 exec_lo, exec_lo, s16
	s_cbranch_execnz .LBB341_2
; %bb.3:
	s_or_b32 exec_lo, exec_lo, s16
.LBB341_4:
	s_delay_alu instid0(SALU_CYCLE_1) | instskip(SKIP_2) | instid1(VALU_DEP_2)
	s_or_b32 exec_lo, exec_lo, s15
	v_and_b32_e32 v2, 31, v0
	v_cmp_gt_u32_e32 vcc_lo, 32, v0
	v_lshlrev_b32_e32 v1, 2, v2
	s_and_saveexec_b32 s0, vcc_lo
	s_cbranch_execz .LBB341_6
; %bb.5:
	v_mov_b32_e32 v3, 0
	ds_store_b32 v1, v3
.LBB341_6:
	s_or_b32 exec_lo, exec_lo, s0
	v_mbcnt_lo_u32_b32 v6, -1, 0
	s_mov_b32 s1, exec_lo
	s_waitcnt lgkmcnt(0)
	s_barrier
	buffer_gl0_inv
	v_cmp_gt_u32_e64 s0, 16, v6
	s_delay_alu instid0(VALU_DEP_1) | instskip(SKIP_1) | instid1(VALU_DEP_2)
	v_cndmask_b32_e64 v3, 0, 1, s0
	v_cmp_gt_u32_e64 s0, 24, v6
	v_lshlrev_b32_e32 v3, 4, v3
	s_delay_alu instid0(VALU_DEP_1) | instskip(SKIP_3) | instid1(VALU_DEP_2)
	v_add_lshl_u32 v3, v3, v6, 2
	ds_bpermute_b32 v4, v3, v5
	v_cndmask_b32_e64 v3, 0, 1, s0
	v_cmp_gt_u32_e64 s0, 28, v6
	v_lshlrev_b32_e32 v3, 3, v3
	s_delay_alu instid0(VALU_DEP_1)
	v_add_lshl_u32 v3, v3, v6, 2
	s_waitcnt lgkmcnt(0)
	v_add_f32_e32 v5, v5, v4
	v_cndmask_b32_e64 v4, 0, 1, s0
	v_cmp_gt_u32_e64 s0, 30, v6
	ds_bpermute_b32 v7, v3, v5
	s_waitcnt lgkmcnt(0)
	v_dual_add_f32 v7, v5, v7 :: v_dual_lshlrev_b32 v4, 2, v4
	s_delay_alu instid0(VALU_DEP_1) | instskip(SKIP_4) | instid1(VALU_DEP_1)
	v_add_lshl_u32 v4, v4, v6, 2
	v_cndmask_b32_e64 v5, 0, 1, s0
	v_cmp_ne_u32_e64 s0, 31, v6
	ds_bpermute_b32 v8, v4, v7
	v_lshlrev_b32_e32 v5, 1, v5
	v_add_lshl_u32 v5, v5, v6, 2
	v_add_co_ci_u32_e64 v6, s0, 0, v6, s0
	s_waitcnt lgkmcnt(0)
	s_delay_alu instid0(VALU_DEP_1)
	v_dual_add_f32 v7, v7, v8 :: v_dual_lshlrev_b32 v6, 2, v6
	ds_bpermute_b32 v8, v5, v7
	s_waitcnt lgkmcnt(0)
	v_add_f32_e32 v7, v7, v8
	ds_bpermute_b32 v8, v6, v7
	v_cmpx_eq_u32_e32 0, v2
	s_cbranch_execz .LBB341_8
; %bb.7:
	v_lshrrev_b32_e32 v2, 3, v0
	s_waitcnt lgkmcnt(0)
	s_delay_alu instid0(VALU_DEP_1)
	v_dual_add_f32 v7, v7, v8 :: v_dual_and_b32 v2, 60, v2
	ds_store_b32 v2, v7
.LBB341_8:
	s_or_b32 exec_lo, exec_lo, s1
	v_mov_b32_e32 v2, 0
	s_mov_b32 s1, exec_lo
	s_waitcnt lgkmcnt(0)
	s_barrier
	buffer_gl0_inv
	v_cmpx_gt_u32_e32 16, v0
	s_cbranch_execz .LBB341_10
; %bb.9:
	ds_load_b32 v2, v1
.LBB341_10:
	s_or_b32 exec_lo, exec_lo, s1
	s_and_saveexec_b32 s0, vcc_lo
	s_cbranch_execz .LBB341_12
; %bb.11:
	s_waitcnt lgkmcnt(0)
	ds_bpermute_b32 v1, v3, v2
	s_waitcnt lgkmcnt(0)
	v_add_f32_e32 v1, v2, v1
	ds_bpermute_b32 v2, v4, v1
	s_waitcnt lgkmcnt(0)
	v_add_f32_e32 v1, v1, v2
	;; [unrolled: 3-line block ×4, first 2 shown]
.LBB341_12:
	s_or_b32 exec_lo, exec_lo, s0
	s_delay_alu instid0(SALU_CYCLE_1)
	s_mov_b32 s0, exec_lo
	v_cmpx_eq_u32_e32 0, v0
	s_cbranch_execz .LBB341_18
; %bb.13:
	s_cmp_lg_u32 s12, 1
	s_cbranch_scc0 .LBB341_15
; %bb.14:
	s_mul_hi_u32 s1, s12, s2
	s_mul_i32 s0, s12, s2
	s_mov_b32 s15, 0
	s_lshl_b64 s[0:1], s[0:1], 2
	s_delay_alu instid0(SALU_CYCLE_1) | instskip(SKIP_2) | instid1(SALU_CYCLE_1)
	s_add_u32 s4, s4, s0
	s_addc_u32 s5, s5, s1
	s_lshl_b64 s[0:1], s[14:15], 2
	s_add_u32 s0, s4, s0
	s_addc_u32 s1, s5, s1
	s_cbranch_execz .LBB341_16
	s_branch .LBB341_17
.LBB341_15:
                                        ; implicit-def: $sgpr0_sgpr1
.LBB341_16:
	s_lshl_b64 s[0:1], s[2:3], 2
	s_delay_alu instid0(SALU_CYCLE_1)
	s_add_u32 s0, s6, s0
	s_addc_u32 s1, s7, s1
.LBB341_17:
	v_mov_b32_e32 v0, 0
	s_waitcnt lgkmcnt(0)
	global_store_b32 v0, v2, s[0:1]
.LBB341_18:
	s_nop 0
	s_sendmsg sendmsg(MSG_DEALLOC_VGPRS)
	s_endpgm
	.section	.rodata,"a",@progbits
	.p2align	6, 0x0
	.amdhsa_kernel _ZL18rocblas_dot_kernelIlLb0ELi512ELi4ELb0EfPKPKDF16_fEviT5_lT_lS4_lS5_liPT6_PT4_
		.amdhsa_group_segment_fixed_size 128
		.amdhsa_private_segment_fixed_size 0
		.amdhsa_kernarg_size 352
		.amdhsa_user_sgpr_count 14
		.amdhsa_user_sgpr_dispatch_ptr 0
		.amdhsa_user_sgpr_queue_ptr 0
		.amdhsa_user_sgpr_kernarg_segment_ptr 1
		.amdhsa_user_sgpr_dispatch_id 0
		.amdhsa_user_sgpr_private_segment_size 0
		.amdhsa_wavefront_size32 1
		.amdhsa_uses_dynamic_stack 0
		.amdhsa_enable_private_segment 0
		.amdhsa_system_sgpr_workgroup_id_x 1
		.amdhsa_system_sgpr_workgroup_id_y 0
		.amdhsa_system_sgpr_workgroup_id_z 1
		.amdhsa_system_sgpr_workgroup_info 0
		.amdhsa_system_vgpr_workitem_id 0
		.amdhsa_next_free_vgpr 12
		.amdhsa_next_free_sgpr 29
		.amdhsa_reserve_vcc 1
		.amdhsa_float_round_mode_32 0
		.amdhsa_float_round_mode_16_64 0
		.amdhsa_float_denorm_mode_32 3
		.amdhsa_float_denorm_mode_16_64 3
		.amdhsa_dx10_clamp 1
		.amdhsa_ieee_mode 1
		.amdhsa_fp16_overflow 0
		.amdhsa_workgroup_processor_mode 1
		.amdhsa_memory_ordered 1
		.amdhsa_forward_progress 0
		.amdhsa_shared_vgpr_count 0
		.amdhsa_exception_fp_ieee_invalid_op 0
		.amdhsa_exception_fp_denorm_src 0
		.amdhsa_exception_fp_ieee_div_zero 0
		.amdhsa_exception_fp_ieee_overflow 0
		.amdhsa_exception_fp_ieee_underflow 0
		.amdhsa_exception_fp_ieee_inexact 0
		.amdhsa_exception_int_div_zero 0
	.end_amdhsa_kernel
	.section	.text._ZL18rocblas_dot_kernelIlLb0ELi512ELi4ELb0EfPKPKDF16_fEviT5_lT_lS4_lS5_liPT6_PT4_,"axG",@progbits,_ZL18rocblas_dot_kernelIlLb0ELi512ELi4ELb0EfPKPKDF16_fEviT5_lT_lS4_lS5_liPT6_PT4_,comdat
.Lfunc_end341:
	.size	_ZL18rocblas_dot_kernelIlLb0ELi512ELi4ELb0EfPKPKDF16_fEviT5_lT_lS4_lS5_liPT6_PT4_, .Lfunc_end341-_ZL18rocblas_dot_kernelIlLb0ELi512ELi4ELb0EfPKPKDF16_fEviT5_lT_lS4_lS5_liPT6_PT4_
                                        ; -- End function
	.section	.AMDGPU.csdata,"",@progbits
; Kernel info:
; codeLenInByte = 1060
; NumSgprs: 31
; NumVgprs: 12
; ScratchSize: 0
; MemoryBound: 0
; FloatMode: 240
; IeeeMode: 1
; LDSByteSize: 128 bytes/workgroup (compile time only)
; SGPRBlocks: 3
; VGPRBlocks: 1
; NumSGPRsForWavesPerEU: 31
; NumVGPRsForWavesPerEU: 12
; Occupancy: 16
; WaveLimiterHint : 0
; COMPUTE_PGM_RSRC2:SCRATCH_EN: 0
; COMPUTE_PGM_RSRC2:USER_SGPR: 14
; COMPUTE_PGM_RSRC2:TRAP_HANDLER: 0
; COMPUTE_PGM_RSRC2:TGID_X_EN: 1
; COMPUTE_PGM_RSRC2:TGID_Y_EN: 0
; COMPUTE_PGM_RSRC2:TGID_Z_EN: 1
; COMPUTE_PGM_RSRC2:TIDIG_COMP_CNT: 0
	.section	.text._ZL24rocblas_dot_kernel_magsqIlLb0ELi512ELi4ELb0EfPKPKDF16_fEviT5_lT_liPT6_PT4_,"axG",@progbits,_ZL24rocblas_dot_kernel_magsqIlLb0ELi512ELi4ELb0EfPKPKDF16_fEviT5_lT_liPT6_PT4_,comdat
	.globl	_ZL24rocblas_dot_kernel_magsqIlLb0ELi512ELi4ELb0EfPKPKDF16_fEviT5_lT_liPT6_PT4_ ; -- Begin function _ZL24rocblas_dot_kernel_magsqIlLb0ELi512ELi4ELb0EfPKPKDF16_fEviT5_lT_liPT6_PT4_
	.p2align	8
	.type	_ZL24rocblas_dot_kernel_magsqIlLb0ELi512ELi4ELb0EfPKPKDF16_fEviT5_lT_liPT6_PT4_,@function
_ZL24rocblas_dot_kernel_magsqIlLb0ELi512ELi4ELb0EfPKPKDF16_fEviT5_lT_liPT6_PT4_: ; @_ZL24rocblas_dot_kernel_magsqIlLb0ELi512ELi4ELb0EfPKPKDF16_fEviT5_lT_liPT6_PT4_
; %bb.0:
	s_clause 0x2
	s_load_b32 s11, s[0:1], 0x0
	s_load_b128 s[4:7], s[0:1], 0x30
	s_load_b32 s10, s[0:1], 0x40
	v_lshl_or_b32 v1, s14, 9, v0
	v_mov_b32_e32 v3, 0
	s_mov_b32 s8, s15
	s_mov_b32 s9, 0
	s_mov_b32 s12, exec_lo
	s_waitcnt lgkmcnt(0)
	v_cmpx_gt_i32_e64 s11, v1
	s_cbranch_execz .LBB342_4
; %bb.1:
	s_clause 0x1
	s_load_b64 s[16:17], s[0:1], 0x8
	s_load_b128 s[0:3], s[0:1], 0x10
	s_lshl_b64 s[18:19], s[8:9], 3
	v_ashrrev_i32_e32 v2, 31, v1
	s_waitcnt lgkmcnt(0)
	s_add_u32 s16, s16, s18
	s_addc_u32 s17, s17, s19
	v_mul_lo_u32 v4, s3, v1
	s_load_b64 s[16:17], s[16:17], 0x0
	v_mul_lo_u32 v2, s2, v2
	v_mad_u64_u32 v[5:6], null, s2, v1, 0
	s_lshl_b32 s13, s10, 9
	v_mov_b32_e32 v3, 0
	s_lshl_b64 s[0:1], s[0:1], 1
	s_mul_hi_u32 s15, s2, s13
	s_mul_i32 s3, s3, s13
	s_delay_alu instid0(VALU_DEP_2) | instskip(SKIP_1) | instid1(VALU_DEP_2)
	v_add3_u32 v6, v6, v2, v4
	v_add_nc_u32_e32 v4, s13, v1
	v_lshlrev_b64 v[1:2], 1, v[5:6]
	s_waitcnt lgkmcnt(0)
	s_add_u32 s0, s16, s0
	s_addc_u32 s1, s17, s1
	s_ashr_i32 s16, s13, 31
	s_delay_alu instid0(VALU_DEP_1)
	v_add_co_u32 v1, vcc_lo, s0, v1
	s_mul_i32 s16, s2, s16
	v_add_co_ci_u32_e32 v2, vcc_lo, s1, v2, vcc_lo
	s_add_i32 s15, s15, s16
	s_mul_i32 s2, s2, s13
	s_add_i32 s3, s15, s3
	s_mov_b32 s1, s9
	s_lshl_b64 s[2:3], s[2:3], 1
	s_mov_b32 s15, s9
	.p2align	6
.LBB342_2:                              ; =>This Inner Loop Header: Depth=1
	global_load_u16 v5, v[1:2], off
	s_add_i32 s16, s15, 1
	v_cmp_le_i32_e32 vcc_lo, s11, v4
	v_add_co_u32 v1, s0, v1, s2
	s_cmp_gt_u32 s15, 2
	v_add_co_ci_u32_e64 v2, s0, s3, v2, s0
	s_cselect_b32 s0, -1, 0
	v_add_nc_u32_e32 v4, s13, v4
	s_or_b32 s0, s0, vcc_lo
	s_mov_b32 s15, s16
	s_and_b32 s0, exec_lo, s0
	s_delay_alu instid0(SALU_CYCLE_1)
	s_or_b32 s1, s0, s1
	s_waitcnt vmcnt(0)
	v_fma_mix_f32 v3, v5, v5, v3 op_sel_hi:[1,1,0]
	s_and_not1_b32 exec_lo, exec_lo, s1
	s_cbranch_execnz .LBB342_2
; %bb.3:
	s_or_b32 exec_lo, exec_lo, s1
.LBB342_4:
	s_delay_alu instid0(SALU_CYCLE_1) | instskip(SKIP_2) | instid1(VALU_DEP_2)
	s_or_b32 exec_lo, exec_lo, s12
	v_and_b32_e32 v2, 31, v0
	v_cmp_gt_u32_e32 vcc_lo, 32, v0
	v_lshlrev_b32_e32 v1, 2, v2
	s_and_saveexec_b32 s0, vcc_lo
	s_cbranch_execz .LBB342_6
; %bb.5:
	v_mov_b32_e32 v4, 0
	ds_store_b32 v1, v4
.LBB342_6:
	s_or_b32 exec_lo, exec_lo, s0
	v_mbcnt_lo_u32_b32 v6, -1, 0
	s_mov_b32 s1, exec_lo
	s_waitcnt lgkmcnt(0)
	s_barrier
	buffer_gl0_inv
	v_cmp_gt_u32_e64 s0, 16, v6
	s_delay_alu instid0(VALU_DEP_1) | instskip(SKIP_1) | instid1(VALU_DEP_2)
	v_cndmask_b32_e64 v4, 0, 1, s0
	v_cmp_gt_u32_e64 s0, 24, v6
	v_lshlrev_b32_e32 v4, 4, v4
	s_delay_alu instid0(VALU_DEP_1) | instskip(SKIP_4) | instid1(VALU_DEP_2)
	v_add_lshl_u32 v4, v4, v6, 2
	ds_bpermute_b32 v5, v4, v3
	v_cndmask_b32_e64 v4, 0, 1, s0
	v_cmp_gt_u32_e64 s0, 28, v6
	s_waitcnt lgkmcnt(0)
	v_dual_add_f32 v5, v3, v5 :: v_dual_lshlrev_b32 v4, 3, v4
	s_delay_alu instid0(VALU_DEP_2) | instskip(SKIP_1) | instid1(VALU_DEP_3)
	v_cndmask_b32_e64 v3, 0, 1, s0
	v_cmp_gt_u32_e64 s0, 30, v6
	v_add_lshl_u32 v4, v4, v6, 2
	s_delay_alu instid0(VALU_DEP_3)
	v_lshlrev_b32_e32 v3, 2, v3
	ds_bpermute_b32 v7, v4, v5
	v_add_lshl_u32 v3, v3, v6, 2
	s_waitcnt lgkmcnt(0)
	v_add_f32_e32 v7, v5, v7
	v_cndmask_b32_e64 v5, 0, 1, s0
	v_cmp_ne_u32_e64 s0, 31, v6
	ds_bpermute_b32 v8, v3, v7
	v_lshlrev_b32_e32 v5, 1, v5
	s_delay_alu instid0(VALU_DEP_1) | instskip(SKIP_2) | instid1(VALU_DEP_1)
	v_add_lshl_u32 v5, v5, v6, 2
	v_add_co_ci_u32_e64 v6, s0, 0, v6, s0
	s_waitcnt lgkmcnt(0)
	v_dual_add_f32 v7, v7, v8 :: v_dual_lshlrev_b32 v6, 2, v6
	ds_bpermute_b32 v8, v5, v7
	s_waitcnt lgkmcnt(0)
	v_add_f32_e32 v7, v7, v8
	ds_bpermute_b32 v8, v6, v7
	v_cmpx_eq_u32_e32 0, v2
	s_cbranch_execz .LBB342_8
; %bb.7:
	v_lshrrev_b32_e32 v2, 3, v0
	s_waitcnt lgkmcnt(0)
	s_delay_alu instid0(VALU_DEP_1)
	v_dual_add_f32 v7, v7, v8 :: v_dual_and_b32 v2, 60, v2
	ds_store_b32 v2, v7
.LBB342_8:
	s_or_b32 exec_lo, exec_lo, s1
	v_mov_b32_e32 v2, 0
	s_mov_b32 s1, exec_lo
	s_waitcnt lgkmcnt(0)
	s_barrier
	buffer_gl0_inv
	v_cmpx_gt_u32_e32 16, v0
	s_cbranch_execz .LBB342_10
; %bb.9:
	ds_load_b32 v2, v1
.LBB342_10:
	s_or_b32 exec_lo, exec_lo, s1
	s_and_saveexec_b32 s0, vcc_lo
	s_cbranch_execz .LBB342_12
; %bb.11:
	s_waitcnt lgkmcnt(0)
	ds_bpermute_b32 v1, v4, v2
	s_waitcnt lgkmcnt(0)
	v_add_f32_e32 v1, v2, v1
	ds_bpermute_b32 v2, v3, v1
	s_waitcnt lgkmcnt(0)
	v_add_f32_e32 v1, v1, v2
	;; [unrolled: 3-line block ×4, first 2 shown]
.LBB342_12:
	s_or_b32 exec_lo, exec_lo, s0
	s_delay_alu instid0(SALU_CYCLE_1)
	s_mov_b32 s0, exec_lo
	v_cmpx_eq_u32_e32 0, v0
	s_cbranch_execz .LBB342_18
; %bb.13:
	s_cmp_lg_u32 s10, 1
	s_cbranch_scc0 .LBB342_15
; %bb.14:
	s_mul_hi_u32 s1, s10, s8
	s_mul_i32 s0, s10, s8
	s_mov_b32 s15, 0
	s_lshl_b64 s[0:1], s[0:1], 2
	s_delay_alu instid0(SALU_CYCLE_1) | instskip(SKIP_2) | instid1(SALU_CYCLE_1)
	s_add_u32 s2, s4, s0
	s_addc_u32 s3, s5, s1
	s_lshl_b64 s[0:1], s[14:15], 2
	s_add_u32 s0, s2, s0
	s_addc_u32 s1, s3, s1
	s_cbranch_execz .LBB342_16
	s_branch .LBB342_17
.LBB342_15:
                                        ; implicit-def: $sgpr0_sgpr1
.LBB342_16:
	s_lshl_b64 s[0:1], s[8:9], 2
	s_delay_alu instid0(SALU_CYCLE_1)
	s_add_u32 s0, s6, s0
	s_addc_u32 s1, s7, s1
.LBB342_17:
	v_mov_b32_e32 v0, 0
	s_waitcnt lgkmcnt(0)
	global_store_b32 v0, v2, s[0:1]
.LBB342_18:
	s_nop 0
	s_sendmsg sendmsg(MSG_DEALLOC_VGPRS)
	s_endpgm
	.section	.rodata,"a",@progbits
	.p2align	6, 0x0
	.amdhsa_kernel _ZL24rocblas_dot_kernel_magsqIlLb0ELi512ELi4ELb0EfPKPKDF16_fEviT5_lT_liPT6_PT4_
		.amdhsa_group_segment_fixed_size 128
		.amdhsa_private_segment_fixed_size 0
		.amdhsa_kernarg_size 320
		.amdhsa_user_sgpr_count 14
		.amdhsa_user_sgpr_dispatch_ptr 0
		.amdhsa_user_sgpr_queue_ptr 0
		.amdhsa_user_sgpr_kernarg_segment_ptr 1
		.amdhsa_user_sgpr_dispatch_id 0
		.amdhsa_user_sgpr_private_segment_size 0
		.amdhsa_wavefront_size32 1
		.amdhsa_uses_dynamic_stack 0
		.amdhsa_enable_private_segment 0
		.amdhsa_system_sgpr_workgroup_id_x 1
		.amdhsa_system_sgpr_workgroup_id_y 0
		.amdhsa_system_sgpr_workgroup_id_z 1
		.amdhsa_system_sgpr_workgroup_info 0
		.amdhsa_system_vgpr_workitem_id 0
		.amdhsa_next_free_vgpr 9
		.amdhsa_next_free_sgpr 20
		.amdhsa_reserve_vcc 1
		.amdhsa_float_round_mode_32 0
		.amdhsa_float_round_mode_16_64 0
		.amdhsa_float_denorm_mode_32 3
		.amdhsa_float_denorm_mode_16_64 3
		.amdhsa_dx10_clamp 1
		.amdhsa_ieee_mode 1
		.amdhsa_fp16_overflow 0
		.amdhsa_workgroup_processor_mode 1
		.amdhsa_memory_ordered 1
		.amdhsa_forward_progress 0
		.amdhsa_shared_vgpr_count 0
		.amdhsa_exception_fp_ieee_invalid_op 0
		.amdhsa_exception_fp_denorm_src 0
		.amdhsa_exception_fp_ieee_div_zero 0
		.amdhsa_exception_fp_ieee_overflow 0
		.amdhsa_exception_fp_ieee_underflow 0
		.amdhsa_exception_fp_ieee_inexact 0
		.amdhsa_exception_int_div_zero 0
	.end_amdhsa_kernel
	.section	.text._ZL24rocblas_dot_kernel_magsqIlLb0ELi512ELi4ELb0EfPKPKDF16_fEviT5_lT_liPT6_PT4_,"axG",@progbits,_ZL24rocblas_dot_kernel_magsqIlLb0ELi512ELi4ELb0EfPKPKDF16_fEviT5_lT_liPT6_PT4_,comdat
.Lfunc_end342:
	.size	_ZL24rocblas_dot_kernel_magsqIlLb0ELi512ELi4ELb0EfPKPKDF16_fEviT5_lT_liPT6_PT4_, .Lfunc_end342-_ZL24rocblas_dot_kernel_magsqIlLb0ELi512ELi4ELb0EfPKPKDF16_fEviT5_lT_liPT6_PT4_
                                        ; -- End function
	.section	.AMDGPU.csdata,"",@progbits
; Kernel info:
; codeLenInByte = 908
; NumSgprs: 22
; NumVgprs: 9
; ScratchSize: 0
; MemoryBound: 0
; FloatMode: 240
; IeeeMode: 1
; LDSByteSize: 128 bytes/workgroup (compile time only)
; SGPRBlocks: 2
; VGPRBlocks: 1
; NumSGPRsForWavesPerEU: 22
; NumVGPRsForWavesPerEU: 9
; Occupancy: 16
; WaveLimiterHint : 0
; COMPUTE_PGM_RSRC2:SCRATCH_EN: 0
; COMPUTE_PGM_RSRC2:USER_SGPR: 14
; COMPUTE_PGM_RSRC2:TRAP_HANDLER: 0
; COMPUTE_PGM_RSRC2:TGID_X_EN: 1
; COMPUTE_PGM_RSRC2:TGID_Y_EN: 0
; COMPUTE_PGM_RSRC2:TGID_Z_EN: 1
; COMPUTE_PGM_RSRC2:TIDIG_COMP_CNT: 0
	.section	.text._ZL28rocblas_dot_batched_4_kernelIlLi32ELi4ELb0EDF16_fPKDF16_EviT5_lT_lS2_lS3_liPT4_,"axG",@progbits,_ZL28rocblas_dot_batched_4_kernelIlLi32ELi4ELb0EDF16_fPKDF16_EviT5_lT_lS2_lS3_liPT4_,comdat
	.globl	_ZL28rocblas_dot_batched_4_kernelIlLi32ELi4ELb0EDF16_fPKDF16_EviT5_lT_lS2_lS3_liPT4_ ; -- Begin function _ZL28rocblas_dot_batched_4_kernelIlLi32ELi4ELb0EDF16_fPKDF16_EviT5_lT_lS2_lS3_liPT4_
	.p2align	8
	.type	_ZL28rocblas_dot_batched_4_kernelIlLi32ELi4ELb0EDF16_fPKDF16_EviT5_lT_lS2_lS3_liPT4_,@function
_ZL28rocblas_dot_batched_4_kernelIlLi32ELi4ELb0EDF16_fPKDF16_EviT5_lT_lS2_lS3_liPT4_: ; @_ZL28rocblas_dot_batched_4_kernelIlLi32ELi4ELb0EDF16_fPKDF16_EviT5_lT_lS2_lS3_liPT4_
; %bb.0:
	s_load_b32 s2, s[0:1], 0x48
	v_bfe_u32 v1, v0, 10, 10
	s_delay_alu instid0(VALU_DEP_1) | instskip(SKIP_1) | instid1(VALU_DEP_1)
	v_lshl_add_u32 v1, s15, 2, v1
	s_waitcnt lgkmcnt(0)
	v_cmp_gt_u32_e32 vcc_lo, s2, v1
	s_and_saveexec_b32 s2, vcc_lo
	s_cbranch_execz .LBB343_7
; %bb.1:
	s_clause 0x1
	s_load_b32 s16, s[0:1], 0x0
	s_load_b64 s[2:3], s[0:1], 0x50
	v_mov_b32_e32 v2, 0
	v_and_b32_e32 v0, 0x3ff, v0
	s_mov_b32 s17, exec_lo
	s_delay_alu instid0(VALU_DEP_2) | instskip(SKIP_1) | instid1(VALU_DEP_2)
	v_mov_b32_e32 v7, v2
	s_waitcnt lgkmcnt(0)
	v_cmpx_gt_i32_e64 s16, v0
	s_cbranch_execz .LBB343_5
; %bb.2:
	s_clause 0x3
	s_load_b128 s[12:15], s[0:1], 0x10
	s_load_b256 s[4:11], s[0:1], 0x20
	s_load_b64 s[18:19], s[0:1], 0x40
	s_load_b64 s[0:1], s[0:1], 0x8
	s_waitcnt lgkmcnt(0)
	v_mad_u64_u32 v[3:4], null, s14, v0, 0
	v_mad_u64_u32 v[5:6], null, s4, v1, 0
	;; [unrolled: 1-line block ×4, first 2 shown]
	s_lshl_b64 s[12:13], s[12:13], 1
	s_delay_alu instid0(VALU_DEP_3) | instskip(SKIP_4) | instid1(VALU_DEP_2)
	v_mad_u64_u32 v[12:13], null, s15, v0, v[4:5]
	v_mov_b32_e32 v7, 0
	s_add_u32 s12, s0, s12
	s_addc_u32 s13, s1, s13
	s_lshl_b64 s[0:1], s[8:9], 1
	v_mov_b32_e32 v4, v12
	v_mad_u64_u32 v[13:14], null, s5, v1, v[6:7]
	v_mad_u64_u32 v[14:15], null, s11, v0, v[9:10]
	;; [unrolled: 1-line block ×3, first 2 shown]
	s_delay_alu instid0(VALU_DEP_4) | instskip(SKIP_1) | instid1(VALU_DEP_4)
	v_lshlrev_b64 v[3:4], 1, v[3:4]
	s_lshl_b64 s[4:5], s[14:15], 6
	v_mov_b32_e32 v6, v13
	s_add_u32 s0, s6, s0
	s_delay_alu instid0(VALU_DEP_4) | instskip(SKIP_1) | instid1(VALU_DEP_4)
	v_mov_b32_e32 v9, v14
	s_addc_u32 s1, s7, s1
	v_mov_b32_e32 v11, v15
	v_lshlrev_b64 v[5:6], 1, v[5:6]
	s_lshl_b64 s[6:7], s[10:11], 6
	v_lshlrev_b64 v[8:9], 1, v[8:9]
	s_delay_alu instid0(VALU_DEP_3) | instskip(NEXT) | instid1(VALU_DEP_3)
	v_lshlrev_b64 v[10:11], 1, v[10:11]
	v_add_co_u32 v3, vcc_lo, v3, v5
	s_delay_alu instid0(VALU_DEP_4) | instskip(NEXT) | instid1(VALU_DEP_3)
	v_add_co_ci_u32_e32 v4, vcc_lo, v4, v6, vcc_lo
	v_add_co_u32 v5, vcc_lo, v8, v10
	v_mov_b32_e32 v8, v0
	v_add_co_ci_u32_e32 v6, vcc_lo, v9, v11, vcc_lo
	v_add_co_u32 v3, vcc_lo, s12, v3
	v_add_co_ci_u32_e32 v4, vcc_lo, s13, v4, vcc_lo
	v_add_co_u32 v5, vcc_lo, s0, v5
	s_delay_alu instid0(VALU_DEP_4)
	v_add_co_ci_u32_e32 v6, vcc_lo, s1, v6, vcc_lo
	s_mov_b32 s1, 0
	.p2align	6
.LBB343_3:                              ; =>This Inner Loop Header: Depth=1
	global_load_u16 v9, v[3:4], off
	global_load_u16 v10, v[5:6], off
	v_add_nc_u32_e32 v8, 32, v8
	v_add_co_u32 v3, vcc_lo, v3, s4
	v_add_co_ci_u32_e32 v4, vcc_lo, s5, v4, vcc_lo
	v_add_co_u32 v5, vcc_lo, v5, s6
	s_delay_alu instid0(VALU_DEP_4) | instskip(SKIP_1) | instid1(VALU_DEP_2)
	v_cmp_le_i32_e64 s0, s16, v8
	v_add_co_ci_u32_e32 v6, vcc_lo, s7, v6, vcc_lo
	s_or_b32 s1, s0, s1
	s_waitcnt vmcnt(0)
	v_fmac_f16_e32 v7, v9, v10
	s_and_not1_b32 exec_lo, exec_lo, s1
	s_cbranch_execnz .LBB343_3
; %bb.4:
	s_or_b32 exec_lo, exec_lo, s1
.LBB343_5:
	s_delay_alu instid0(SALU_CYCLE_1)
	s_or_b32 exec_lo, exec_lo, s17
	v_mbcnt_lo_u32_b32 v4, -1, 0
	v_and_b32_e32 v5, 0xffff, v7
	s_barrier
	buffer_gl0_inv
	v_cmp_gt_u32_e32 vcc_lo, 16, v4
	v_cndmask_b32_e64 v3, 0, 1, vcc_lo
	v_cmp_gt_u32_e32 vcc_lo, 24, v4
	s_delay_alu instid0(VALU_DEP_2) | instskip(NEXT) | instid1(VALU_DEP_1)
	v_lshlrev_b32_e32 v3, 4, v3
	v_add_lshl_u32 v3, v3, v4, 2
	ds_bpermute_b32 v3, v3, v5
	v_cndmask_b32_e64 v5, 0, 1, vcc_lo
	v_cmp_gt_u32_e32 vcc_lo, 28, v4
	s_delay_alu instid0(VALU_DEP_2) | instskip(NEXT) | instid1(VALU_DEP_1)
	v_lshlrev_b32_e32 v5, 3, v5
	v_add_lshl_u32 v5, v5, v4, 2
	s_waitcnt lgkmcnt(0)
	v_add_f16_e32 v6, v7, v3
	s_delay_alu instid0(VALU_DEP_1) | instskip(NEXT) | instid1(VALU_DEP_1)
	v_and_b32_e32 v7, 0xffff, v6
	v_and_or_b32 v3, 0xffff0000, v3, v7
	ds_bpermute_b32 v3, v5, v3
	v_cndmask_b32_e64 v5, 0, 1, vcc_lo
	v_cmp_gt_u32_e32 vcc_lo, 30, v4
	s_delay_alu instid0(VALU_DEP_2) | instskip(NEXT) | instid1(VALU_DEP_1)
	v_lshlrev_b32_e32 v5, 2, v5
	v_add_lshl_u32 v5, v5, v4, 2
	s_waitcnt lgkmcnt(0)
	v_add_f16_e32 v6, v6, v3
	s_delay_alu instid0(VALU_DEP_1) | instskip(NEXT) | instid1(VALU_DEP_1)
	v_and_b32_e32 v7, 0xffff, v6
	v_and_or_b32 v3, 0xffff0000, v3, v7
	ds_bpermute_b32 v3, v5, v3
	v_cndmask_b32_e64 v5, 0, 1, vcc_lo
	v_cmp_ne_u32_e32 vcc_lo, 31, v4
	s_delay_alu instid0(VALU_DEP_2) | instskip(NEXT) | instid1(VALU_DEP_1)
	v_lshlrev_b32_e32 v5, 1, v5
	v_add_lshl_u32 v5, v5, v4, 2
	v_add_co_ci_u32_e32 v4, vcc_lo, 0, v4, vcc_lo
	v_cmp_eq_u32_e32 vcc_lo, 0, v0
	s_delay_alu instid0(VALU_DEP_2) | instskip(SKIP_2) | instid1(VALU_DEP_1)
	v_lshlrev_b32_e32 v4, 2, v4
	s_waitcnt lgkmcnt(0)
	v_add_f16_e32 v6, v6, v3
	v_and_b32_e32 v7, 0xffff, v6
	s_delay_alu instid0(VALU_DEP_1) | instskip(SKIP_3) | instid1(VALU_DEP_1)
	v_and_or_b32 v3, 0xffff0000, v3, v7
	ds_bpermute_b32 v5, v5, v3
	s_waitcnt lgkmcnt(0)
	v_add_f16_e32 v3, v6, v5
	v_and_b32_e32 v6, 0xffff, v3
	s_delay_alu instid0(VALU_DEP_1)
	v_and_or_b32 v5, 0xffff0000, v5, v6
	ds_bpermute_b32 v4, v4, v5
	s_and_b32 exec_lo, exec_lo, vcc_lo
	s_cbranch_execz .LBB343_7
; %bb.6:
	v_lshlrev_b64 v[0:1], 2, v[1:2]
	s_waitcnt lgkmcnt(0)
	v_add_f16_e32 v2, v3, v4
	s_delay_alu instid0(VALU_DEP_1) | instskip(NEXT) | instid1(VALU_DEP_3)
	v_cvt_f32_f16_e32 v2, v2
	v_add_co_u32 v0, vcc_lo, s2, v0
	s_delay_alu instid0(VALU_DEP_4)
	v_add_co_ci_u32_e32 v1, vcc_lo, s3, v1, vcc_lo
	global_store_b32 v[0:1], v2, off
.LBB343_7:
	s_nop 0
	s_sendmsg sendmsg(MSG_DEALLOC_VGPRS)
	s_endpgm
	.section	.rodata,"a",@progbits
	.p2align	6, 0x0
	.amdhsa_kernel _ZL28rocblas_dot_batched_4_kernelIlLi32ELi4ELb0EDF16_fPKDF16_EviT5_lT_lS2_lS3_liPT4_
		.amdhsa_group_segment_fixed_size 0
		.amdhsa_private_segment_fixed_size 0
		.amdhsa_kernarg_size 88
		.amdhsa_user_sgpr_count 15
		.amdhsa_user_sgpr_dispatch_ptr 0
		.amdhsa_user_sgpr_queue_ptr 0
		.amdhsa_user_sgpr_kernarg_segment_ptr 1
		.amdhsa_user_sgpr_dispatch_id 0
		.amdhsa_user_sgpr_private_segment_size 0
		.amdhsa_wavefront_size32 1
		.amdhsa_uses_dynamic_stack 0
		.amdhsa_enable_private_segment 0
		.amdhsa_system_sgpr_workgroup_id_x 1
		.amdhsa_system_sgpr_workgroup_id_y 0
		.amdhsa_system_sgpr_workgroup_id_z 0
		.amdhsa_system_sgpr_workgroup_info 0
		.amdhsa_system_vgpr_workitem_id 1
		.amdhsa_next_free_vgpr 17
		.amdhsa_next_free_sgpr 20
		.amdhsa_reserve_vcc 1
		.amdhsa_float_round_mode_32 0
		.amdhsa_float_round_mode_16_64 0
		.amdhsa_float_denorm_mode_32 3
		.amdhsa_float_denorm_mode_16_64 3
		.amdhsa_dx10_clamp 1
		.amdhsa_ieee_mode 1
		.amdhsa_fp16_overflow 0
		.amdhsa_workgroup_processor_mode 1
		.amdhsa_memory_ordered 1
		.amdhsa_forward_progress 0
		.amdhsa_shared_vgpr_count 0
		.amdhsa_exception_fp_ieee_invalid_op 0
		.amdhsa_exception_fp_denorm_src 0
		.amdhsa_exception_fp_ieee_div_zero 0
		.amdhsa_exception_fp_ieee_overflow 0
		.amdhsa_exception_fp_ieee_underflow 0
		.amdhsa_exception_fp_ieee_inexact 0
		.amdhsa_exception_int_div_zero 0
	.end_amdhsa_kernel
	.section	.text._ZL28rocblas_dot_batched_4_kernelIlLi32ELi4ELb0EDF16_fPKDF16_EviT5_lT_lS2_lS3_liPT4_,"axG",@progbits,_ZL28rocblas_dot_batched_4_kernelIlLi32ELi4ELb0EDF16_fPKDF16_EviT5_lT_lS2_lS3_liPT4_,comdat
.Lfunc_end343:
	.size	_ZL28rocblas_dot_batched_4_kernelIlLi32ELi4ELb0EDF16_fPKDF16_EviT5_lT_lS2_lS3_liPT4_, .Lfunc_end343-_ZL28rocblas_dot_batched_4_kernelIlLi32ELi4ELb0EDF16_fPKDF16_EviT5_lT_lS2_lS3_liPT4_
                                        ; -- End function
	.section	.AMDGPU.csdata,"",@progbits
; Kernel info:
; codeLenInByte = 856
; NumSgprs: 22
; NumVgprs: 17
; ScratchSize: 0
; MemoryBound: 0
; FloatMode: 240
; IeeeMode: 1
; LDSByteSize: 0 bytes/workgroup (compile time only)
; SGPRBlocks: 2
; VGPRBlocks: 2
; NumSGPRsForWavesPerEU: 22
; NumVGPRsForWavesPerEU: 17
; Occupancy: 16
; WaveLimiterHint : 0
; COMPUTE_PGM_RSRC2:SCRATCH_EN: 0
; COMPUTE_PGM_RSRC2:USER_SGPR: 15
; COMPUTE_PGM_RSRC2:TRAP_HANDLER: 0
; COMPUTE_PGM_RSRC2:TGID_X_EN: 1
; COMPUTE_PGM_RSRC2:TGID_Y_EN: 0
; COMPUTE_PGM_RSRC2:TGID_Z_EN: 0
; COMPUTE_PGM_RSRC2:TIDIG_COMP_CNT: 1
	.section	.text._ZL28rocblas_dot_batched_4_kernelIlLi64ELi4ELb0EDF16_fPKDF16_EviT5_lT_lS2_lS3_liPT4_,"axG",@progbits,_ZL28rocblas_dot_batched_4_kernelIlLi64ELi4ELb0EDF16_fPKDF16_EviT5_lT_lS2_lS3_liPT4_,comdat
	.globl	_ZL28rocblas_dot_batched_4_kernelIlLi64ELi4ELb0EDF16_fPKDF16_EviT5_lT_lS2_lS3_liPT4_ ; -- Begin function _ZL28rocblas_dot_batched_4_kernelIlLi64ELi4ELb0EDF16_fPKDF16_EviT5_lT_lS2_lS3_liPT4_
	.p2align	8
	.type	_ZL28rocblas_dot_batched_4_kernelIlLi64ELi4ELb0EDF16_fPKDF16_EviT5_lT_lS2_lS3_liPT4_,@function
_ZL28rocblas_dot_batched_4_kernelIlLi64ELi4ELb0EDF16_fPKDF16_EviT5_lT_lS2_lS3_liPT4_: ; @_ZL28rocblas_dot_batched_4_kernelIlLi64ELi4ELb0EDF16_fPKDF16_EviT5_lT_lS2_lS3_liPT4_
; %bb.0:
	s_load_b32 s2, s[0:1], 0x48
	v_bfe_u32 v1, v0, 10, 10
	s_delay_alu instid0(VALU_DEP_1) | instskip(SKIP_1) | instid1(VALU_DEP_1)
	v_lshl_add_u32 v1, s15, 2, v1
	s_waitcnt lgkmcnt(0)
	v_cmp_gt_u32_e32 vcc_lo, s2, v1
	s_and_saveexec_b32 s2, vcc_lo
	s_cbranch_execz .LBB344_7
; %bb.1:
	s_clause 0x1
	s_load_b32 s16, s[0:1], 0x0
	s_load_b64 s[2:3], s[0:1], 0x50
	v_mov_b32_e32 v2, 0
	v_and_b32_e32 v0, 0x3ff, v0
	s_mov_b32 s17, exec_lo
	s_delay_alu instid0(VALU_DEP_2) | instskip(SKIP_1) | instid1(VALU_DEP_2)
	v_mov_b32_e32 v7, v2
	s_waitcnt lgkmcnt(0)
	v_cmpx_gt_i32_e64 s16, v0
	s_cbranch_execz .LBB344_5
; %bb.2:
	s_clause 0x3
	s_load_b128 s[12:15], s[0:1], 0x10
	s_load_b256 s[4:11], s[0:1], 0x20
	s_load_b64 s[18:19], s[0:1], 0x40
	s_load_b64 s[0:1], s[0:1], 0x8
	s_waitcnt lgkmcnt(0)
	v_mad_u64_u32 v[3:4], null, s14, v0, 0
	v_mad_u64_u32 v[5:6], null, s4, v1, 0
	;; [unrolled: 1-line block ×4, first 2 shown]
	s_lshl_b64 s[12:13], s[12:13], 1
	s_delay_alu instid0(VALU_DEP_3) | instskip(SKIP_4) | instid1(VALU_DEP_2)
	v_mad_u64_u32 v[12:13], null, s15, v0, v[4:5]
	v_mov_b32_e32 v7, 0
	s_add_u32 s12, s0, s12
	s_addc_u32 s13, s1, s13
	s_lshl_b64 s[0:1], s[8:9], 1
	v_mov_b32_e32 v4, v12
	v_mad_u64_u32 v[13:14], null, s5, v1, v[6:7]
	v_mad_u64_u32 v[14:15], null, s11, v0, v[9:10]
	;; [unrolled: 1-line block ×3, first 2 shown]
	s_delay_alu instid0(VALU_DEP_4) | instskip(SKIP_1) | instid1(VALU_DEP_4)
	v_lshlrev_b64 v[3:4], 1, v[3:4]
	s_lshl_b64 s[4:5], s[14:15], 7
	v_mov_b32_e32 v6, v13
	s_add_u32 s0, s6, s0
	s_delay_alu instid0(VALU_DEP_4) | instskip(SKIP_1) | instid1(VALU_DEP_4)
	v_mov_b32_e32 v9, v14
	s_addc_u32 s1, s7, s1
	v_mov_b32_e32 v11, v15
	v_lshlrev_b64 v[5:6], 1, v[5:6]
	s_lshl_b64 s[6:7], s[10:11], 7
	v_lshlrev_b64 v[8:9], 1, v[8:9]
	s_delay_alu instid0(VALU_DEP_3) | instskip(NEXT) | instid1(VALU_DEP_3)
	v_lshlrev_b64 v[10:11], 1, v[10:11]
	v_add_co_u32 v3, vcc_lo, v3, v5
	s_delay_alu instid0(VALU_DEP_4) | instskip(NEXT) | instid1(VALU_DEP_3)
	v_add_co_ci_u32_e32 v4, vcc_lo, v4, v6, vcc_lo
	v_add_co_u32 v5, vcc_lo, v8, v10
	v_mov_b32_e32 v8, v0
	v_add_co_ci_u32_e32 v6, vcc_lo, v9, v11, vcc_lo
	v_add_co_u32 v3, vcc_lo, s12, v3
	v_add_co_ci_u32_e32 v4, vcc_lo, s13, v4, vcc_lo
	v_add_co_u32 v5, vcc_lo, s0, v5
	s_delay_alu instid0(VALU_DEP_4)
	v_add_co_ci_u32_e32 v6, vcc_lo, s1, v6, vcc_lo
	s_mov_b32 s1, 0
	.p2align	6
.LBB344_3:                              ; =>This Inner Loop Header: Depth=1
	global_load_u16 v9, v[3:4], off
	global_load_u16 v10, v[5:6], off
	v_add_nc_u32_e32 v8, 64, v8
	v_add_co_u32 v3, vcc_lo, v3, s4
	v_add_co_ci_u32_e32 v4, vcc_lo, s5, v4, vcc_lo
	v_add_co_u32 v5, vcc_lo, v5, s6
	s_delay_alu instid0(VALU_DEP_4) | instskip(SKIP_1) | instid1(VALU_DEP_2)
	v_cmp_le_i32_e64 s0, s16, v8
	v_add_co_ci_u32_e32 v6, vcc_lo, s7, v6, vcc_lo
	s_or_b32 s1, s0, s1
	s_waitcnt vmcnt(0)
	v_fmac_f16_e32 v7, v9, v10
	s_and_not1_b32 exec_lo, exec_lo, s1
	s_cbranch_execnz .LBB344_3
; %bb.4:
	s_or_b32 exec_lo, exec_lo, s1
.LBB344_5:
	s_delay_alu instid0(SALU_CYCLE_1)
	s_or_b32 exec_lo, exec_lo, s17
	v_mbcnt_lo_u32_b32 v4, -1, 0
	v_and_b32_e32 v3, 0xffff, v7
	s_barrier
	buffer_gl0_inv
	v_lshlrev_b32_e32 v5, 2, v4
	v_cmp_gt_u32_e32 vcc_lo, 16, v4
	ds_bpermute_b32 v3, v5, v3
	v_cndmask_b32_e64 v5, 0, 1, vcc_lo
	v_cmp_gt_u32_e32 vcc_lo, 24, v4
	s_delay_alu instid0(VALU_DEP_2) | instskip(NEXT) | instid1(VALU_DEP_1)
	v_lshlrev_b32_e32 v5, 4, v5
	v_add_lshl_u32 v5, v5, v4, 2
	s_waitcnt lgkmcnt(0)
	v_add_f16_e32 v6, v7, v3
	s_delay_alu instid0(VALU_DEP_1) | instskip(NEXT) | instid1(VALU_DEP_1)
	v_and_b32_e32 v7, 0xffff, v6
	v_and_or_b32 v3, 0xffff0000, v3, v7
	ds_bpermute_b32 v3, v5, v3
	v_cndmask_b32_e64 v5, 0, 1, vcc_lo
	v_cmp_gt_u32_e32 vcc_lo, 28, v4
	s_delay_alu instid0(VALU_DEP_2) | instskip(NEXT) | instid1(VALU_DEP_1)
	v_lshlrev_b32_e32 v5, 3, v5
	v_add_lshl_u32 v5, v5, v4, 2
	s_waitcnt lgkmcnt(0)
	v_add_f16_e32 v6, v6, v3
	s_delay_alu instid0(VALU_DEP_1) | instskip(NEXT) | instid1(VALU_DEP_1)
	v_and_b32_e32 v7, 0xffff, v6
	v_and_or_b32 v3, 0xffff0000, v3, v7
	;; [unrolled: 11-line block ×3, first 2 shown]
	ds_bpermute_b32 v3, v5, v3
	v_cndmask_b32_e64 v5, 0, 1, vcc_lo
	v_cmp_ne_u32_e32 vcc_lo, 31, v4
	s_delay_alu instid0(VALU_DEP_2) | instskip(NEXT) | instid1(VALU_DEP_1)
	v_lshlrev_b32_e32 v5, 1, v5
	v_add_lshl_u32 v5, v5, v4, 2
	v_add_co_ci_u32_e32 v4, vcc_lo, 0, v4, vcc_lo
	v_cmp_eq_u32_e32 vcc_lo, 0, v0
	s_delay_alu instid0(VALU_DEP_2) | instskip(SKIP_2) | instid1(VALU_DEP_1)
	v_lshlrev_b32_e32 v4, 2, v4
	s_waitcnt lgkmcnt(0)
	v_add_f16_e32 v6, v6, v3
	v_and_b32_e32 v7, 0xffff, v6
	s_delay_alu instid0(VALU_DEP_1) | instskip(SKIP_3) | instid1(VALU_DEP_1)
	v_and_or_b32 v3, 0xffff0000, v3, v7
	ds_bpermute_b32 v5, v5, v3
	s_waitcnt lgkmcnt(0)
	v_add_f16_e32 v3, v6, v5
	v_and_b32_e32 v6, 0xffff, v3
	s_delay_alu instid0(VALU_DEP_1)
	v_and_or_b32 v5, 0xffff0000, v5, v6
	ds_bpermute_b32 v4, v4, v5
	s_and_b32 exec_lo, exec_lo, vcc_lo
	s_cbranch_execz .LBB344_7
; %bb.6:
	v_lshlrev_b64 v[0:1], 2, v[1:2]
	s_waitcnt lgkmcnt(0)
	v_add_f16_e32 v2, v3, v4
	s_delay_alu instid0(VALU_DEP_1) | instskip(NEXT) | instid1(VALU_DEP_3)
	v_cvt_f32_f16_e32 v2, v2
	v_add_co_u32 v0, vcc_lo, s2, v0
	s_delay_alu instid0(VALU_DEP_4)
	v_add_co_ci_u32_e32 v1, vcc_lo, s3, v1, vcc_lo
	global_store_b32 v[0:1], v2, off
.LBB344_7:
	s_nop 0
	s_sendmsg sendmsg(MSG_DEALLOC_VGPRS)
	s_endpgm
	.section	.rodata,"a",@progbits
	.p2align	6, 0x0
	.amdhsa_kernel _ZL28rocblas_dot_batched_4_kernelIlLi64ELi4ELb0EDF16_fPKDF16_EviT5_lT_lS2_lS3_liPT4_
		.amdhsa_group_segment_fixed_size 0
		.amdhsa_private_segment_fixed_size 0
		.amdhsa_kernarg_size 88
		.amdhsa_user_sgpr_count 15
		.amdhsa_user_sgpr_dispatch_ptr 0
		.amdhsa_user_sgpr_queue_ptr 0
		.amdhsa_user_sgpr_kernarg_segment_ptr 1
		.amdhsa_user_sgpr_dispatch_id 0
		.amdhsa_user_sgpr_private_segment_size 0
		.amdhsa_wavefront_size32 1
		.amdhsa_uses_dynamic_stack 0
		.amdhsa_enable_private_segment 0
		.amdhsa_system_sgpr_workgroup_id_x 1
		.amdhsa_system_sgpr_workgroup_id_y 0
		.amdhsa_system_sgpr_workgroup_id_z 0
		.amdhsa_system_sgpr_workgroup_info 0
		.amdhsa_system_vgpr_workitem_id 1
		.amdhsa_next_free_vgpr 17
		.amdhsa_next_free_sgpr 20
		.amdhsa_reserve_vcc 1
		.amdhsa_float_round_mode_32 0
		.amdhsa_float_round_mode_16_64 0
		.amdhsa_float_denorm_mode_32 3
		.amdhsa_float_denorm_mode_16_64 3
		.amdhsa_dx10_clamp 1
		.amdhsa_ieee_mode 1
		.amdhsa_fp16_overflow 0
		.amdhsa_workgroup_processor_mode 1
		.amdhsa_memory_ordered 1
		.amdhsa_forward_progress 0
		.amdhsa_shared_vgpr_count 0
		.amdhsa_exception_fp_ieee_invalid_op 0
		.amdhsa_exception_fp_denorm_src 0
		.amdhsa_exception_fp_ieee_div_zero 0
		.amdhsa_exception_fp_ieee_overflow 0
		.amdhsa_exception_fp_ieee_underflow 0
		.amdhsa_exception_fp_ieee_inexact 0
		.amdhsa_exception_int_div_zero 0
	.end_amdhsa_kernel
	.section	.text._ZL28rocblas_dot_batched_4_kernelIlLi64ELi4ELb0EDF16_fPKDF16_EviT5_lT_lS2_lS3_liPT4_,"axG",@progbits,_ZL28rocblas_dot_batched_4_kernelIlLi64ELi4ELb0EDF16_fPKDF16_EviT5_lT_lS2_lS3_liPT4_,comdat
.Lfunc_end344:
	.size	_ZL28rocblas_dot_batched_4_kernelIlLi64ELi4ELb0EDF16_fPKDF16_EviT5_lT_lS2_lS3_liPT4_, .Lfunc_end344-_ZL28rocblas_dot_batched_4_kernelIlLi64ELi4ELb0EDF16_fPKDF16_EviT5_lT_lS2_lS3_liPT4_
                                        ; -- End function
	.section	.AMDGPU.csdata,"",@progbits
; Kernel info:
; codeLenInByte = 900
; NumSgprs: 22
; NumVgprs: 17
; ScratchSize: 0
; MemoryBound: 0
; FloatMode: 240
; IeeeMode: 1
; LDSByteSize: 0 bytes/workgroup (compile time only)
; SGPRBlocks: 2
; VGPRBlocks: 2
; NumSGPRsForWavesPerEU: 22
; NumVGPRsForWavesPerEU: 17
; Occupancy: 16
; WaveLimiterHint : 0
; COMPUTE_PGM_RSRC2:SCRATCH_EN: 0
; COMPUTE_PGM_RSRC2:USER_SGPR: 15
; COMPUTE_PGM_RSRC2:TRAP_HANDLER: 0
; COMPUTE_PGM_RSRC2:TGID_X_EN: 1
; COMPUTE_PGM_RSRC2:TGID_Y_EN: 0
; COMPUTE_PGM_RSRC2:TGID_Z_EN: 0
; COMPUTE_PGM_RSRC2:TIDIG_COMP_CNT: 1
	.section	.text._ZL26rocblas_dot_kernel_inc1by2ILb1ELi1024ELi32ELb0EfPKDF16_DF16_EviT4_llS2_lliPT5_PT3_,"axG",@progbits,_ZL26rocblas_dot_kernel_inc1by2ILb1ELi1024ELi32ELb0EfPKDF16_DF16_EviT4_llS2_lliPT5_PT3_,comdat
	.globl	_ZL26rocblas_dot_kernel_inc1by2ILb1ELi1024ELi32ELb0EfPKDF16_DF16_EviT4_llS2_lliPT5_PT3_ ; -- Begin function _ZL26rocblas_dot_kernel_inc1by2ILb1ELi1024ELi32ELb0EfPKDF16_DF16_EviT4_llS2_lliPT5_PT3_
	.p2align	8
	.type	_ZL26rocblas_dot_kernel_inc1by2ILb1ELi1024ELi32ELb0EfPKDF16_DF16_EviT4_llS2_lliPT5_PT3_,@function
_ZL26rocblas_dot_kernel_inc1by2ILb1ELi1024ELi32ELb0EfPKDF16_DF16_EviT4_llS2_lliPT5_PT3_: ; @_ZL26rocblas_dot_kernel_inc1by2ILb1ELi1024ELi32ELb0EfPKDF16_DF16_EviT4_llS2_lliPT5_PT3_
; %bb.0:
	s_mov_b32 s2, s15
	s_clause 0x5
	s_load_b128 s[8:11], s[0:1], 0x10
	s_load_b128 s[4:7], s[0:1], 0x28
	s_load_b32 s17, s[0:1], 0x0
	s_load_b64 s[12:13], s[0:1], 0x48
	s_load_b64 s[14:15], s[0:1], 0x8
	;; [unrolled: 1-line block ×3, first 2 shown]
	v_dual_mov_b32 v5, 0 :: v_dual_lshlrev_b32 v6, 1, v0
	s_mov_b32 s3, 0
	s_waitcnt lgkmcnt(0)
	s_mul_i32 s11, s2, s11
	s_mul_hi_u32 s18, s2, s10
	s_mul_i32 s7, s2, s7
	s_mul_hi_u32 s19, s2, s6
	s_add_i32 s16, s17, -1
	s_add_i32 s11, s18, s11
	s_mul_i32 s10, s2, s10
	s_add_i32 s7, s19, s7
	s_mul_i32 s6, s2, s6
	s_mov_b32 s18, exec_lo
	v_cmpx_gt_i32_e64 s16, v6
	s_cbranch_execz .LBB345_4
; %bb.1:
	s_lshl_b64 s[22:23], s[4:5], 1
	s_lshl_b64 s[20:21], s[6:7], 1
	v_lshlrev_b32_e32 v3, 2, v0
	s_add_u32 s19, s0, s22
	s_addc_u32 s22, s1, s23
	s_add_u32 s19, s19, s20
	s_addc_u32 s20, s22, s21
	v_add_co_u32 v1, s19, s19, v3
	s_delay_alu instid0(VALU_DEP_1)
	v_add_co_ci_u32_e64 v2, null, s20, 0, s19
	s_lshl_b64 s[20:21], s[8:9], 1
	s_lshl_b64 s[22:23], s[10:11], 1
	s_add_u32 s19, s14, s20
	s_addc_u32 s20, s15, s21
	s_add_u32 s19, s19, s22
	s_addc_u32 s20, s20, s23
	v_add_co_u32 v3, s19, s19, v3
	v_mov_b32_e32 v5, 0
	v_add_co_ci_u32_e64 v4, null, s20, 0, s19
	s_mov_b32 s19, s3
	s_mov_b32 s20, s3
	.p2align	6
.LBB345_2:                              ; =>This Inner Loop Header: Depth=1
	global_load_b32 v7, v[1:2], off
	global_load_b32 v8, v[3:4], off
	v_add_co_u32 v1, vcc_lo, 0x1000, v1
	v_add_nc_u32_e32 v6, 0x800, v6
	v_add_co_ci_u32_e32 v2, vcc_lo, 0, v2, vcc_lo
	v_add_co_u32 v3, vcc_lo, 0x1000, v3
	v_add_co_ci_u32_e32 v4, vcc_lo, 0, v4, vcc_lo
	s_add_i32 s21, s20, 1
	v_cmp_le_i32_e32 vcc_lo, s16, v6
	s_cmp_gt_u32 s20, 30
	s_cselect_b32 s20, -1, 0
	s_delay_alu instid0(SALU_CYCLE_1) | instskip(NEXT) | instid1(SALU_CYCLE_1)
	s_or_b32 s20, s20, vcc_lo
	s_and_b32 s20, exec_lo, s20
	s_delay_alu instid0(SALU_CYCLE_1) | instskip(SKIP_3) | instid1(VALU_DEP_1)
	s_or_b32 s19, s20, s19
	s_mov_b32 s20, s21
	s_waitcnt vmcnt(0)
	v_pk_mul_f16 v7, v7, v8
	v_add_f16_e32 v5, v5, v7
	v_lshrrev_b32_e32 v7, 16, v7
	s_delay_alu instid0(VALU_DEP_1)
	v_add_f16_e32 v5, v5, v7
	s_and_not1_b32 exec_lo, exec_lo, s19
	s_cbranch_execnz .LBB345_2
; %bb.3:
	s_or_b32 exec_lo, exec_lo, s19
.LBB345_4:
	s_delay_alu instid0(SALU_CYCLE_1) | instskip(SKIP_3) | instid1(SALU_CYCLE_1)
	s_or_b32 exec_lo, exec_lo, s18
	v_cmp_eq_u32_e32 vcc_lo, s16, v6
	s_bitcmp1_b32 s17, 0
	s_cselect_b32 s17, -1, 0
	s_and_b32 s17, s17, vcc_lo
	s_delay_alu instid0(SALU_CYCLE_1)
	s_and_saveexec_b32 s18, s17
	s_cbranch_execz .LBB345_6
; %bb.5:
	s_lshl_b64 s[10:11], s[10:11], 1
	s_mov_b32 s17, 0
	s_add_u32 s10, s14, s10
	s_addc_u32 s11, s15, s11
	s_lshl_b64 s[8:9], s[8:9], 1
	v_mov_b32_e32 v1, 0
	s_add_u32 s8, s10, s8
	s_addc_u32 s9, s11, s9
	s_lshl_b64 s[6:7], s[6:7], 1
	s_delay_alu instid0(SALU_CYCLE_1) | instskip(SKIP_2) | instid1(SALU_CYCLE_1)
	s_add_u32 s6, s0, s6
	s_addc_u32 s7, s1, s7
	s_lshl_b64 s[0:1], s[4:5], 1
	s_add_u32 s6, s6, s0
	s_addc_u32 s7, s7, s1
	s_lshl_b64 s[0:1], s[16:17], 1
	s_delay_alu instid0(SALU_CYCLE_1)
	s_add_u32 s4, s8, s0
	s_addc_u32 s5, s9, s1
	s_add_u32 s0, s6, s0
	s_addc_u32 s1, s7, s1
	s_clause 0x1
	global_load_u16 v2, v1, s[0:1]
	global_load_u16 v1, v1, s[4:5]
	s_waitcnt vmcnt(0)
	v_fmac_f16_e32 v5, v2, v1
.LBB345_6:
	s_or_b32 exec_lo, exec_lo, s18
	v_and_b32_e32 v6, 31, v0
	v_cmp_gt_u32_e32 vcc_lo, 32, v0
	s_delay_alu instid0(VALU_DEP_2)
	v_lshlrev_b32_e32 v1, 1, v6
	s_and_saveexec_b32 s0, vcc_lo
	s_cbranch_execz .LBB345_8
; %bb.7:
	v_mov_b32_e32 v2, 0
	ds_store_b16 v1, v2
.LBB345_8:
	s_or_b32 exec_lo, exec_lo, s0
	v_mbcnt_lo_u32_b32 v7, -1, 0
	v_and_b32_e32 v3, 0xffff, v5
	s_mov_b32 s1, exec_lo
	s_waitcnt lgkmcnt(0)
	s_barrier
	v_cmp_gt_u32_e64 s0, 16, v7
	buffer_gl0_inv
	v_cndmask_b32_e64 v2, 0, 1, s0
	v_cmp_gt_u32_e64 s0, 24, v7
	s_delay_alu instid0(VALU_DEP_2) | instskip(NEXT) | instid1(VALU_DEP_1)
	v_lshlrev_b32_e32 v2, 4, v2
	v_add_lshl_u32 v2, v2, v7, 2
	ds_bpermute_b32 v4, v2, v3
	v_cndmask_b32_e64 v3, 0, 1, s0
	v_cmp_gt_u32_e64 s0, 28, v7
	s_delay_alu instid0(VALU_DEP_2) | instskip(NEXT) | instid1(VALU_DEP_1)
	v_lshlrev_b32_e32 v3, 3, v3
	v_add_lshl_u32 v3, v3, v7, 2
	s_waitcnt lgkmcnt(0)
	v_add_f16_e32 v5, v5, v4
	s_delay_alu instid0(VALU_DEP_1) | instskip(NEXT) | instid1(VALU_DEP_1)
	v_and_b32_e32 v8, 0xffff, v5
	v_and_or_b32 v4, 0xffff0000, v4, v8
	ds_bpermute_b32 v8, v3, v4
	v_cndmask_b32_e64 v4, 0, 1, s0
	v_cmp_gt_u32_e64 s0, 30, v7
	s_delay_alu instid0(VALU_DEP_2) | instskip(NEXT) | instid1(VALU_DEP_1)
	v_lshlrev_b32_e32 v4, 2, v4
	v_add_lshl_u32 v4, v4, v7, 2
	s_waitcnt lgkmcnt(0)
	v_add_f16_e32 v5, v5, v8
	s_delay_alu instid0(VALU_DEP_1) | instskip(NEXT) | instid1(VALU_DEP_1)
	v_and_b32_e32 v9, 0xffff, v5
	v_and_or_b32 v8, 0xffff0000, v8, v9
	v_cndmask_b32_e64 v9, 0, 1, s0
	v_cmp_ne_u32_e64 s0, 31, v7
	ds_bpermute_b32 v8, v4, v8
	s_waitcnt lgkmcnt(0)
	v_add_f16_e32 v10, v5, v8
	v_lshlrev_b32_e32 v5, 1, v9
	s_delay_alu instid0(VALU_DEP_2) | instskip(NEXT) | instid1(VALU_DEP_2)
	v_and_b32_e32 v9, 0xffff, v10
	v_add_lshl_u32 v5, v5, v7, 2
	v_add_co_ci_u32_e64 v7, s0, 0, v7, s0
	s_delay_alu instid0(VALU_DEP_3) | instskip(NEXT) | instid1(VALU_DEP_2)
	v_and_or_b32 v8, 0xffff0000, v8, v9
	v_lshlrev_b32_e32 v7, 2, v7
	ds_bpermute_b32 v9, v5, v8
	s_waitcnt lgkmcnt(0)
	v_add_f16_e32 v8, v10, v9
	s_delay_alu instid0(VALU_DEP_1) | instskip(NEXT) | instid1(VALU_DEP_1)
	v_and_b32_e32 v10, 0xffff, v8
	v_and_or_b32 v9, 0xffff0000, v9, v10
	ds_bpermute_b32 v9, v7, v9
	v_cmpx_eq_u32_e32 0, v6
	s_cbranch_execz .LBB345_10
; %bb.9:
	v_lshrrev_b32_e32 v6, 4, v0
	s_waitcnt lgkmcnt(0)
	v_add_f16_e32 v8, v8, v9
	s_delay_alu instid0(VALU_DEP_2)
	v_and_b32_e32 v6, 62, v6
	ds_store_b16 v6, v8
.LBB345_10:
	s_or_b32 exec_lo, exec_lo, s1
	v_mov_b32_e32 v6, 0
	s_waitcnt lgkmcnt(0)
	s_barrier
	buffer_gl0_inv
	s_and_saveexec_b32 s0, vcc_lo
	s_cbranch_execz .LBB345_12
; %bb.11:
	ds_load_u16 v6, v1
.LBB345_12:
	s_or_b32 exec_lo, exec_lo, s0
	s_and_saveexec_b32 s0, vcc_lo
	s_cbranch_execz .LBB345_14
; %bb.13:
	s_waitcnt lgkmcnt(0)
	v_and_b32_e32 v1, 0xffff, v6
	ds_bpermute_b32 v1, v2, v1
	s_waitcnt lgkmcnt(0)
	v_add_f16_e32 v2, v6, v1
	s_delay_alu instid0(VALU_DEP_1) | instskip(NEXT) | instid1(VALU_DEP_1)
	v_and_b32_e32 v6, 0xffff, v2
	v_and_or_b32 v1, 0xffff0000, v1, v6
	ds_bpermute_b32 v1, v3, v1
	s_waitcnt lgkmcnt(0)
	v_add_f16_e32 v2, v2, v1
	s_delay_alu instid0(VALU_DEP_1) | instskip(NEXT) | instid1(VALU_DEP_1)
	v_and_b32_e32 v3, 0xffff, v2
	v_and_or_b32 v1, 0xffff0000, v1, v3
	;; [unrolled: 6-line block ×4, first 2 shown]
	ds_bpermute_b32 v1, v7, v1
	s_waitcnt lgkmcnt(0)
	v_add_f16_e32 v6, v2, v1
.LBB345_14:
	s_or_b32 exec_lo, exec_lo, s0
	s_delay_alu instid0(SALU_CYCLE_1)
	s_mov_b32 s0, exec_lo
	v_cmpx_eq_u32_e32 0, v0
	s_cbranch_execz .LBB345_16
; %bb.15:
	s_waitcnt lgkmcnt(0)
	v_cvt_f32_f16_e32 v0, v6
	s_lshl_b64 s[0:1], s[2:3], 2
	v_mov_b32_e32 v1, 0
	s_add_u32 s0, s12, s0
	s_addc_u32 s1, s13, s1
	global_store_b32 v1, v0, s[0:1]
.LBB345_16:
	s_nop 0
	s_sendmsg sendmsg(MSG_DEALLOC_VGPRS)
	s_endpgm
	.section	.rodata,"a",@progbits
	.p2align	6, 0x0
	.amdhsa_kernel _ZL26rocblas_dot_kernel_inc1by2ILb1ELi1024ELi32ELb0EfPKDF16_DF16_EviT4_llS2_lliPT5_PT3_
		.amdhsa_group_segment_fixed_size 64
		.amdhsa_private_segment_fixed_size 0
		.amdhsa_kernarg_size 80
		.amdhsa_user_sgpr_count 14
		.amdhsa_user_sgpr_dispatch_ptr 0
		.amdhsa_user_sgpr_queue_ptr 0
		.amdhsa_user_sgpr_kernarg_segment_ptr 1
		.amdhsa_user_sgpr_dispatch_id 0
		.amdhsa_user_sgpr_private_segment_size 0
		.amdhsa_wavefront_size32 1
		.amdhsa_uses_dynamic_stack 0
		.amdhsa_enable_private_segment 0
		.amdhsa_system_sgpr_workgroup_id_x 1
		.amdhsa_system_sgpr_workgroup_id_y 0
		.amdhsa_system_sgpr_workgroup_id_z 1
		.amdhsa_system_sgpr_workgroup_info 0
		.amdhsa_system_vgpr_workitem_id 0
		.amdhsa_next_free_vgpr 11
		.amdhsa_next_free_sgpr 24
		.amdhsa_reserve_vcc 1
		.amdhsa_float_round_mode_32 0
		.amdhsa_float_round_mode_16_64 0
		.amdhsa_float_denorm_mode_32 3
		.amdhsa_float_denorm_mode_16_64 3
		.amdhsa_dx10_clamp 1
		.amdhsa_ieee_mode 1
		.amdhsa_fp16_overflow 0
		.amdhsa_workgroup_processor_mode 1
		.amdhsa_memory_ordered 1
		.amdhsa_forward_progress 0
		.amdhsa_shared_vgpr_count 0
		.amdhsa_exception_fp_ieee_invalid_op 0
		.amdhsa_exception_fp_denorm_src 0
		.amdhsa_exception_fp_ieee_div_zero 0
		.amdhsa_exception_fp_ieee_overflow 0
		.amdhsa_exception_fp_ieee_underflow 0
		.amdhsa_exception_fp_ieee_inexact 0
		.amdhsa_exception_int_div_zero 0
	.end_amdhsa_kernel
	.section	.text._ZL26rocblas_dot_kernel_inc1by2ILb1ELi1024ELi32ELb0EfPKDF16_DF16_EviT4_llS2_lliPT5_PT3_,"axG",@progbits,_ZL26rocblas_dot_kernel_inc1by2ILb1ELi1024ELi32ELb0EfPKDF16_DF16_EviT4_llS2_lliPT5_PT3_,comdat
.Lfunc_end345:
	.size	_ZL26rocblas_dot_kernel_inc1by2ILb1ELi1024ELi32ELb0EfPKDF16_DF16_EviT4_llS2_lliPT5_PT3_, .Lfunc_end345-_ZL26rocblas_dot_kernel_inc1by2ILb1ELi1024ELi32ELb0EfPKDF16_DF16_EviT4_llS2_lliPT5_PT3_
                                        ; -- End function
	.section	.AMDGPU.csdata,"",@progbits
; Kernel info:
; codeLenInByte = 1244
; NumSgprs: 26
; NumVgprs: 11
; ScratchSize: 0
; MemoryBound: 0
; FloatMode: 240
; IeeeMode: 1
; LDSByteSize: 64 bytes/workgroup (compile time only)
; SGPRBlocks: 3
; VGPRBlocks: 1
; NumSGPRsForWavesPerEU: 26
; NumVGPRsForWavesPerEU: 11
; Occupancy: 16
; WaveLimiterHint : 0
; COMPUTE_PGM_RSRC2:SCRATCH_EN: 0
; COMPUTE_PGM_RSRC2:USER_SGPR: 14
; COMPUTE_PGM_RSRC2:TRAP_HANDLER: 0
; COMPUTE_PGM_RSRC2:TGID_X_EN: 1
; COMPUTE_PGM_RSRC2:TGID_Y_EN: 0
; COMPUTE_PGM_RSRC2:TGID_Z_EN: 1
; COMPUTE_PGM_RSRC2:TIDIG_COMP_CNT: 0
	.section	.text._ZL18rocblas_dot_kernelIlLb1ELi1024ELi32ELb0EfPKDF16_DF16_EviT5_lT_lS2_lS3_liPT6_PT4_,"axG",@progbits,_ZL18rocblas_dot_kernelIlLb1ELi1024ELi32ELb0EfPKDF16_DF16_EviT5_lT_lS2_lS3_liPT6_PT4_,comdat
	.globl	_ZL18rocblas_dot_kernelIlLb1ELi1024ELi32ELb0EfPKDF16_DF16_EviT5_lT_lS2_lS3_liPT6_PT4_ ; -- Begin function _ZL18rocblas_dot_kernelIlLb1ELi1024ELi32ELb0EfPKDF16_DF16_EviT5_lT_lS2_lS3_liPT6_PT4_
	.p2align	8
	.type	_ZL18rocblas_dot_kernelIlLb1ELi1024ELi32ELb0EfPKDF16_DF16_EviT5_lT_lS2_lS3_liPT6_PT4_,@function
_ZL18rocblas_dot_kernelIlLb1ELi1024ELi32ELb0EfPKDF16_DF16_EviT5_lT_lS2_lS3_liPT6_PT4_: ; @_ZL18rocblas_dot_kernelIlLb1ELi1024ELi32ELb0EfPKDF16_DF16_EviT5_lT_lS2_lS3_liPT6_PT4_
; %bb.0:
	s_clause 0x1
	s_load_b32 s18, s[0:1], 0x0
	s_load_b64 s[2:3], s[0:1], 0x58
	v_mov_b32_e32 v6, 0
	s_mov_b32 s16, s15
	s_mov_b32 s17, 0
	s_mov_b32 s19, exec_lo
	s_waitcnt lgkmcnt(0)
	v_cmpx_gt_i32_e64 s18, v0
	s_cbranch_execz .LBB346_4
; %bb.1:
	s_clause 0x4
	s_load_b32 s24, s[0:1], 0x60
	s_load_b256 s[4:11], s[0:1], 0x20
	s_load_b128 s[12:15], s[0:1], 0x10
	s_load_b64 s[20:21], s[0:1], 0x40
	s_load_b64 s[22:23], s[0:1], 0x8
	s_waitcnt lgkmcnt(0)
	s_lshl_b32 s1, s24, 10
	v_mad_u64_u32 v[3:4], null, s10, v0, 0
	v_mad_u64_u32 v[1:2], null, s14, v0, 0
	v_or_b32_e32 v5, s1, v0
	s_mul_i32 s0, s5, s16
	s_mul_hi_u32 s5, s4, s16
	s_mul_i32 s4, s4, s16
	s_add_i32 s5, s5, s0
	s_lshl_b64 s[12:13], s[12:13], 1
	s_delay_alu instid0(VALU_DEP_2)
	v_mad_u64_u32 v[6:7], null, s15, v0, v[2:3]
	v_mad_u64_u32 v[7:8], null, s11, v0, v[4:5]
	s_lshl_b64 s[4:5], s[4:5], 1
	s_add_u32 s12, s22, s12
	s_addc_u32 s13, s23, s13
	s_add_u32 s22, s12, s4
	s_delay_alu instid0(VALU_DEP_2)
	v_mov_b32_e32 v2, v6
	s_addc_u32 s23, s13, s5
	s_ashr_i32 s4, s1, 31
	s_mul_hi_u32 s0, s14, s1
	s_mul_i32 s5, s14, s4
	v_mov_b32_e32 v4, v7
	s_mul_i32 s21, s21, s16
	s_mul_hi_u32 s25, s20, s16
	s_mul_i32 s26, s15, s1
	s_add_i32 s0, s0, s5
	v_lshlrev_b64 v[1:2], 1, v[1:2]
	s_mul_i32 s20, s20, s16
	s_mul_i32 s24, s14, s1
	s_add_i32 s21, s25, s21
	s_add_i32 s25, s0, s26
	s_lshl_b64 s[8:9], s[8:9], 1
	v_lshlrev_b64 v[3:4], 1, v[3:4]
	s_lshl_b64 s[12:13], s[20:21], 1
	s_mul_i32 s0, s10, s4
	s_lshl_b64 s[4:5], s[24:25], 1
	s_add_u32 s6, s6, s8
	s_addc_u32 s7, s7, s9
	v_add_co_u32 v1, vcc_lo, s22, v1
	s_add_u32 s6, s6, s12
	v_add_co_ci_u32_e32 v2, vcc_lo, s23, v2, vcc_lo
	s_mul_hi_u32 s8, s10, s1
	s_addc_u32 s7, s7, s13
	v_add_co_u32 v3, vcc_lo, s6, v3
	s_add_i32 s0, s8, s0
	s_mul_i32 s8, s11, s1
	v_add_co_ci_u32_e32 v4, vcc_lo, s7, v4, vcc_lo
	v_mov_b32_e32 v6, 0
	s_add_i32 s7, s0, s8
	s_mul_i32 s6, s10, s1
	s_mov_b32 s8, s17
	s_lshl_b64 s[6:7], s[6:7], 1
	s_mov_b32 s9, s17
	.p2align	6
.LBB346_2:                              ; =>This Inner Loop Header: Depth=1
	global_load_u16 v7, v[3:4], off
	global_load_u16 v8, v[1:2], off
	v_add_co_u32 v1, s0, v1, s4
	s_delay_alu instid0(VALU_DEP_1)
	v_add_co_ci_u32_e64 v2, s0, s5, v2, s0
	s_add_i32 s10, s9, 1
	v_cmp_le_i32_e32 vcc_lo, s18, v5
	v_add_co_u32 v3, s0, v3, s6
	s_cmp_gt_u32 s9, 30
	v_add_co_ci_u32_e64 v4, s0, s7, v4, s0
	s_cselect_b32 s0, -1, 0
	v_add_nc_u32_e32 v5, s1, v5
	s_or_b32 s0, s0, vcc_lo
	s_mov_b32 s9, s10
	s_and_b32 s0, exec_lo, s0
	s_delay_alu instid0(SALU_CYCLE_1)
	s_or_b32 s8, s0, s8
	s_waitcnt vmcnt(0)
	v_fmac_f16_e32 v6, v7, v8
	s_and_not1_b32 exec_lo, exec_lo, s8
	s_cbranch_execnz .LBB346_2
; %bb.3:
	s_or_b32 exec_lo, exec_lo, s8
.LBB346_4:
	s_delay_alu instid0(SALU_CYCLE_1) | instskip(SKIP_2) | instid1(VALU_DEP_2)
	s_or_b32 exec_lo, exec_lo, s19
	v_and_b32_e32 v5, 31, v0
	v_cmp_gt_u32_e32 vcc_lo, 32, v0
	v_lshlrev_b32_e32 v1, 1, v5
	s_and_saveexec_b32 s0, vcc_lo
	s_cbranch_execz .LBB346_6
; %bb.5:
	v_mov_b32_e32 v2, 0
	ds_store_b16 v1, v2
.LBB346_6:
	s_or_b32 exec_lo, exec_lo, s0
	v_mbcnt_lo_u32_b32 v7, -1, 0
	v_and_b32_e32 v3, 0xffff, v6
	s_mov_b32 s1, exec_lo
	s_waitcnt lgkmcnt(0)
	s_barrier
	v_cmp_gt_u32_e64 s0, 16, v7
	buffer_gl0_inv
	v_cndmask_b32_e64 v2, 0, 1, s0
	v_cmp_gt_u32_e64 s0, 24, v7
	s_delay_alu instid0(VALU_DEP_2) | instskip(NEXT) | instid1(VALU_DEP_1)
	v_lshlrev_b32_e32 v2, 4, v2
	v_add_lshl_u32 v2, v2, v7, 2
	ds_bpermute_b32 v4, v2, v3
	v_cndmask_b32_e64 v3, 0, 1, s0
	v_cmp_gt_u32_e64 s0, 28, v7
	s_delay_alu instid0(VALU_DEP_2) | instskip(NEXT) | instid1(VALU_DEP_1)
	v_lshlrev_b32_e32 v3, 3, v3
	v_add_lshl_u32 v3, v3, v7, 2
	s_waitcnt lgkmcnt(0)
	v_add_f16_e32 v6, v6, v4
	s_delay_alu instid0(VALU_DEP_1) | instskip(NEXT) | instid1(VALU_DEP_1)
	v_and_b32_e32 v8, 0xffff, v6
	v_and_or_b32 v4, 0xffff0000, v4, v8
	ds_bpermute_b32 v8, v3, v4
	v_cndmask_b32_e64 v4, 0, 1, s0
	v_cmp_gt_u32_e64 s0, 30, v7
	s_delay_alu instid0(VALU_DEP_2) | instskip(NEXT) | instid1(VALU_DEP_1)
	v_lshlrev_b32_e32 v4, 2, v4
	v_add_lshl_u32 v4, v4, v7, 2
	s_waitcnt lgkmcnt(0)
	v_add_f16_e32 v6, v6, v8
	s_delay_alu instid0(VALU_DEP_1) | instskip(NEXT) | instid1(VALU_DEP_1)
	v_and_b32_e32 v9, 0xffff, v6
	v_and_or_b32 v8, 0xffff0000, v8, v9
	v_cndmask_b32_e64 v9, 0, 1, s0
	v_cmp_ne_u32_e64 s0, 31, v7
	ds_bpermute_b32 v8, v4, v8
	s_waitcnt lgkmcnt(0)
	v_add_f16_e32 v10, v6, v8
	v_lshlrev_b32_e32 v6, 1, v9
	s_delay_alu instid0(VALU_DEP_2) | instskip(NEXT) | instid1(VALU_DEP_2)
	v_and_b32_e32 v9, 0xffff, v10
	v_add_lshl_u32 v6, v6, v7, 2
	v_add_co_ci_u32_e64 v7, s0, 0, v7, s0
	s_delay_alu instid0(VALU_DEP_3) | instskip(NEXT) | instid1(VALU_DEP_2)
	v_and_or_b32 v8, 0xffff0000, v8, v9
	v_lshlrev_b32_e32 v7, 2, v7
	ds_bpermute_b32 v9, v6, v8
	s_waitcnt lgkmcnt(0)
	v_add_f16_e32 v8, v10, v9
	s_delay_alu instid0(VALU_DEP_1) | instskip(NEXT) | instid1(VALU_DEP_1)
	v_and_b32_e32 v10, 0xffff, v8
	v_and_or_b32 v9, 0xffff0000, v9, v10
	ds_bpermute_b32 v9, v7, v9
	v_cmpx_eq_u32_e32 0, v5
	s_cbranch_execz .LBB346_8
; %bb.7:
	v_lshrrev_b32_e32 v5, 4, v0
	s_waitcnt lgkmcnt(0)
	v_add_f16_e32 v8, v8, v9
	s_delay_alu instid0(VALU_DEP_2)
	v_and_b32_e32 v5, 62, v5
	ds_store_b16 v5, v8
.LBB346_8:
	s_or_b32 exec_lo, exec_lo, s1
	v_mov_b32_e32 v5, 0
	s_waitcnt lgkmcnt(0)
	s_barrier
	buffer_gl0_inv
	s_and_saveexec_b32 s0, vcc_lo
	s_cbranch_execz .LBB346_10
; %bb.9:
	ds_load_u16 v5, v1
.LBB346_10:
	s_or_b32 exec_lo, exec_lo, s0
	s_and_saveexec_b32 s0, vcc_lo
	s_cbranch_execz .LBB346_12
; %bb.11:
	s_waitcnt lgkmcnt(0)
	v_and_b32_e32 v1, 0xffff, v5
	ds_bpermute_b32 v1, v2, v1
	s_waitcnt lgkmcnt(0)
	v_add_f16_e32 v2, v5, v1
	s_delay_alu instid0(VALU_DEP_1) | instskip(NEXT) | instid1(VALU_DEP_1)
	v_and_b32_e32 v5, 0xffff, v2
	v_and_or_b32 v1, 0xffff0000, v1, v5
	ds_bpermute_b32 v1, v3, v1
	s_waitcnt lgkmcnt(0)
	v_add_f16_e32 v2, v2, v1
	s_delay_alu instid0(VALU_DEP_1) | instskip(NEXT) | instid1(VALU_DEP_1)
	v_and_b32_e32 v3, 0xffff, v2
	v_and_or_b32 v1, 0xffff0000, v1, v3
	;; [unrolled: 6-line block ×4, first 2 shown]
	ds_bpermute_b32 v1, v7, v1
	s_waitcnt lgkmcnt(0)
	v_add_f16_e32 v5, v2, v1
.LBB346_12:
	s_or_b32 exec_lo, exec_lo, s0
	s_delay_alu instid0(SALU_CYCLE_1)
	s_mov_b32 s0, exec_lo
	v_cmpx_eq_u32_e32 0, v0
	s_cbranch_execz .LBB346_14
; %bb.13:
	s_waitcnt lgkmcnt(0)
	v_cvt_f32_f16_e32 v0, v5
	s_lshl_b64 s[0:1], s[16:17], 2
	v_mov_b32_e32 v1, 0
	s_add_u32 s0, s2, s0
	s_addc_u32 s1, s3, s1
	global_store_b32 v1, v0, s[0:1]
.LBB346_14:
	s_nop 0
	s_sendmsg sendmsg(MSG_DEALLOC_VGPRS)
	s_endpgm
	.section	.rodata,"a",@progbits
	.p2align	6, 0x0
	.amdhsa_kernel _ZL18rocblas_dot_kernelIlLb1ELi1024ELi32ELb0EfPKDF16_DF16_EviT5_lT_lS2_lS3_liPT6_PT4_
		.amdhsa_group_segment_fixed_size 64
		.amdhsa_private_segment_fixed_size 0
		.amdhsa_kernarg_size 352
		.amdhsa_user_sgpr_count 14
		.amdhsa_user_sgpr_dispatch_ptr 0
		.amdhsa_user_sgpr_queue_ptr 0
		.amdhsa_user_sgpr_kernarg_segment_ptr 1
		.amdhsa_user_sgpr_dispatch_id 0
		.amdhsa_user_sgpr_private_segment_size 0
		.amdhsa_wavefront_size32 1
		.amdhsa_uses_dynamic_stack 0
		.amdhsa_enable_private_segment 0
		.amdhsa_system_sgpr_workgroup_id_x 1
		.amdhsa_system_sgpr_workgroup_id_y 0
		.amdhsa_system_sgpr_workgroup_id_z 1
		.amdhsa_system_sgpr_workgroup_info 0
		.amdhsa_system_vgpr_workitem_id 0
		.amdhsa_next_free_vgpr 11
		.amdhsa_next_free_sgpr 27
		.amdhsa_reserve_vcc 1
		.amdhsa_float_round_mode_32 0
		.amdhsa_float_round_mode_16_64 0
		.amdhsa_float_denorm_mode_32 3
		.amdhsa_float_denorm_mode_16_64 3
		.amdhsa_dx10_clamp 1
		.amdhsa_ieee_mode 1
		.amdhsa_fp16_overflow 0
		.amdhsa_workgroup_processor_mode 1
		.amdhsa_memory_ordered 1
		.amdhsa_forward_progress 0
		.amdhsa_shared_vgpr_count 0
		.amdhsa_exception_fp_ieee_invalid_op 0
		.amdhsa_exception_fp_denorm_src 0
		.amdhsa_exception_fp_ieee_div_zero 0
		.amdhsa_exception_fp_ieee_overflow 0
		.amdhsa_exception_fp_ieee_underflow 0
		.amdhsa_exception_fp_ieee_inexact 0
		.amdhsa_exception_int_div_zero 0
	.end_amdhsa_kernel
	.section	.text._ZL18rocblas_dot_kernelIlLb1ELi1024ELi32ELb0EfPKDF16_DF16_EviT5_lT_lS2_lS3_liPT6_PT4_,"axG",@progbits,_ZL18rocblas_dot_kernelIlLb1ELi1024ELi32ELb0EfPKDF16_DF16_EviT5_lT_lS2_lS3_liPT6_PT4_,comdat
.Lfunc_end346:
	.size	_ZL18rocblas_dot_kernelIlLb1ELi1024ELi32ELb0EfPKDF16_DF16_EviT5_lT_lS2_lS3_liPT6_PT4_, .Lfunc_end346-_ZL18rocblas_dot_kernelIlLb1ELi1024ELi32ELb0EfPKDF16_DF16_EviT5_lT_lS2_lS3_liPT6_PT4_
                                        ; -- End function
	.section	.AMDGPU.csdata,"",@progbits
; Kernel info:
; codeLenInByte = 1196
; NumSgprs: 29
; NumVgprs: 11
; ScratchSize: 0
; MemoryBound: 0
; FloatMode: 240
; IeeeMode: 1
; LDSByteSize: 64 bytes/workgroup (compile time only)
; SGPRBlocks: 3
; VGPRBlocks: 1
; NumSGPRsForWavesPerEU: 29
; NumVGPRsForWavesPerEU: 11
; Occupancy: 16
; WaveLimiterHint : 0
; COMPUTE_PGM_RSRC2:SCRATCH_EN: 0
; COMPUTE_PGM_RSRC2:USER_SGPR: 14
; COMPUTE_PGM_RSRC2:TRAP_HANDLER: 0
; COMPUTE_PGM_RSRC2:TGID_X_EN: 1
; COMPUTE_PGM_RSRC2:TGID_Y_EN: 0
; COMPUTE_PGM_RSRC2:TGID_Z_EN: 1
; COMPUTE_PGM_RSRC2:TIDIG_COMP_CNT: 0
	.section	.text._ZL24rocblas_dot_kernel_magsqIlLb1ELi1024ELi32ELb0EfPKDF16_DF16_EviT5_lT_liPT6_PT4_,"axG",@progbits,_ZL24rocblas_dot_kernel_magsqIlLb1ELi1024ELi32ELb0EfPKDF16_DF16_EviT5_lT_liPT6_PT4_,comdat
	.globl	_ZL24rocblas_dot_kernel_magsqIlLb1ELi1024ELi32ELb0EfPKDF16_DF16_EviT5_lT_liPT6_PT4_ ; -- Begin function _ZL24rocblas_dot_kernel_magsqIlLb1ELi1024ELi32ELb0EfPKDF16_DF16_EviT5_lT_liPT6_PT4_
	.p2align	8
	.type	_ZL24rocblas_dot_kernel_magsqIlLb1ELi1024ELi32ELb0EfPKDF16_DF16_EviT5_lT_liPT6_PT4_,@function
_ZL24rocblas_dot_kernel_magsqIlLb1ELi1024ELi32ELb0EfPKDF16_DF16_EviT5_lT_liPT6_PT4_: ; @_ZL24rocblas_dot_kernel_magsqIlLb1ELi1024ELi32ELb0EfPKDF16_DF16_EviT5_lT_liPT6_PT4_
; %bb.0:
	s_clause 0x1
	s_load_b32 s8, s[0:1], 0x0
	s_load_b64 s[2:3], s[0:1], 0x38
	v_mov_b32_e32 v3, 0
	s_mov_b32 s4, s15
	s_mov_b32 s5, 0
	s_mov_b32 s9, exec_lo
	s_waitcnt lgkmcnt(0)
	v_cmpx_gt_i32_e64 s8, v0
	s_cbranch_execz .LBB347_4
; %bb.1:
	s_clause 0x3
	s_load_b128 s[12:15], s[0:1], 0x10
	s_load_b32 s16, s[0:1], 0x40
	s_load_b64 s[6:7], s[0:1], 0x20
	s_load_b64 s[10:11], s[0:1], 0x8
	s_waitcnt lgkmcnt(0)
	v_mad_u64_u32 v[1:2], null, s14, v0, 0
	s_mul_i32 s0, s7, s4
	s_mul_hi_u32 s7, s6, s4
	s_mul_i32 s6, s6, s4
	s_add_i32 s7, s7, s0
	s_lshl_b64 s[12:13], s[12:13], 1
	s_lshl_b32 s1, s16, 10
	s_delay_alu instid0(VALU_DEP_1)
	v_mad_u64_u32 v[3:4], null, s15, v0, v[2:3]
	s_lshl_b64 s[6:7], s[6:7], 1
	s_add_u32 s0, s10, s12
	s_addc_u32 s10, s11, s13
	s_add_u32 s0, s0, s6
	s_addc_u32 s10, s10, s7
	s_ashr_i32 s6, s1, 31
	s_delay_alu instid0(VALU_DEP_1) | instskip(SKIP_3) | instid1(VALU_DEP_1)
	v_dual_mov_b32 v2, v3 :: v_dual_mov_b32 v3, 0
	s_mul_hi_u32 s7, s14, s1
	s_mul_i32 s6, s14, s6
	s_mul_i32 s11, s15, s1
	v_lshlrev_b64 v[1:2], 1, v[1:2]
	s_add_i32 s7, s7, s6
	v_or_b32_e32 v4, s1, v0
	s_mul_i32 s6, s14, s1
	s_add_i32 s7, s7, s11
	s_mov_b32 s11, s5
	v_add_co_u32 v1, vcc_lo, s0, v1
	v_add_co_ci_u32_e32 v2, vcc_lo, s10, v2, vcc_lo
	s_lshl_b64 s[6:7], s[6:7], 1
	s_mov_b32 s10, s5
	.p2align	6
.LBB347_2:                              ; =>This Inner Loop Header: Depth=1
	global_load_u16 v5, v[1:2], off
	s_add_i32 s12, s11, 1
	v_cmp_le_i32_e32 vcc_lo, s8, v4
	v_add_co_u32 v1, s0, v1, s6
	s_cmp_gt_u32 s11, 30
	v_add_co_ci_u32_e64 v2, s0, s7, v2, s0
	s_cselect_b32 s0, -1, 0
	v_add_nc_u32_e32 v4, s1, v4
	s_or_b32 s0, s0, vcc_lo
	s_mov_b32 s11, s12
	s_and_b32 s0, exec_lo, s0
	s_delay_alu instid0(SALU_CYCLE_1)
	s_or_b32 s10, s0, s10
	s_waitcnt vmcnt(0)
	v_fmac_f16_e32 v3, v5, v5
	s_and_not1_b32 exec_lo, exec_lo, s10
	s_cbranch_execnz .LBB347_2
; %bb.3:
	s_or_b32 exec_lo, exec_lo, s10
.LBB347_4:
	s_delay_alu instid0(SALU_CYCLE_1) | instskip(SKIP_2) | instid1(VALU_DEP_2)
	s_or_b32 exec_lo, exec_lo, s9
	v_and_b32_e32 v5, 31, v0
	v_cmp_gt_u32_e32 vcc_lo, 32, v0
	v_lshlrev_b32_e32 v1, 1, v5
	s_and_saveexec_b32 s0, vcc_lo
	s_cbranch_execz .LBB347_6
; %bb.5:
	v_mov_b32_e32 v2, 0
	ds_store_b16 v1, v2
.LBB347_6:
	s_or_b32 exec_lo, exec_lo, s0
	v_mbcnt_lo_u32_b32 v7, -1, 0
	v_and_b32_e32 v4, 0xffff, v3
	s_mov_b32 s1, exec_lo
	s_waitcnt lgkmcnt(0)
	s_barrier
	v_cmp_gt_u32_e64 s0, 16, v7
	buffer_gl0_inv
	v_cndmask_b32_e64 v2, 0, 1, s0
	v_cmp_gt_u32_e64 s0, 24, v7
	s_delay_alu instid0(VALU_DEP_2) | instskip(NEXT) | instid1(VALU_DEP_2)
	v_lshlrev_b32_e32 v2, 4, v2
	v_cndmask_b32_e64 v6, 0, 1, s0
	v_cmp_gt_u32_e64 s0, 28, v7
	s_delay_alu instid0(VALU_DEP_3) | instskip(SKIP_4) | instid1(VALU_DEP_2)
	v_add_lshl_u32 v2, v2, v7, 2
	ds_bpermute_b32 v4, v2, v4
	s_waitcnt lgkmcnt(0)
	v_add_f16_e32 v8, v3, v4
	v_lshlrev_b32_e32 v3, 3, v6
	v_and_b32_e32 v6, 0xffff, v8
	s_delay_alu instid0(VALU_DEP_2) | instskip(NEXT) | instid1(VALU_DEP_2)
	v_add_lshl_u32 v3, v3, v7, 2
	v_and_or_b32 v4, 0xffff0000, v4, v6
	ds_bpermute_b32 v6, v3, v4
	v_cndmask_b32_e64 v4, 0, 1, s0
	v_cmp_gt_u32_e64 s0, 30, v7
	s_delay_alu instid0(VALU_DEP_2) | instskip(NEXT) | instid1(VALU_DEP_1)
	v_lshlrev_b32_e32 v4, 2, v4
	v_add_lshl_u32 v4, v4, v7, 2
	s_waitcnt lgkmcnt(0)
	v_add_f16_e32 v8, v8, v6
	s_delay_alu instid0(VALU_DEP_1) | instskip(NEXT) | instid1(VALU_DEP_1)
	v_and_b32_e32 v9, 0xffff, v8
	v_and_or_b32 v6, 0xffff0000, v6, v9
	ds_bpermute_b32 v9, v4, v6
	v_cndmask_b32_e64 v6, 0, 1, s0
	v_cmp_ne_u32_e64 s0, 31, v7
	s_delay_alu instid0(VALU_DEP_2) | instskip(NEXT) | instid1(VALU_DEP_1)
	v_lshlrev_b32_e32 v6, 1, v6
	v_add_lshl_u32 v6, v6, v7, 2
	s_delay_alu instid0(VALU_DEP_3) | instskip(NEXT) | instid1(VALU_DEP_1)
	v_add_co_ci_u32_e64 v7, s0, 0, v7, s0
	v_lshlrev_b32_e32 v7, 2, v7
	s_waitcnt lgkmcnt(0)
	v_add_f16_e32 v8, v8, v9
	s_delay_alu instid0(VALU_DEP_1) | instskip(NEXT) | instid1(VALU_DEP_1)
	v_and_b32_e32 v10, 0xffff, v8
	v_and_or_b32 v9, 0xffff0000, v9, v10
	ds_bpermute_b32 v9, v6, v9
	s_waitcnt lgkmcnt(0)
	v_add_f16_e32 v8, v8, v9
	s_delay_alu instid0(VALU_DEP_1) | instskip(NEXT) | instid1(VALU_DEP_1)
	v_and_b32_e32 v10, 0xffff, v8
	v_and_or_b32 v9, 0xffff0000, v9, v10
	ds_bpermute_b32 v9, v7, v9
	v_cmpx_eq_u32_e32 0, v5
	s_cbranch_execz .LBB347_8
; %bb.7:
	v_lshrrev_b32_e32 v5, 4, v0
	s_waitcnt lgkmcnt(0)
	v_add_f16_e32 v8, v8, v9
	s_delay_alu instid0(VALU_DEP_2)
	v_and_b32_e32 v5, 62, v5
	ds_store_b16 v5, v8
.LBB347_8:
	s_or_b32 exec_lo, exec_lo, s1
	v_mov_b32_e32 v5, 0
	s_waitcnt lgkmcnt(0)
	s_barrier
	buffer_gl0_inv
	s_and_saveexec_b32 s0, vcc_lo
	s_cbranch_execz .LBB347_10
; %bb.9:
	ds_load_u16 v5, v1
.LBB347_10:
	s_or_b32 exec_lo, exec_lo, s0
	s_and_saveexec_b32 s0, vcc_lo
	s_cbranch_execz .LBB347_12
; %bb.11:
	s_waitcnt lgkmcnt(0)
	v_and_b32_e32 v1, 0xffff, v5
	ds_bpermute_b32 v1, v2, v1
	s_waitcnt lgkmcnt(0)
	v_add_f16_e32 v2, v5, v1
	s_delay_alu instid0(VALU_DEP_1) | instskip(NEXT) | instid1(VALU_DEP_1)
	v_and_b32_e32 v5, 0xffff, v2
	v_and_or_b32 v1, 0xffff0000, v1, v5
	ds_bpermute_b32 v1, v3, v1
	s_waitcnt lgkmcnt(0)
	v_add_f16_e32 v2, v2, v1
	s_delay_alu instid0(VALU_DEP_1) | instskip(NEXT) | instid1(VALU_DEP_1)
	v_and_b32_e32 v3, 0xffff, v2
	v_and_or_b32 v1, 0xffff0000, v1, v3
	;; [unrolled: 6-line block ×4, first 2 shown]
	ds_bpermute_b32 v1, v7, v1
	s_waitcnt lgkmcnt(0)
	v_add_f16_e32 v5, v2, v1
.LBB347_12:
	s_or_b32 exec_lo, exec_lo, s0
	s_delay_alu instid0(SALU_CYCLE_1)
	s_mov_b32 s0, exec_lo
	v_cmpx_eq_u32_e32 0, v0
	s_cbranch_execz .LBB347_14
; %bb.13:
	s_waitcnt lgkmcnt(0)
	v_cvt_f32_f16_e32 v0, v5
	s_lshl_b64 s[0:1], s[4:5], 2
	v_mov_b32_e32 v1, 0
	s_add_u32 s0, s2, s0
	s_addc_u32 s1, s3, s1
	global_store_b32 v1, v0, s[0:1]
.LBB347_14:
	s_nop 0
	s_sendmsg sendmsg(MSG_DEALLOC_VGPRS)
	s_endpgm
	.section	.rodata,"a",@progbits
	.p2align	6, 0x0
	.amdhsa_kernel _ZL24rocblas_dot_kernel_magsqIlLb1ELi1024ELi32ELb0EfPKDF16_DF16_EviT5_lT_liPT6_PT4_
		.amdhsa_group_segment_fixed_size 64
		.amdhsa_private_segment_fixed_size 0
		.amdhsa_kernarg_size 320
		.amdhsa_user_sgpr_count 14
		.amdhsa_user_sgpr_dispatch_ptr 0
		.amdhsa_user_sgpr_queue_ptr 0
		.amdhsa_user_sgpr_kernarg_segment_ptr 1
		.amdhsa_user_sgpr_dispatch_id 0
		.amdhsa_user_sgpr_private_segment_size 0
		.amdhsa_wavefront_size32 1
		.amdhsa_uses_dynamic_stack 0
		.amdhsa_enable_private_segment 0
		.amdhsa_system_sgpr_workgroup_id_x 1
		.amdhsa_system_sgpr_workgroup_id_y 0
		.amdhsa_system_sgpr_workgroup_id_z 1
		.amdhsa_system_sgpr_workgroup_info 0
		.amdhsa_system_vgpr_workitem_id 0
		.amdhsa_next_free_vgpr 11
		.amdhsa_next_free_sgpr 17
		.amdhsa_reserve_vcc 1
		.amdhsa_float_round_mode_32 0
		.amdhsa_float_round_mode_16_64 0
		.amdhsa_float_denorm_mode_32 3
		.amdhsa_float_denorm_mode_16_64 3
		.amdhsa_dx10_clamp 1
		.amdhsa_ieee_mode 1
		.amdhsa_fp16_overflow 0
		.amdhsa_workgroup_processor_mode 1
		.amdhsa_memory_ordered 1
		.amdhsa_forward_progress 0
		.amdhsa_shared_vgpr_count 0
		.amdhsa_exception_fp_ieee_invalid_op 0
		.amdhsa_exception_fp_denorm_src 0
		.amdhsa_exception_fp_ieee_div_zero 0
		.amdhsa_exception_fp_ieee_overflow 0
		.amdhsa_exception_fp_ieee_underflow 0
		.amdhsa_exception_fp_ieee_inexact 0
		.amdhsa_exception_int_div_zero 0
	.end_amdhsa_kernel
	.section	.text._ZL24rocblas_dot_kernel_magsqIlLb1ELi1024ELi32ELb0EfPKDF16_DF16_EviT5_lT_liPT6_PT4_,"axG",@progbits,_ZL24rocblas_dot_kernel_magsqIlLb1ELi1024ELi32ELb0EfPKDF16_DF16_EviT5_lT_liPT6_PT4_,comdat
.Lfunc_end347:
	.size	_ZL24rocblas_dot_kernel_magsqIlLb1ELi1024ELi32ELb0EfPKDF16_DF16_EviT5_lT_liPT6_PT4_, .Lfunc_end347-_ZL24rocblas_dot_kernel_magsqIlLb1ELi1024ELi32ELb0EfPKDF16_DF16_EviT5_lT_liPT6_PT4_
                                        ; -- End function
	.section	.AMDGPU.csdata,"",@progbits
; Kernel info:
; codeLenInByte = 1056
; NumSgprs: 19
; NumVgprs: 11
; ScratchSize: 0
; MemoryBound: 0
; FloatMode: 240
; IeeeMode: 1
; LDSByteSize: 64 bytes/workgroup (compile time only)
; SGPRBlocks: 2
; VGPRBlocks: 1
; NumSGPRsForWavesPerEU: 19
; NumVGPRsForWavesPerEU: 11
; Occupancy: 16
; WaveLimiterHint : 0
; COMPUTE_PGM_RSRC2:SCRATCH_EN: 0
; COMPUTE_PGM_RSRC2:USER_SGPR: 14
; COMPUTE_PGM_RSRC2:TRAP_HANDLER: 0
; COMPUTE_PGM_RSRC2:TGID_X_EN: 1
; COMPUTE_PGM_RSRC2:TGID_Y_EN: 0
; COMPUTE_PGM_RSRC2:TGID_Z_EN: 1
; COMPUTE_PGM_RSRC2:TIDIG_COMP_CNT: 0
	.section	.text._ZL23rocblas_dot_kernel_inc1ILb0ELi512ELi4ELb0EfPKDF16_DF16_EviT4_llS2_lliPT5_PT3_,"axG",@progbits,_ZL23rocblas_dot_kernel_inc1ILb0ELi512ELi4ELb0EfPKDF16_DF16_EviT4_llS2_lliPT5_PT3_,comdat
	.globl	_ZL23rocblas_dot_kernel_inc1ILb0ELi512ELi4ELb0EfPKDF16_DF16_EviT4_llS2_lliPT5_PT3_ ; -- Begin function _ZL23rocblas_dot_kernel_inc1ILb0ELi512ELi4ELb0EfPKDF16_DF16_EviT4_llS2_lliPT5_PT3_
	.p2align	8
	.type	_ZL23rocblas_dot_kernel_inc1ILb0ELi512ELi4ELb0EfPKDF16_DF16_EviT4_llS2_lliPT5_PT3_,@function
_ZL23rocblas_dot_kernel_inc1ILb0ELi512ELi4ELb0EfPKDF16_DF16_EviT4_llS2_lliPT5_PT3_: ; @_ZL23rocblas_dot_kernel_inc1ILb0ELi512ELi4ELb0EfPKDF16_DF16_EviT4_llS2_lliPT5_PT3_
; %bb.0:
	s_clause 0x2
	s_load_b32 s12, s[0:1], 0x50
	s_load_b32 s13, s[0:1], 0x0
	s_load_b128 s[4:7], s[0:1], 0x40
	v_lshl_or_b32 v1, s14, 9, v0
	v_mov_b32_e32 v4, 0
	s_mov_b32 s2, s15
	s_mov_b32 s3, 0
	s_mov_b32 s15, exec_lo
	s_waitcnt lgkmcnt(0)
	v_cmpx_gt_i32_e64 s13, v1
	s_cbranch_execz .LBB348_4
; %bb.1:
	s_clause 0x3
	s_load_b128 s[8:11], s[0:1], 0x10
	s_load_b128 s[20:23], s[0:1], 0x28
	s_load_b64 s[16:17], s[0:1], 0x8
	s_load_b64 s[18:19], s[0:1], 0x20
	v_ashrrev_i32_e32 v2, 31, v1
	s_delay_alu instid0(VALU_DEP_1)
	v_lshlrev_b64 v[2:3], 1, v[1:2]
	s_waitcnt lgkmcnt(0)
	s_mul_i32 s1, s2, s11
	s_mul_hi_u32 s11, s2, s10
	s_mul_i32 s0, s2, s10
	s_add_i32 s1, s11, s1
	s_mul_i32 s11, s2, s23
	s_lshl_b64 s[0:1], s[0:1], 1
	s_mul_hi_u32 s23, s2, s22
	s_add_u32 s0, s16, s0
	s_addc_u32 s16, s17, s1
	s_lshl_b64 s[8:9], s[8:9], 1
	s_mul_i32 s10, s2, s22
	s_add_u32 s1, s0, s8
	s_addc_u32 s16, s16, s9
	s_add_i32 s11, s23, s11
	s_delay_alu instid0(SALU_CYCLE_1) | instskip(NEXT) | instid1(SALU_CYCLE_1)
	s_lshl_b64 s[8:9], s[10:11], 1
	s_add_u32 s0, s18, s8
	s_addc_u32 s10, s19, s9
	s_lshl_b64 s[8:9], s[20:21], 1
	s_mov_b32 s19, s3
	s_add_u32 s17, s0, s8
	s_addc_u32 s18, s10, s9
	s_lshl_b32 s8, s12, 9
	s_delay_alu instid0(SALU_CYCLE_1) | instskip(SKIP_1) | instid1(SALU_CYCLE_1)
	v_dual_mov_b32 v4, 0 :: v_dual_add_nc_u32 v1, s8, v1
	s_ashr_i32 s9, s8, 31
	s_lshl_b64 s[10:11], s[8:9], 1
	s_mov_b32 s9, s3
	.p2align	6
.LBB348_2:                              ; =>This Inner Loop Header: Depth=1
	v_add_co_u32 v5, vcc_lo, s17, v2
	v_add_co_ci_u32_e32 v6, vcc_lo, s18, v3, vcc_lo
	v_add_co_u32 v7, vcc_lo, s1, v2
	v_add_co_ci_u32_e32 v8, vcc_lo, s16, v3, vcc_lo
	s_add_i32 s20, s19, 1
	global_load_u16 v5, v[5:6], off
	global_load_u16 v6, v[7:8], off
	v_cmp_le_i32_e32 vcc_lo, s13, v1
	v_add_co_u32 v2, s0, v2, s10
	s_cmp_gt_u32 s19, 2
	v_add_co_ci_u32_e64 v3, s0, s11, v3, s0
	s_cselect_b32 s0, -1, 0
	v_add_nc_u32_e32 v1, s8, v1
	s_or_b32 s0, s0, vcc_lo
	s_mov_b32 s19, s20
	s_and_b32 s0, exec_lo, s0
	s_delay_alu instid0(SALU_CYCLE_1)
	s_or_b32 s9, s0, s9
	s_waitcnt vmcnt(0)
	v_fmac_f16_e32 v4, v5, v6
	s_and_not1_b32 exec_lo, exec_lo, s9
	s_cbranch_execnz .LBB348_2
; %bb.3:
	s_or_b32 exec_lo, exec_lo, s9
.LBB348_4:
	s_delay_alu instid0(SALU_CYCLE_1) | instskip(SKIP_2) | instid1(VALU_DEP_2)
	s_or_b32 exec_lo, exec_lo, s15
	v_and_b32_e32 v3, 31, v0
	v_cmp_gt_u32_e32 vcc_lo, 32, v0
	v_lshlrev_b32_e32 v1, 1, v3
	s_and_saveexec_b32 s0, vcc_lo
	s_cbranch_execz .LBB348_6
; %bb.5:
	v_mov_b32_e32 v2, 0
	ds_store_b16 v1, v2
.LBB348_6:
	s_or_b32 exec_lo, exec_lo, s0
	v_mbcnt_lo_u32_b32 v6, -1, 0
	v_and_b32_e32 v5, 0xffff, v4
	s_mov_b32 s1, exec_lo
	s_waitcnt lgkmcnt(0)
	s_barrier
	v_cmp_gt_u32_e64 s0, 16, v6
	buffer_gl0_inv
	v_cndmask_b32_e64 v2, 0, 1, s0
	v_cmp_gt_u32_e64 s0, 24, v6
	s_delay_alu instid0(VALU_DEP_2) | instskip(NEXT) | instid1(VALU_DEP_1)
	v_lshlrev_b32_e32 v2, 4, v2
	v_add_lshl_u32 v2, v2, v6, 2
	ds_bpermute_b32 v5, v2, v5
	v_cndmask_b32_e64 v2, 0, 1, s0
	v_cmp_gt_u32_e64 s0, 28, v6
	s_delay_alu instid0(VALU_DEP_2) | instskip(NEXT) | instid1(VALU_DEP_1)
	v_lshlrev_b32_e32 v2, 3, v2
	v_add_lshl_u32 v2, v2, v6, 2
	s_waitcnt lgkmcnt(0)
	v_add_f16_e32 v4, v4, v5
	s_delay_alu instid0(VALU_DEP_1) | instskip(NEXT) | instid1(VALU_DEP_1)
	v_and_b32_e32 v7, 0xffff, v4
	v_and_or_b32 v5, 0xffff0000, v5, v7
	v_cndmask_b32_e64 v7, 0, 1, s0
	v_cmp_gt_u32_e64 s0, 30, v6
	ds_bpermute_b32 v5, v2, v5
	s_waitcnt lgkmcnt(0)
	v_add_f16_e32 v8, v4, v5
	v_lshlrev_b32_e32 v4, 2, v7
	s_delay_alu instid0(VALU_DEP_2) | instskip(NEXT) | instid1(VALU_DEP_2)
	v_and_b32_e32 v7, 0xffff, v8
	v_add_lshl_u32 v4, v4, v6, 2
	s_delay_alu instid0(VALU_DEP_2) | instskip(SKIP_3) | instid1(VALU_DEP_2)
	v_and_or_b32 v5, 0xffff0000, v5, v7
	ds_bpermute_b32 v7, v4, v5
	v_cndmask_b32_e64 v5, 0, 1, s0
	v_cmp_ne_u32_e64 s0, 31, v6
	v_lshlrev_b32_e32 v5, 1, v5
	s_delay_alu instid0(VALU_DEP_1) | instskip(NEXT) | instid1(VALU_DEP_3)
	v_add_lshl_u32 v5, v5, v6, 2
	v_add_co_ci_u32_e64 v6, s0, 0, v6, s0
	s_delay_alu instid0(VALU_DEP_1) | instskip(SKIP_2) | instid1(VALU_DEP_1)
	v_lshlrev_b32_e32 v6, 2, v6
	s_waitcnt lgkmcnt(0)
	v_add_f16_e32 v8, v8, v7
	v_and_b32_e32 v9, 0xffff, v8
	s_delay_alu instid0(VALU_DEP_1) | instskip(SKIP_3) | instid1(VALU_DEP_1)
	v_and_or_b32 v7, 0xffff0000, v7, v9
	ds_bpermute_b32 v9, v5, v7
	s_waitcnt lgkmcnt(0)
	v_add_f16_e32 v7, v8, v9
	v_and_b32_e32 v8, 0xffff, v7
	s_delay_alu instid0(VALU_DEP_1)
	v_and_or_b32 v8, 0xffff0000, v9, v8
	ds_bpermute_b32 v8, v6, v8
	v_cmpx_eq_u32_e32 0, v3
	s_cbranch_execz .LBB348_8
; %bb.7:
	v_lshrrev_b32_e32 v3, 4, v0
	s_waitcnt lgkmcnt(0)
	v_add_f16_e32 v7, v7, v8
	s_delay_alu instid0(VALU_DEP_2)
	v_and_b32_e32 v3, 30, v3
	ds_store_b16 v3, v7
.LBB348_8:
	s_or_b32 exec_lo, exec_lo, s1
	v_mov_b32_e32 v3, 0
	s_mov_b32 s1, exec_lo
	s_waitcnt lgkmcnt(0)
	s_barrier
	buffer_gl0_inv
	v_cmpx_gt_u32_e32 16, v0
	s_cbranch_execz .LBB348_10
; %bb.9:
	ds_load_u16 v3, v1
.LBB348_10:
	s_or_b32 exec_lo, exec_lo, s1
	s_and_saveexec_b32 s0, vcc_lo
	s_cbranch_execz .LBB348_12
; %bb.11:
	s_waitcnt lgkmcnt(0)
	v_and_b32_e32 v1, 0xffff, v3
	ds_bpermute_b32 v1, v2, v1
	s_waitcnt lgkmcnt(0)
	v_add_f16_e32 v2, v3, v1
	s_delay_alu instid0(VALU_DEP_1) | instskip(NEXT) | instid1(VALU_DEP_1)
	v_and_b32_e32 v3, 0xffff, v2
	v_and_or_b32 v1, 0xffff0000, v1, v3
	ds_bpermute_b32 v1, v4, v1
	s_waitcnt lgkmcnt(0)
	v_add_f16_e32 v2, v2, v1
	s_delay_alu instid0(VALU_DEP_1) | instskip(NEXT) | instid1(VALU_DEP_1)
	v_and_b32_e32 v3, 0xffff, v2
	v_and_or_b32 v1, 0xffff0000, v1, v3
	;; [unrolled: 6-line block ×3, first 2 shown]
	ds_bpermute_b32 v1, v6, v1
	s_waitcnt lgkmcnt(0)
	v_add_f16_e32 v3, v2, v1
.LBB348_12:
	s_or_b32 exec_lo, exec_lo, s0
	s_delay_alu instid0(SALU_CYCLE_1)
	s_mov_b32 s0, exec_lo
	v_cmpx_eq_u32_e32 0, v0
	s_cbranch_execz .LBB348_17
; %bb.13:
	s_cmp_lg_u32 s12, 1
	s_mov_b32 s15, -1
	s_cbranch_scc0 .LBB348_15
; %bb.14:
	s_mul_hi_u32 s1, s12, s2
	s_mul_i32 s0, s12, s2
	s_mov_b32 s15, 0
	s_lshl_b64 s[0:1], s[0:1], 1
	v_mov_b32_e32 v0, 0
	s_add_u32 s4, s4, s0
	s_addc_u32 s5, s5, s1
	s_lshl_b64 s[0:1], s[14:15], 1
	s_delay_alu instid0(SALU_CYCLE_1)
	s_add_u32 s0, s4, s0
	s_addc_u32 s1, s5, s1
	s_waitcnt lgkmcnt(0)
	global_store_b16 v0, v3, s[0:1]
.LBB348_15:
	s_and_not1_b32 vcc_lo, exec_lo, s15
	s_cbranch_vccnz .LBB348_17
; %bb.16:
	s_waitcnt lgkmcnt(0)
	v_cvt_f32_f16_e32 v0, v3
	s_lshl_b64 s[0:1], s[2:3], 2
	v_mov_b32_e32 v1, 0
	s_add_u32 s0, s6, s0
	s_addc_u32 s1, s7, s1
	global_store_b32 v1, v0, s[0:1]
.LBB348_17:
	s_nop 0
	s_sendmsg sendmsg(MSG_DEALLOC_VGPRS)
	s_endpgm
	.section	.rodata,"a",@progbits
	.p2align	6, 0x0
	.amdhsa_kernel _ZL23rocblas_dot_kernel_inc1ILb0ELi512ELi4ELb0EfPKDF16_DF16_EviT4_llS2_lliPT5_PT3_
		.amdhsa_group_segment_fixed_size 64
		.amdhsa_private_segment_fixed_size 0
		.amdhsa_kernarg_size 336
		.amdhsa_user_sgpr_count 14
		.amdhsa_user_sgpr_dispatch_ptr 0
		.amdhsa_user_sgpr_queue_ptr 0
		.amdhsa_user_sgpr_kernarg_segment_ptr 1
		.amdhsa_user_sgpr_dispatch_id 0
		.amdhsa_user_sgpr_private_segment_size 0
		.amdhsa_wavefront_size32 1
		.amdhsa_uses_dynamic_stack 0
		.amdhsa_enable_private_segment 0
		.amdhsa_system_sgpr_workgroup_id_x 1
		.amdhsa_system_sgpr_workgroup_id_y 0
		.amdhsa_system_sgpr_workgroup_id_z 1
		.amdhsa_system_sgpr_workgroup_info 0
		.amdhsa_system_vgpr_workitem_id 0
		.amdhsa_next_free_vgpr 10
		.amdhsa_next_free_sgpr 24
		.amdhsa_reserve_vcc 1
		.amdhsa_float_round_mode_32 0
		.amdhsa_float_round_mode_16_64 0
		.amdhsa_float_denorm_mode_32 3
		.amdhsa_float_denorm_mode_16_64 3
		.amdhsa_dx10_clamp 1
		.amdhsa_ieee_mode 1
		.amdhsa_fp16_overflow 0
		.amdhsa_workgroup_processor_mode 1
		.amdhsa_memory_ordered 1
		.amdhsa_forward_progress 0
		.amdhsa_shared_vgpr_count 0
		.amdhsa_exception_fp_ieee_invalid_op 0
		.amdhsa_exception_fp_denorm_src 0
		.amdhsa_exception_fp_ieee_div_zero 0
		.amdhsa_exception_fp_ieee_overflow 0
		.amdhsa_exception_fp_ieee_underflow 0
		.amdhsa_exception_fp_ieee_inexact 0
		.amdhsa_exception_int_div_zero 0
	.end_amdhsa_kernel
	.section	.text._ZL23rocblas_dot_kernel_inc1ILb0ELi512ELi4ELb0EfPKDF16_DF16_EviT4_llS2_lliPT5_PT3_,"axG",@progbits,_ZL23rocblas_dot_kernel_inc1ILb0ELi512ELi4ELb0EfPKDF16_DF16_EviT4_llS2_lliPT5_PT3_,comdat
.Lfunc_end348:
	.size	_ZL23rocblas_dot_kernel_inc1ILb0ELi512ELi4ELb0EfPKDF16_DF16_EviT4_llS2_lliPT5_PT3_, .Lfunc_end348-_ZL23rocblas_dot_kernel_inc1ILb0ELi512ELi4ELb0EfPKDF16_DF16_EviT4_llS2_lliPT5_PT3_
                                        ; -- End function
	.section	.AMDGPU.csdata,"",@progbits
; Kernel info:
; codeLenInByte = 1136
; NumSgprs: 26
; NumVgprs: 10
; ScratchSize: 0
; MemoryBound: 0
; FloatMode: 240
; IeeeMode: 1
; LDSByteSize: 64 bytes/workgroup (compile time only)
; SGPRBlocks: 3
; VGPRBlocks: 1
; NumSGPRsForWavesPerEU: 26
; NumVGPRsForWavesPerEU: 10
; Occupancy: 16
; WaveLimiterHint : 0
; COMPUTE_PGM_RSRC2:SCRATCH_EN: 0
; COMPUTE_PGM_RSRC2:USER_SGPR: 14
; COMPUTE_PGM_RSRC2:TRAP_HANDLER: 0
; COMPUTE_PGM_RSRC2:TGID_X_EN: 1
; COMPUTE_PGM_RSRC2:TGID_Y_EN: 0
; COMPUTE_PGM_RSRC2:TGID_Z_EN: 1
; COMPUTE_PGM_RSRC2:TIDIG_COMP_CNT: 0
	.section	.text._ZL18rocblas_dot_kernelIlLb0ELi512ELi4ELb0EfPKDF16_DF16_EviT5_lT_lS2_lS3_liPT6_PT4_,"axG",@progbits,_ZL18rocblas_dot_kernelIlLb0ELi512ELi4ELb0EfPKDF16_DF16_EviT5_lT_lS2_lS3_liPT6_PT4_,comdat
	.globl	_ZL18rocblas_dot_kernelIlLb0ELi512ELi4ELb0EfPKDF16_DF16_EviT5_lT_lS2_lS3_liPT6_PT4_ ; -- Begin function _ZL18rocblas_dot_kernelIlLb0ELi512ELi4ELb0EfPKDF16_DF16_EviT5_lT_lS2_lS3_liPT6_PT4_
	.p2align	8
	.type	_ZL18rocblas_dot_kernelIlLb0ELi512ELi4ELb0EfPKDF16_DF16_EviT5_lT_lS2_lS3_liPT6_PT4_,@function
_ZL18rocblas_dot_kernelIlLb0ELi512ELi4ELb0EfPKDF16_DF16_EviT5_lT_lS2_lS3_liPT6_PT4_: ; @_ZL18rocblas_dot_kernelIlLb0ELi512ELi4ELb0EfPKDF16_DF16_EviT5_lT_lS2_lS3_liPT6_PT4_
; %bb.0:
	s_clause 0x2
	s_load_b32 s12, s[0:1], 0x60
	s_load_b32 s13, s[0:1], 0x0
	s_load_b128 s[16:19], s[0:1], 0x50
	v_lshl_or_b32 v1, s14, 9, v0
	v_mov_b32_e32 v6, 0
	s_mov_b32 s2, s15
	s_mov_b32 s3, 0
	s_mov_b32 s15, exec_lo
	s_waitcnt lgkmcnt(0)
	v_cmpx_gt_i32_e64 s13, v1
	s_cbranch_execz .LBB349_4
; %bb.1:
	s_clause 0x2
	s_load_b128 s[20:23], s[0:1], 0x10
	s_load_b256 s[4:11], s[0:1], 0x20
	s_load_b64 s[26:27], s[0:1], 0x8
	v_ashrrev_i32_e32 v4, 31, v1
	s_load_b64 s[0:1], s[0:1], 0x40
	s_lshl_b32 s24, s12, 9
	s_delay_alu instid0(SALU_CYCLE_1)
	v_add_nc_u32_e32 v5, s24, v1
	s_waitcnt lgkmcnt(0)
	v_mul_lo_u32 v8, s23, v1
	v_mul_lo_u32 v9, s22, v4
	v_mad_u64_u32 v[2:3], null, s22, v1, 0
	s_mul_i32 s5, s5, s2
	s_mul_hi_u32 s25, s4, s2
	s_mul_i32 s4, s4, s2
	v_mul_lo_u32 v10, s11, v1
	v_mul_lo_u32 v4, s10, v4
	s_add_i32 s5, s25, s5
	s_delay_alu instid0(VALU_DEP_3)
	v_add3_u32 v3, v3, v9, v8
	v_mad_u64_u32 v[6:7], null, s10, v1, 0
	s_lshl_b64 s[20:21], s[20:21], 1
	s_lshl_b64 s[4:5], s[4:5], 1
	s_add_u32 s20, s26, s20
	s_addc_u32 s21, s27, s21
	v_lshlrev_b64 v[1:2], 1, v[2:3]
	s_add_u32 s20, s20, s4
	s_addc_u32 s21, s21, s5
	s_ashr_i32 s25, s24, 31
	s_mul_hi_u32 s4, s22, s24
	s_mul_i32 s5, s22, s25
	v_add3_u32 v7, v7, v4, v10
	s_mul_i32 s23, s23, s24
	s_add_i32 s5, s4, s5
	v_add_co_u32 v1, vcc_lo, s20, v1
	s_mul_i32 s1, s1, s2
	s_mul_hi_u32 s20, s0, s2
	s_mul_i32 s4, s22, s24
	s_add_i32 s5, s5, s23
	s_add_i32 s1, s20, s1
	s_mul_i32 s0, s0, s2
	v_lshlrev_b64 v[3:4], 1, v[6:7]
	v_mov_b32_e32 v6, 0
	s_lshl_b64 s[8:9], s[8:9], 1
	s_lshl_b64 s[4:5], s[4:5], 1
	;; [unrolled: 1-line block ×3, first 2 shown]
	s_add_u32 s6, s6, s8
	s_addc_u32 s7, s7, s9
	s_add_u32 s0, s6, s0
	v_add_co_ci_u32_e32 v2, vcc_lo, s21, v2, vcc_lo
	s_mul_i32 s6, s10, s25
	s_mul_hi_u32 s8, s10, s24
	s_addc_u32 s1, s7, s1
	v_add_co_u32 v3, vcc_lo, s0, v3
	s_add_i32 s6, s8, s6
	s_mul_i32 s7, s11, s24
	v_add_co_ci_u32_e32 v4, vcc_lo, s1, v4, vcc_lo
	s_add_i32 s1, s6, s7
	s_mul_i32 s0, s10, s24
	s_mov_b32 s8, s3
	s_lshl_b64 s[6:7], s[0:1], 1
	s_mov_b32 s1, s3
	.p2align	6
.LBB349_2:                              ; =>This Inner Loop Header: Depth=1
	global_load_u16 v7, v[3:4], off
	global_load_u16 v8, v[1:2], off
	v_add_co_u32 v1, s0, v1, s4
	s_delay_alu instid0(VALU_DEP_1)
	v_add_co_ci_u32_e64 v2, s0, s5, v2, s0
	s_add_i32 s9, s8, 1
	v_cmp_le_i32_e32 vcc_lo, s13, v5
	v_add_co_u32 v3, s0, v3, s6
	s_cmp_gt_u32 s8, 2
	v_add_co_ci_u32_e64 v4, s0, s7, v4, s0
	s_cselect_b32 s0, -1, 0
	v_add_nc_u32_e32 v5, s24, v5
	s_or_b32 s0, s0, vcc_lo
	s_mov_b32 s8, s9
	s_and_b32 s0, exec_lo, s0
	s_delay_alu instid0(SALU_CYCLE_1)
	s_or_b32 s1, s0, s1
	s_waitcnt vmcnt(0)
	v_fmac_f16_e32 v6, v7, v8
	s_and_not1_b32 exec_lo, exec_lo, s1
	s_cbranch_execnz .LBB349_2
; %bb.3:
	s_or_b32 exec_lo, exec_lo, s1
.LBB349_4:
	s_delay_alu instid0(SALU_CYCLE_1) | instskip(SKIP_2) | instid1(VALU_DEP_2)
	s_or_b32 exec_lo, exec_lo, s15
	v_and_b32_e32 v3, 31, v0
	v_cmp_gt_u32_e32 vcc_lo, 32, v0
	v_lshlrev_b32_e32 v1, 1, v3
	s_and_saveexec_b32 s0, vcc_lo
	s_cbranch_execz .LBB349_6
; %bb.5:
	v_mov_b32_e32 v2, 0
	ds_store_b16 v1, v2
.LBB349_6:
	s_or_b32 exec_lo, exec_lo, s0
	v_mbcnt_lo_u32_b32 v8, -1, 0
	v_and_b32_e32 v4, 0xffff, v6
	s_mov_b32 s1, exec_lo
	s_waitcnt lgkmcnt(0)
	s_barrier
	v_cmp_gt_u32_e64 s0, 16, v8
	buffer_gl0_inv
	v_cndmask_b32_e64 v2, 0, 1, s0
	v_cmp_gt_u32_e64 s0, 24, v8
	s_delay_alu instid0(VALU_DEP_2) | instskip(NEXT) | instid1(VALU_DEP_1)
	v_lshlrev_b32_e32 v2, 4, v2
	v_add_lshl_u32 v2, v2, v8, 2
	ds_bpermute_b32 v4, v2, v4
	v_cndmask_b32_e64 v2, 0, 1, s0
	v_cmp_gt_u32_e64 s0, 28, v8
	s_delay_alu instid0(VALU_DEP_2) | instskip(NEXT) | instid1(VALU_DEP_1)
	v_lshlrev_b32_e32 v2, 3, v2
	v_add_lshl_u32 v2, v2, v8, 2
	s_waitcnt lgkmcnt(0)
	v_add_f16_e32 v5, v6, v4
	s_delay_alu instid0(VALU_DEP_1) | instskip(NEXT) | instid1(VALU_DEP_1)
	v_and_b32_e32 v6, 0xffff, v5
	v_and_or_b32 v4, 0xffff0000, v4, v6
	ds_bpermute_b32 v6, v2, v4
	v_cndmask_b32_e64 v4, 0, 1, s0
	v_cmp_gt_u32_e64 s0, 30, v8
	s_delay_alu instid0(VALU_DEP_2) | instskip(NEXT) | instid1(VALU_DEP_1)
	v_lshlrev_b32_e32 v4, 2, v4
	v_add_lshl_u32 v4, v4, v8, 2
	s_waitcnt lgkmcnt(0)
	v_add_f16_e32 v5, v5, v6
	s_delay_alu instid0(VALU_DEP_1) | instskip(NEXT) | instid1(VALU_DEP_1)
	v_and_b32_e32 v7, 0xffff, v5
	v_and_or_b32 v6, 0xffff0000, v6, v7
	v_cndmask_b32_e64 v7, 0, 1, s0
	v_cmp_ne_u32_e64 s0, 31, v8
	ds_bpermute_b32 v6, v4, v6
	s_waitcnt lgkmcnt(0)
	v_add_f16_e32 v9, v5, v6
	v_lshlrev_b32_e32 v5, 1, v7
	s_delay_alu instid0(VALU_DEP_2) | instskip(NEXT) | instid1(VALU_DEP_2)
	v_and_b32_e32 v7, 0xffff, v9
	v_add_lshl_u32 v5, v5, v8, 2
	v_add_co_ci_u32_e64 v8, s0, 0, v8, s0
	s_delay_alu instid0(VALU_DEP_3) | instskip(SKIP_3) | instid1(VALU_DEP_1)
	v_and_or_b32 v6, 0xffff0000, v6, v7
	ds_bpermute_b32 v6, v5, v6
	s_waitcnt lgkmcnt(0)
	v_add_f16_e32 v7, v9, v6
	v_and_b32_e32 v9, 0xffff, v7
	s_delay_alu instid0(VALU_DEP_1)
	v_and_or_b32 v9, 0xffff0000, v6, v9
	v_lshlrev_b32_e32 v6, 2, v8
	ds_bpermute_b32 v8, v6, v9
	v_cmpx_eq_u32_e32 0, v3
	s_cbranch_execz .LBB349_8
; %bb.7:
	v_lshrrev_b32_e32 v3, 4, v0
	s_waitcnt lgkmcnt(0)
	v_add_f16_e32 v7, v7, v8
	s_delay_alu instid0(VALU_DEP_2)
	v_and_b32_e32 v3, 30, v3
	ds_store_b16 v3, v7
.LBB349_8:
	s_or_b32 exec_lo, exec_lo, s1
	v_mov_b32_e32 v3, 0
	s_mov_b32 s1, exec_lo
	s_waitcnt lgkmcnt(0)
	s_barrier
	buffer_gl0_inv
	v_cmpx_gt_u32_e32 16, v0
	s_cbranch_execz .LBB349_10
; %bb.9:
	ds_load_u16 v3, v1
.LBB349_10:
	s_or_b32 exec_lo, exec_lo, s1
	s_and_saveexec_b32 s0, vcc_lo
	s_cbranch_execz .LBB349_12
; %bb.11:
	s_waitcnt lgkmcnt(0)
	v_and_b32_e32 v1, 0xffff, v3
	ds_bpermute_b32 v1, v2, v1
	s_waitcnt lgkmcnt(0)
	v_add_f16_e32 v2, v3, v1
	s_delay_alu instid0(VALU_DEP_1) | instskip(NEXT) | instid1(VALU_DEP_1)
	v_and_b32_e32 v3, 0xffff, v2
	v_and_or_b32 v1, 0xffff0000, v1, v3
	ds_bpermute_b32 v1, v4, v1
	s_waitcnt lgkmcnt(0)
	v_add_f16_e32 v2, v2, v1
	s_delay_alu instid0(VALU_DEP_1) | instskip(NEXT) | instid1(VALU_DEP_1)
	v_and_b32_e32 v3, 0xffff, v2
	v_and_or_b32 v1, 0xffff0000, v1, v3
	;; [unrolled: 6-line block ×3, first 2 shown]
	ds_bpermute_b32 v1, v6, v1
	s_waitcnt lgkmcnt(0)
	v_add_f16_e32 v3, v2, v1
.LBB349_12:
	s_or_b32 exec_lo, exec_lo, s0
	s_delay_alu instid0(SALU_CYCLE_1)
	s_mov_b32 s0, exec_lo
	v_cmpx_eq_u32_e32 0, v0
	s_cbranch_execz .LBB349_17
; %bb.13:
	s_cmp_lg_u32 s12, 1
	s_mov_b32 s15, -1
	s_cbranch_scc0 .LBB349_15
; %bb.14:
	s_mul_hi_u32 s1, s12, s2
	s_mul_i32 s0, s12, s2
	s_mov_b32 s15, 0
	s_lshl_b64 s[0:1], s[0:1], 1
	v_mov_b32_e32 v0, 0
	s_add_u32 s4, s16, s0
	s_addc_u32 s5, s17, s1
	s_lshl_b64 s[0:1], s[14:15], 1
	s_delay_alu instid0(SALU_CYCLE_1)
	s_add_u32 s0, s4, s0
	s_addc_u32 s1, s5, s1
	s_waitcnt lgkmcnt(0)
	global_store_b16 v0, v3, s[0:1]
.LBB349_15:
	s_and_not1_b32 vcc_lo, exec_lo, s15
	s_cbranch_vccnz .LBB349_17
; %bb.16:
	s_waitcnt lgkmcnt(0)
	v_cvt_f32_f16_e32 v0, v3
	s_lshl_b64 s[0:1], s[2:3], 2
	v_mov_b32_e32 v1, 0
	s_add_u32 s0, s18, s0
	s_addc_u32 s1, s19, s1
	global_store_b32 v1, v0, s[0:1]
.LBB349_17:
	s_nop 0
	s_sendmsg sendmsg(MSG_DEALLOC_VGPRS)
	s_endpgm
	.section	.rodata,"a",@progbits
	.p2align	6, 0x0
	.amdhsa_kernel _ZL18rocblas_dot_kernelIlLb0ELi512ELi4ELb0EfPKDF16_DF16_EviT5_lT_lS2_lS3_liPT6_PT4_
		.amdhsa_group_segment_fixed_size 64
		.amdhsa_private_segment_fixed_size 0
		.amdhsa_kernarg_size 352
		.amdhsa_user_sgpr_count 14
		.amdhsa_user_sgpr_dispatch_ptr 0
		.amdhsa_user_sgpr_queue_ptr 0
		.amdhsa_user_sgpr_kernarg_segment_ptr 1
		.amdhsa_user_sgpr_dispatch_id 0
		.amdhsa_user_sgpr_private_segment_size 0
		.amdhsa_wavefront_size32 1
		.amdhsa_uses_dynamic_stack 0
		.amdhsa_enable_private_segment 0
		.amdhsa_system_sgpr_workgroup_id_x 1
		.amdhsa_system_sgpr_workgroup_id_y 0
		.amdhsa_system_sgpr_workgroup_id_z 1
		.amdhsa_system_sgpr_workgroup_info 0
		.amdhsa_system_vgpr_workitem_id 0
		.amdhsa_next_free_vgpr 11
		.amdhsa_next_free_sgpr 28
		.amdhsa_reserve_vcc 1
		.amdhsa_float_round_mode_32 0
		.amdhsa_float_round_mode_16_64 0
		.amdhsa_float_denorm_mode_32 3
		.amdhsa_float_denorm_mode_16_64 3
		.amdhsa_dx10_clamp 1
		.amdhsa_ieee_mode 1
		.amdhsa_fp16_overflow 0
		.amdhsa_workgroup_processor_mode 1
		.amdhsa_memory_ordered 1
		.amdhsa_forward_progress 0
		.amdhsa_shared_vgpr_count 0
		.amdhsa_exception_fp_ieee_invalid_op 0
		.amdhsa_exception_fp_denorm_src 0
		.amdhsa_exception_fp_ieee_div_zero 0
		.amdhsa_exception_fp_ieee_overflow 0
		.amdhsa_exception_fp_ieee_underflow 0
		.amdhsa_exception_fp_ieee_inexact 0
		.amdhsa_exception_int_div_zero 0
	.end_amdhsa_kernel
	.section	.text._ZL18rocblas_dot_kernelIlLb0ELi512ELi4ELb0EfPKDF16_DF16_EviT5_lT_lS2_lS3_liPT6_PT4_,"axG",@progbits,_ZL18rocblas_dot_kernelIlLb0ELi512ELi4ELb0EfPKDF16_DF16_EviT5_lT_lS2_lS3_liPT6_PT4_,comdat
.Lfunc_end349:
	.size	_ZL18rocblas_dot_kernelIlLb0ELi512ELi4ELb0EfPKDF16_DF16_EviT5_lT_lS2_lS3_liPT6_PT4_, .Lfunc_end349-_ZL18rocblas_dot_kernelIlLb0ELi512ELi4ELb0EfPKDF16_DF16_EviT5_lT_lS2_lS3_liPT6_PT4_
                                        ; -- End function
	.section	.AMDGPU.csdata,"",@progbits
; Kernel info:
; codeLenInByte = 1272
; NumSgprs: 30
; NumVgprs: 11
; ScratchSize: 0
; MemoryBound: 0
; FloatMode: 240
; IeeeMode: 1
; LDSByteSize: 64 bytes/workgroup (compile time only)
; SGPRBlocks: 3
; VGPRBlocks: 1
; NumSGPRsForWavesPerEU: 30
; NumVGPRsForWavesPerEU: 11
; Occupancy: 16
; WaveLimiterHint : 0
; COMPUTE_PGM_RSRC2:SCRATCH_EN: 0
; COMPUTE_PGM_RSRC2:USER_SGPR: 14
; COMPUTE_PGM_RSRC2:TRAP_HANDLER: 0
; COMPUTE_PGM_RSRC2:TGID_X_EN: 1
; COMPUTE_PGM_RSRC2:TGID_Y_EN: 0
; COMPUTE_PGM_RSRC2:TGID_Z_EN: 1
; COMPUTE_PGM_RSRC2:TIDIG_COMP_CNT: 0
	.section	.text._ZL24rocblas_dot_kernel_magsqIlLb0ELi512ELi4ELb0EfPKDF16_DF16_EviT5_lT_liPT6_PT4_,"axG",@progbits,_ZL24rocblas_dot_kernel_magsqIlLb0ELi512ELi4ELb0EfPKDF16_DF16_EviT5_lT_liPT6_PT4_,comdat
	.globl	_ZL24rocblas_dot_kernel_magsqIlLb0ELi512ELi4ELb0EfPKDF16_DF16_EviT5_lT_liPT6_PT4_ ; -- Begin function _ZL24rocblas_dot_kernel_magsqIlLb0ELi512ELi4ELb0EfPKDF16_DF16_EviT5_lT_liPT6_PT4_
	.p2align	8
	.type	_ZL24rocblas_dot_kernel_magsqIlLb0ELi512ELi4ELb0EfPKDF16_DF16_EviT5_lT_liPT6_PT4_,@function
_ZL24rocblas_dot_kernel_magsqIlLb0ELi512ELi4ELb0EfPKDF16_DF16_EviT5_lT_liPT6_PT4_: ; @_ZL24rocblas_dot_kernel_magsqIlLb0ELi512ELi4ELb0EfPKDF16_DF16_EviT5_lT_liPT6_PT4_
; %bb.0:
	s_clause 0x2
	s_load_b32 s11, s[0:1], 0x0
	s_load_b128 s[4:7], s[0:1], 0x30
	s_load_b32 s10, s[0:1], 0x40
	v_lshl_or_b32 v1, s14, 9, v0
	v_mov_b32_e32 v3, 0
	s_mov_b32 s2, s15
	s_mov_b32 s3, 0
	s_mov_b32 s12, exec_lo
	s_waitcnt lgkmcnt(0)
	v_cmpx_gt_i32_e64 s11, v1
	s_cbranch_execz .LBB350_4
; %bb.1:
	s_clause 0x2
	s_load_b128 s[16:19], s[0:1], 0x10
	s_load_b64 s[8:9], s[0:1], 0x20
	s_load_b64 s[20:21], s[0:1], 0x8
	v_ashrrev_i32_e32 v2, 31, v1
	s_lshl_b32 s1, s10, 9
	s_delay_alu instid0(SALU_CYCLE_1)
	v_add_nc_u32_e32 v4, s1, v1
	s_waitcnt lgkmcnt(0)
	v_mul_lo_u32 v5, s19, v1
	v_mul_lo_u32 v6, s18, v2
	v_mad_u64_u32 v[2:3], null, s18, v1, 0
	s_mul_i32 s0, s9, s2
	s_mul_hi_u32 s9, s8, s2
	s_mul_i32 s8, s8, s2
	s_add_i32 s9, s9, s0
	s_lshl_b64 s[16:17], s[16:17], 1
	s_lshl_b64 s[8:9], s[8:9], 1
	s_delay_alu instid0(VALU_DEP_1)
	v_add3_u32 v3, v3, v6, v5
	s_add_u32 s0, s20, s16
	s_addc_u32 s13, s21, s17
	s_add_u32 s0, s0, s8
	s_addc_u32 s13, s13, s9
	v_lshlrev_b64 v[1:2], 1, v[2:3]
	v_mov_b32_e32 v3, 0
	s_ashr_i32 s8, s1, 31
	s_mul_hi_u32 s9, s18, s1
	s_mul_i32 s8, s18, s8
	s_mul_i32 s15, s19, s1
	v_add_co_u32 v1, vcc_lo, s0, v1
	s_add_i32 s9, s9, s8
	v_add_co_ci_u32_e32 v2, vcc_lo, s13, v2, vcc_lo
	s_mul_i32 s8, s18, s1
	s_add_i32 s9, s9, s15
	s_mov_b32 s13, s3
	s_lshl_b64 s[8:9], s[8:9], 1
	s_mov_b32 s15, s3
	.p2align	6
.LBB350_2:                              ; =>This Inner Loop Header: Depth=1
	global_load_u16 v5, v[1:2], off
	s_add_i32 s16, s15, 1
	v_cmp_le_i32_e32 vcc_lo, s11, v4
	v_add_co_u32 v1, s0, v1, s8
	s_cmp_gt_u32 s15, 2
	v_add_co_ci_u32_e64 v2, s0, s9, v2, s0
	s_cselect_b32 s0, -1, 0
	v_add_nc_u32_e32 v4, s1, v4
	s_or_b32 s0, s0, vcc_lo
	s_mov_b32 s15, s16
	s_and_b32 s0, exec_lo, s0
	s_delay_alu instid0(SALU_CYCLE_1)
	s_or_b32 s13, s0, s13
	s_waitcnt vmcnt(0)
	v_fmac_f16_e32 v3, v5, v5
	s_and_not1_b32 exec_lo, exec_lo, s13
	s_cbranch_execnz .LBB350_2
; %bb.3:
	s_or_b32 exec_lo, exec_lo, s13
.LBB350_4:
	s_delay_alu instid0(SALU_CYCLE_1) | instskip(SKIP_2) | instid1(VALU_DEP_2)
	s_or_b32 exec_lo, exec_lo, s12
	v_and_b32_e32 v5, 31, v0
	v_cmp_gt_u32_e32 vcc_lo, 32, v0
	v_lshlrev_b32_e32 v1, 1, v5
	s_and_saveexec_b32 s0, vcc_lo
	s_cbranch_execz .LBB350_6
; %bb.5:
	v_mov_b32_e32 v2, 0
	ds_store_b16 v1, v2
.LBB350_6:
	s_or_b32 exec_lo, exec_lo, s0
	v_mbcnt_lo_u32_b32 v7, -1, 0
	v_and_b32_e32 v4, 0xffff, v3
	s_mov_b32 s1, exec_lo
	s_waitcnt lgkmcnt(0)
	s_barrier
	v_cmp_gt_u32_e64 s0, 16, v7
	buffer_gl0_inv
	v_cndmask_b32_e64 v2, 0, 1, s0
	v_cmp_gt_u32_e64 s0, 24, v7
	s_delay_alu instid0(VALU_DEP_2) | instskip(NEXT) | instid1(VALU_DEP_1)
	v_lshlrev_b32_e32 v2, 4, v2
	v_add_lshl_u32 v2, v2, v7, 2
	ds_bpermute_b32 v4, v2, v4
	v_cndmask_b32_e64 v2, 0, 1, s0
	v_cmp_gt_u32_e64 s0, 28, v7
	s_delay_alu instid0(VALU_DEP_2) | instskip(NEXT) | instid1(VALU_DEP_1)
	v_lshlrev_b32_e32 v2, 3, v2
	v_add_lshl_u32 v2, v2, v7, 2
	s_waitcnt lgkmcnt(0)
	v_add_f16_e32 v3, v3, v4
	s_delay_alu instid0(VALU_DEP_1) | instskip(NEXT) | instid1(VALU_DEP_1)
	v_and_b32_e32 v6, 0xffff, v3
	v_and_or_b32 v4, 0xffff0000, v4, v6
	ds_bpermute_b32 v6, v2, v4
	v_cndmask_b32_e64 v4, 0, 1, s0
	v_cmp_gt_u32_e64 s0, 30, v7
	s_delay_alu instid0(VALU_DEP_2) | instskip(NEXT) | instid1(VALU_DEP_1)
	v_lshlrev_b32_e32 v4, 2, v4
	v_add_lshl_u32 v4, v4, v7, 2
	s_waitcnt lgkmcnt(0)
	v_add_f16_e32 v3, v3, v6
	s_delay_alu instid0(VALU_DEP_1) | instskip(NEXT) | instid1(VALU_DEP_1)
	v_and_b32_e32 v8, 0xffff, v3
	v_and_or_b32 v6, 0xffff0000, v6, v8
	ds_bpermute_b32 v8, v4, v6
	v_cndmask_b32_e64 v6, 0, 1, s0
	v_cmp_ne_u32_e64 s0, 31, v7
	s_delay_alu instid0(VALU_DEP_2) | instskip(NEXT) | instid1(VALU_DEP_1)
	v_lshlrev_b32_e32 v6, 1, v6
	v_add_lshl_u32 v6, v6, v7, 2
	s_delay_alu instid0(VALU_DEP_3) | instskip(NEXT) | instid1(VALU_DEP_1)
	v_add_co_ci_u32_e64 v7, s0, 0, v7, s0
	v_lshlrev_b32_e32 v7, 2, v7
	s_waitcnt lgkmcnt(0)
	v_add_f16_e32 v3, v3, v8
	s_delay_alu instid0(VALU_DEP_1) | instskip(NEXT) | instid1(VALU_DEP_1)
	v_and_b32_e32 v9, 0xffff, v3
	v_and_or_b32 v8, 0xffff0000, v8, v9
	ds_bpermute_b32 v8, v6, v8
	s_waitcnt lgkmcnt(0)
	v_add_f16_e32 v3, v3, v8
	s_delay_alu instid0(VALU_DEP_1) | instskip(NEXT) | instid1(VALU_DEP_1)
	v_and_b32_e32 v9, 0xffff, v3
	v_and_or_b32 v8, 0xffff0000, v8, v9
	ds_bpermute_b32 v8, v7, v8
	v_cmpx_eq_u32_e32 0, v5
	s_cbranch_execz .LBB350_8
; %bb.7:
	v_lshrrev_b32_e32 v5, 4, v0
	s_waitcnt lgkmcnt(0)
	v_add_f16_e32 v3, v3, v8
	s_delay_alu instid0(VALU_DEP_2)
	v_and_b32_e32 v5, 30, v5
	ds_store_b16 v5, v3
.LBB350_8:
	s_or_b32 exec_lo, exec_lo, s1
	v_mov_b32_e32 v3, 0
	s_mov_b32 s1, exec_lo
	s_waitcnt lgkmcnt(0)
	s_barrier
	buffer_gl0_inv
	v_cmpx_gt_u32_e32 16, v0
	s_cbranch_execz .LBB350_10
; %bb.9:
	ds_load_u16 v3, v1
.LBB350_10:
	s_or_b32 exec_lo, exec_lo, s1
	s_and_saveexec_b32 s0, vcc_lo
	s_cbranch_execz .LBB350_12
; %bb.11:
	s_waitcnt lgkmcnt(0)
	v_and_b32_e32 v1, 0xffff, v3
	ds_bpermute_b32 v1, v2, v1
	s_waitcnt lgkmcnt(0)
	v_add_f16_e32 v2, v3, v1
	s_delay_alu instid0(VALU_DEP_1) | instskip(NEXT) | instid1(VALU_DEP_1)
	v_and_b32_e32 v3, 0xffff, v2
	v_and_or_b32 v1, 0xffff0000, v1, v3
	ds_bpermute_b32 v1, v4, v1
	s_waitcnt lgkmcnt(0)
	v_add_f16_e32 v2, v2, v1
	s_delay_alu instid0(VALU_DEP_1) | instskip(NEXT) | instid1(VALU_DEP_1)
	v_and_b32_e32 v3, 0xffff, v2
	v_and_or_b32 v1, 0xffff0000, v1, v3
	;; [unrolled: 6-line block ×3, first 2 shown]
	ds_bpermute_b32 v1, v7, v1
	s_waitcnt lgkmcnt(0)
	v_add_f16_e32 v3, v2, v1
.LBB350_12:
	s_or_b32 exec_lo, exec_lo, s0
	s_delay_alu instid0(SALU_CYCLE_1)
	s_mov_b32 s0, exec_lo
	v_cmpx_eq_u32_e32 0, v0
	s_cbranch_execz .LBB350_17
; %bb.13:
	s_cmp_lg_u32 s10, 1
	s_mov_b32 s15, -1
	s_cbranch_scc0 .LBB350_15
; %bb.14:
	s_mul_hi_u32 s1, s10, s2
	s_mul_i32 s0, s10, s2
	s_mov_b32 s15, 0
	s_lshl_b64 s[0:1], s[0:1], 1
	v_mov_b32_e32 v0, 0
	s_add_u32 s4, s4, s0
	s_addc_u32 s5, s5, s1
	s_lshl_b64 s[0:1], s[14:15], 1
	s_delay_alu instid0(SALU_CYCLE_1)
	s_add_u32 s0, s4, s0
	s_addc_u32 s1, s5, s1
	s_waitcnt lgkmcnt(0)
	global_store_b16 v0, v3, s[0:1]
.LBB350_15:
	s_and_not1_b32 vcc_lo, exec_lo, s15
	s_cbranch_vccnz .LBB350_17
; %bb.16:
	s_waitcnt lgkmcnt(0)
	v_cvt_f32_f16_e32 v0, v3
	s_lshl_b64 s[0:1], s[2:3], 2
	v_mov_b32_e32 v1, 0
	s_add_u32 s0, s6, s0
	s_addc_u32 s1, s7, s1
	global_store_b32 v1, v0, s[0:1]
.LBB350_17:
	s_nop 0
	s_sendmsg sendmsg(MSG_DEALLOC_VGPRS)
	s_endpgm
	.section	.rodata,"a",@progbits
	.p2align	6, 0x0
	.amdhsa_kernel _ZL24rocblas_dot_kernel_magsqIlLb0ELi512ELi4ELb0EfPKDF16_DF16_EviT5_lT_liPT6_PT4_
		.amdhsa_group_segment_fixed_size 64
		.amdhsa_private_segment_fixed_size 0
		.amdhsa_kernarg_size 320
		.amdhsa_user_sgpr_count 14
		.amdhsa_user_sgpr_dispatch_ptr 0
		.amdhsa_user_sgpr_queue_ptr 0
		.amdhsa_user_sgpr_kernarg_segment_ptr 1
		.amdhsa_user_sgpr_dispatch_id 0
		.amdhsa_user_sgpr_private_segment_size 0
		.amdhsa_wavefront_size32 1
		.amdhsa_uses_dynamic_stack 0
		.amdhsa_enable_private_segment 0
		.amdhsa_system_sgpr_workgroup_id_x 1
		.amdhsa_system_sgpr_workgroup_id_y 0
		.amdhsa_system_sgpr_workgroup_id_z 1
		.amdhsa_system_sgpr_workgroup_info 0
		.amdhsa_system_vgpr_workitem_id 0
		.amdhsa_next_free_vgpr 10
		.amdhsa_next_free_sgpr 22
		.amdhsa_reserve_vcc 1
		.amdhsa_float_round_mode_32 0
		.amdhsa_float_round_mode_16_64 0
		.amdhsa_float_denorm_mode_32 3
		.amdhsa_float_denorm_mode_16_64 3
		.amdhsa_dx10_clamp 1
		.amdhsa_ieee_mode 1
		.amdhsa_fp16_overflow 0
		.amdhsa_workgroup_processor_mode 1
		.amdhsa_memory_ordered 1
		.amdhsa_forward_progress 0
		.amdhsa_shared_vgpr_count 0
		.amdhsa_exception_fp_ieee_invalid_op 0
		.amdhsa_exception_fp_denorm_src 0
		.amdhsa_exception_fp_ieee_div_zero 0
		.amdhsa_exception_fp_ieee_overflow 0
		.amdhsa_exception_fp_ieee_underflow 0
		.amdhsa_exception_fp_ieee_inexact 0
		.amdhsa_exception_int_div_zero 0
	.end_amdhsa_kernel
	.section	.text._ZL24rocblas_dot_kernel_magsqIlLb0ELi512ELi4ELb0EfPKDF16_DF16_EviT5_lT_liPT6_PT4_,"axG",@progbits,_ZL24rocblas_dot_kernel_magsqIlLb0ELi512ELi4ELb0EfPKDF16_DF16_EviT5_lT_liPT6_PT4_,comdat
.Lfunc_end350:
	.size	_ZL24rocblas_dot_kernel_magsqIlLb0ELi512ELi4ELb0EfPKDF16_DF16_EviT5_lT_liPT6_PT4_, .Lfunc_end350-_ZL24rocblas_dot_kernel_magsqIlLb0ELi512ELi4ELb0EfPKDF16_DF16_EviT5_lT_liPT6_PT4_
                                        ; -- End function
	.section	.AMDGPU.csdata,"",@progbits
; Kernel info:
; codeLenInByte = 1120
; NumSgprs: 24
; NumVgprs: 10
; ScratchSize: 0
; MemoryBound: 0
; FloatMode: 240
; IeeeMode: 1
; LDSByteSize: 64 bytes/workgroup (compile time only)
; SGPRBlocks: 2
; VGPRBlocks: 1
; NumSGPRsForWavesPerEU: 24
; NumVGPRsForWavesPerEU: 10
; Occupancy: 16
; WaveLimiterHint : 0
; COMPUTE_PGM_RSRC2:SCRATCH_EN: 0
; COMPUTE_PGM_RSRC2:USER_SGPR: 14
; COMPUTE_PGM_RSRC2:TRAP_HANDLER: 0
; COMPUTE_PGM_RSRC2:TGID_X_EN: 1
; COMPUTE_PGM_RSRC2:TGID_Y_EN: 0
; COMPUTE_PGM_RSRC2:TGID_Z_EN: 1
; COMPUTE_PGM_RSRC2:TIDIG_COMP_CNT: 0
	.section	.text._ZL28rocblas_dot_batched_4_kernelIlLi32ELi4ELb0EDF16_fPKPKDF16_EviT5_lT_lS4_lS5_liPT4_,"axG",@progbits,_ZL28rocblas_dot_batched_4_kernelIlLi32ELi4ELb0EDF16_fPKPKDF16_EviT5_lT_lS4_lS5_liPT4_,comdat
	.globl	_ZL28rocblas_dot_batched_4_kernelIlLi32ELi4ELb0EDF16_fPKPKDF16_EviT5_lT_lS4_lS5_liPT4_ ; -- Begin function _ZL28rocblas_dot_batched_4_kernelIlLi32ELi4ELb0EDF16_fPKPKDF16_EviT5_lT_lS4_lS5_liPT4_
	.p2align	8
	.type	_ZL28rocblas_dot_batched_4_kernelIlLi32ELi4ELb0EDF16_fPKPKDF16_EviT5_lT_lS4_lS5_liPT4_,@function
_ZL28rocblas_dot_batched_4_kernelIlLi32ELi4ELb0EDF16_fPKPKDF16_EviT5_lT_lS4_lS5_liPT4_: ; @_ZL28rocblas_dot_batched_4_kernelIlLi32ELi4ELb0EDF16_fPKPKDF16_EviT5_lT_lS4_lS5_liPT4_
; %bb.0:
	s_load_b32 s2, s[0:1], 0x48
	v_bfe_u32 v1, v0, 10, 10
	s_delay_alu instid0(VALU_DEP_1) | instskip(SKIP_1) | instid1(VALU_DEP_1)
	v_lshl_add_u32 v1, s15, 2, v1
	s_waitcnt lgkmcnt(0)
	v_cmp_gt_u32_e32 vcc_lo, s2, v1
	s_and_saveexec_b32 s2, vcc_lo
	s_cbranch_execz .LBB351_7
; %bb.1:
	s_clause 0x1
	s_load_b32 s10, s[0:1], 0x0
	s_load_b64 s[8:9], s[0:1], 0x50
	v_mov_b32_e32 v2, 0
	v_and_b32_e32 v0, 0x3ff, v0
	s_mov_b32 s11, exec_lo
	s_delay_alu instid0(VALU_DEP_2) | instskip(SKIP_1) | instid1(VALU_DEP_2)
	v_mov_b32_e32 v7, v2
	s_waitcnt lgkmcnt(0)
	v_cmpx_gt_i32_e64 s10, v0
	s_cbranch_execz .LBB351_5
; %bb.2:
	s_clause 0x1
	s_load_b64 s[12:13], s[0:1], 0x8
	s_load_b64 s[14:15], s[0:1], 0x28
	v_lshlrev_b64 v[3:4], 3, v[1:2]
	s_clause 0x1
	s_load_b128 s[4:7], s[0:1], 0x10
	s_load_b128 s[0:3], s[0:1], 0x30
	s_waitcnt lgkmcnt(0)
	s_delay_alu instid0(VALU_DEP_1)
	v_add_co_u32 v5, vcc_lo, s12, v3
	v_add_co_ci_u32_e32 v6, vcc_lo, s13, v4, vcc_lo
	v_add_co_u32 v3, vcc_lo, s14, v3
	v_add_co_ci_u32_e32 v4, vcc_lo, s15, v4, vcc_lo
	v_mad_u64_u32 v[10:11], null, s2, v0, 0
	global_load_b64 v[5:6], v[5:6], off
	global_load_b64 v[8:9], v[3:4], off
	v_mad_u64_u32 v[3:4], null, s6, v0, 0
	s_lshl_b64 s[4:5], s[4:5], 1
	s_lshl_b64 s[0:1], s[0:1], 1
	v_mov_b32_e32 v7, v11
	s_waitcnt vmcnt(1)
	s_delay_alu instid0(VALU_DEP_2) | instskip(SKIP_1) | instid1(VALU_DEP_2)
	v_mad_u64_u32 v[11:12], null, s7, v0, v[4:5]
	s_waitcnt vmcnt(0)
	v_mad_u64_u32 v[12:13], null, s3, v0, v[7:8]
	v_mov_b32_e32 v7, 0
	s_lshl_b64 s[2:3], s[2:3], 6
	s_delay_alu instid0(VALU_DEP_2) | instskip(NEXT) | instid1(VALU_DEP_1)
	v_dual_mov_b32 v4, v11 :: v_dual_mov_b32 v11, v12
	v_lshlrev_b64 v[3:4], 1, v[3:4]
	s_delay_alu instid0(VALU_DEP_2) | instskip(NEXT) | instid1(VALU_DEP_2)
	v_lshlrev_b64 v[10:11], 1, v[10:11]
	v_add_co_u32 v3, vcc_lo, v3, s4
	s_delay_alu instid0(VALU_DEP_3) | instskip(NEXT) | instid1(VALU_DEP_3)
	v_add_co_ci_u32_e32 v4, vcc_lo, s5, v4, vcc_lo
	v_add_co_u32 v10, vcc_lo, v10, s0
	s_delay_alu instid0(VALU_DEP_4) | instskip(NEXT) | instid1(VALU_DEP_4)
	v_add_co_ci_u32_e32 v11, vcc_lo, s1, v11, vcc_lo
	v_add_co_u32 v3, vcc_lo, v5, v3
	s_delay_alu instid0(VALU_DEP_4) | instskip(NEXT) | instid1(VALU_DEP_4)
	v_add_co_ci_u32_e32 v4, vcc_lo, v6, v4, vcc_lo
	v_add_co_u32 v5, vcc_lo, v8, v10
	s_delay_alu instid0(VALU_DEP_4)
	v_add_co_ci_u32_e32 v6, vcc_lo, v9, v11, vcc_lo
	v_mov_b32_e32 v8, v0
	s_lshl_b64 s[4:5], s[6:7], 6
	s_mov_b32 s1, 0
	.p2align	6
.LBB351_3:                              ; =>This Inner Loop Header: Depth=1
	global_load_u16 v9, v[3:4], off
	global_load_u16 v10, v[5:6], off
	v_add_nc_u32_e32 v8, 32, v8
	v_add_co_u32 v3, vcc_lo, v3, s4
	v_add_co_ci_u32_e32 v4, vcc_lo, s5, v4, vcc_lo
	v_add_co_u32 v5, vcc_lo, v5, s2
	s_delay_alu instid0(VALU_DEP_4) | instskip(SKIP_1) | instid1(VALU_DEP_2)
	v_cmp_le_i32_e64 s0, s10, v8
	v_add_co_ci_u32_e32 v6, vcc_lo, s3, v6, vcc_lo
	s_or_b32 s1, s0, s1
	s_waitcnt vmcnt(0)
	v_fmac_f16_e32 v7, v9, v10
	s_and_not1_b32 exec_lo, exec_lo, s1
	s_cbranch_execnz .LBB351_3
; %bb.4:
	s_or_b32 exec_lo, exec_lo, s1
.LBB351_5:
	s_delay_alu instid0(SALU_CYCLE_1)
	s_or_b32 exec_lo, exec_lo, s11
	v_mbcnt_lo_u32_b32 v4, -1, 0
	v_and_b32_e32 v5, 0xffff, v7
	s_barrier
	buffer_gl0_inv
	v_cmp_gt_u32_e32 vcc_lo, 16, v4
	v_cndmask_b32_e64 v3, 0, 1, vcc_lo
	v_cmp_gt_u32_e32 vcc_lo, 24, v4
	s_delay_alu instid0(VALU_DEP_2) | instskip(NEXT) | instid1(VALU_DEP_1)
	v_lshlrev_b32_e32 v3, 4, v3
	v_add_lshl_u32 v3, v3, v4, 2
	ds_bpermute_b32 v3, v3, v5
	v_cndmask_b32_e64 v5, 0, 1, vcc_lo
	v_cmp_gt_u32_e32 vcc_lo, 28, v4
	s_delay_alu instid0(VALU_DEP_2) | instskip(NEXT) | instid1(VALU_DEP_1)
	v_lshlrev_b32_e32 v5, 3, v5
	v_add_lshl_u32 v5, v5, v4, 2
	s_waitcnt lgkmcnt(0)
	v_add_f16_e32 v6, v7, v3
	s_delay_alu instid0(VALU_DEP_1) | instskip(NEXT) | instid1(VALU_DEP_1)
	v_and_b32_e32 v7, 0xffff, v6
	v_and_or_b32 v3, 0xffff0000, v3, v7
	ds_bpermute_b32 v3, v5, v3
	v_cndmask_b32_e64 v5, 0, 1, vcc_lo
	v_cmp_gt_u32_e32 vcc_lo, 30, v4
	s_delay_alu instid0(VALU_DEP_2) | instskip(NEXT) | instid1(VALU_DEP_1)
	v_lshlrev_b32_e32 v5, 2, v5
	v_add_lshl_u32 v5, v5, v4, 2
	s_waitcnt lgkmcnt(0)
	v_add_f16_e32 v6, v6, v3
	s_delay_alu instid0(VALU_DEP_1) | instskip(NEXT) | instid1(VALU_DEP_1)
	v_and_b32_e32 v7, 0xffff, v6
	v_and_or_b32 v3, 0xffff0000, v3, v7
	ds_bpermute_b32 v3, v5, v3
	v_cndmask_b32_e64 v5, 0, 1, vcc_lo
	v_cmp_ne_u32_e32 vcc_lo, 31, v4
	s_delay_alu instid0(VALU_DEP_2) | instskip(NEXT) | instid1(VALU_DEP_1)
	v_lshlrev_b32_e32 v5, 1, v5
	v_add_lshl_u32 v5, v5, v4, 2
	v_add_co_ci_u32_e32 v4, vcc_lo, 0, v4, vcc_lo
	v_cmp_eq_u32_e32 vcc_lo, 0, v0
	s_delay_alu instid0(VALU_DEP_2) | instskip(SKIP_2) | instid1(VALU_DEP_1)
	v_lshlrev_b32_e32 v4, 2, v4
	s_waitcnt lgkmcnt(0)
	v_add_f16_e32 v6, v6, v3
	v_and_b32_e32 v7, 0xffff, v6
	s_delay_alu instid0(VALU_DEP_1) | instskip(SKIP_3) | instid1(VALU_DEP_1)
	v_and_or_b32 v3, 0xffff0000, v3, v7
	ds_bpermute_b32 v5, v5, v3
	s_waitcnt lgkmcnt(0)
	v_add_f16_e32 v3, v6, v5
	v_and_b32_e32 v6, 0xffff, v3
	s_delay_alu instid0(VALU_DEP_1)
	v_and_or_b32 v5, 0xffff0000, v5, v6
	ds_bpermute_b32 v4, v4, v5
	s_and_b32 exec_lo, exec_lo, vcc_lo
	s_cbranch_execz .LBB351_7
; %bb.6:
	v_lshlrev_b64 v[0:1], 2, v[1:2]
	s_waitcnt lgkmcnt(0)
	v_add_f16_e32 v2, v3, v4
	s_delay_alu instid0(VALU_DEP_1) | instskip(NEXT) | instid1(VALU_DEP_3)
	v_cvt_f32_f16_e32 v2, v2
	v_add_co_u32 v0, vcc_lo, s8, v0
	s_delay_alu instid0(VALU_DEP_4)
	v_add_co_ci_u32_e32 v1, vcc_lo, s9, v1, vcc_lo
	global_store_b32 v[0:1], v2, off
.LBB351_7:
	s_nop 0
	s_sendmsg sendmsg(MSG_DEALLOC_VGPRS)
	s_endpgm
	.section	.rodata,"a",@progbits
	.p2align	6, 0x0
	.amdhsa_kernel _ZL28rocblas_dot_batched_4_kernelIlLi32ELi4ELb0EDF16_fPKPKDF16_EviT5_lT_lS4_lS5_liPT4_
		.amdhsa_group_segment_fixed_size 0
		.amdhsa_private_segment_fixed_size 0
		.amdhsa_kernarg_size 88
		.amdhsa_user_sgpr_count 15
		.amdhsa_user_sgpr_dispatch_ptr 0
		.amdhsa_user_sgpr_queue_ptr 0
		.amdhsa_user_sgpr_kernarg_segment_ptr 1
		.amdhsa_user_sgpr_dispatch_id 0
		.amdhsa_user_sgpr_private_segment_size 0
		.amdhsa_wavefront_size32 1
		.amdhsa_uses_dynamic_stack 0
		.amdhsa_enable_private_segment 0
		.amdhsa_system_sgpr_workgroup_id_x 1
		.amdhsa_system_sgpr_workgroup_id_y 0
		.amdhsa_system_sgpr_workgroup_id_z 0
		.amdhsa_system_sgpr_workgroup_info 0
		.amdhsa_system_vgpr_workitem_id 1
		.amdhsa_next_free_vgpr 14
		.amdhsa_next_free_sgpr 16
		.amdhsa_reserve_vcc 1
		.amdhsa_float_round_mode_32 0
		.amdhsa_float_round_mode_16_64 0
		.amdhsa_float_denorm_mode_32 3
		.amdhsa_float_denorm_mode_16_64 3
		.amdhsa_dx10_clamp 1
		.amdhsa_ieee_mode 1
		.amdhsa_fp16_overflow 0
		.amdhsa_workgroup_processor_mode 1
		.amdhsa_memory_ordered 1
		.amdhsa_forward_progress 0
		.amdhsa_shared_vgpr_count 0
		.amdhsa_exception_fp_ieee_invalid_op 0
		.amdhsa_exception_fp_denorm_src 0
		.amdhsa_exception_fp_ieee_div_zero 0
		.amdhsa_exception_fp_ieee_overflow 0
		.amdhsa_exception_fp_ieee_underflow 0
		.amdhsa_exception_fp_ieee_inexact 0
		.amdhsa_exception_int_div_zero 0
	.end_amdhsa_kernel
	.section	.text._ZL28rocblas_dot_batched_4_kernelIlLi32ELi4ELb0EDF16_fPKPKDF16_EviT5_lT_lS4_lS5_liPT4_,"axG",@progbits,_ZL28rocblas_dot_batched_4_kernelIlLi32ELi4ELb0EDF16_fPKPKDF16_EviT5_lT_lS4_lS5_liPT4_,comdat
.Lfunc_end351:
	.size	_ZL28rocblas_dot_batched_4_kernelIlLi32ELi4ELb0EDF16_fPKPKDF16_EviT5_lT_lS4_lS5_liPT4_, .Lfunc_end351-_ZL28rocblas_dot_batched_4_kernelIlLi32ELi4ELb0EDF16_fPKPKDF16_EviT5_lT_lS4_lS5_liPT4_
                                        ; -- End function
	.section	.AMDGPU.csdata,"",@progbits
; Kernel info:
; codeLenInByte = 856
; NumSgprs: 18
; NumVgprs: 14
; ScratchSize: 0
; MemoryBound: 0
; FloatMode: 240
; IeeeMode: 1
; LDSByteSize: 0 bytes/workgroup (compile time only)
; SGPRBlocks: 2
; VGPRBlocks: 1
; NumSGPRsForWavesPerEU: 18
; NumVGPRsForWavesPerEU: 14
; Occupancy: 16
; WaveLimiterHint : 0
; COMPUTE_PGM_RSRC2:SCRATCH_EN: 0
; COMPUTE_PGM_RSRC2:USER_SGPR: 15
; COMPUTE_PGM_RSRC2:TRAP_HANDLER: 0
; COMPUTE_PGM_RSRC2:TGID_X_EN: 1
; COMPUTE_PGM_RSRC2:TGID_Y_EN: 0
; COMPUTE_PGM_RSRC2:TGID_Z_EN: 0
; COMPUTE_PGM_RSRC2:TIDIG_COMP_CNT: 1
	.section	.text._ZL28rocblas_dot_batched_4_kernelIlLi64ELi4ELb0EDF16_fPKPKDF16_EviT5_lT_lS4_lS5_liPT4_,"axG",@progbits,_ZL28rocblas_dot_batched_4_kernelIlLi64ELi4ELb0EDF16_fPKPKDF16_EviT5_lT_lS4_lS5_liPT4_,comdat
	.globl	_ZL28rocblas_dot_batched_4_kernelIlLi64ELi4ELb0EDF16_fPKPKDF16_EviT5_lT_lS4_lS5_liPT4_ ; -- Begin function _ZL28rocblas_dot_batched_4_kernelIlLi64ELi4ELb0EDF16_fPKPKDF16_EviT5_lT_lS4_lS5_liPT4_
	.p2align	8
	.type	_ZL28rocblas_dot_batched_4_kernelIlLi64ELi4ELb0EDF16_fPKPKDF16_EviT5_lT_lS4_lS5_liPT4_,@function
_ZL28rocblas_dot_batched_4_kernelIlLi64ELi4ELb0EDF16_fPKPKDF16_EviT5_lT_lS4_lS5_liPT4_: ; @_ZL28rocblas_dot_batched_4_kernelIlLi64ELi4ELb0EDF16_fPKPKDF16_EviT5_lT_lS4_lS5_liPT4_
; %bb.0:
	s_load_b32 s2, s[0:1], 0x48
	v_bfe_u32 v1, v0, 10, 10
	s_delay_alu instid0(VALU_DEP_1) | instskip(SKIP_1) | instid1(VALU_DEP_1)
	v_lshl_add_u32 v1, s15, 2, v1
	s_waitcnt lgkmcnt(0)
	v_cmp_gt_u32_e32 vcc_lo, s2, v1
	s_and_saveexec_b32 s2, vcc_lo
	s_cbranch_execz .LBB352_7
; %bb.1:
	s_clause 0x1
	s_load_b32 s10, s[0:1], 0x0
	s_load_b64 s[8:9], s[0:1], 0x50
	v_mov_b32_e32 v2, 0
	v_and_b32_e32 v0, 0x3ff, v0
	s_mov_b32 s11, exec_lo
	s_delay_alu instid0(VALU_DEP_2) | instskip(SKIP_1) | instid1(VALU_DEP_2)
	v_mov_b32_e32 v7, v2
	s_waitcnt lgkmcnt(0)
	v_cmpx_gt_i32_e64 s10, v0
	s_cbranch_execz .LBB352_5
; %bb.2:
	s_clause 0x1
	s_load_b64 s[12:13], s[0:1], 0x8
	s_load_b64 s[14:15], s[0:1], 0x28
	v_lshlrev_b64 v[3:4], 3, v[1:2]
	s_clause 0x1
	s_load_b128 s[4:7], s[0:1], 0x10
	s_load_b128 s[0:3], s[0:1], 0x30
	s_waitcnt lgkmcnt(0)
	s_delay_alu instid0(VALU_DEP_1)
	v_add_co_u32 v5, vcc_lo, s12, v3
	v_add_co_ci_u32_e32 v6, vcc_lo, s13, v4, vcc_lo
	v_add_co_u32 v3, vcc_lo, s14, v3
	v_add_co_ci_u32_e32 v4, vcc_lo, s15, v4, vcc_lo
	v_mad_u64_u32 v[10:11], null, s2, v0, 0
	global_load_b64 v[5:6], v[5:6], off
	global_load_b64 v[8:9], v[3:4], off
	v_mad_u64_u32 v[3:4], null, s6, v0, 0
	s_lshl_b64 s[4:5], s[4:5], 1
	s_lshl_b64 s[0:1], s[0:1], 1
	v_mov_b32_e32 v7, v11
	s_waitcnt vmcnt(1)
	s_delay_alu instid0(VALU_DEP_2) | instskip(SKIP_1) | instid1(VALU_DEP_2)
	v_mad_u64_u32 v[11:12], null, s7, v0, v[4:5]
	s_waitcnt vmcnt(0)
	v_mad_u64_u32 v[12:13], null, s3, v0, v[7:8]
	v_mov_b32_e32 v7, 0
	s_lshl_b64 s[2:3], s[2:3], 7
	s_delay_alu instid0(VALU_DEP_2) | instskip(NEXT) | instid1(VALU_DEP_1)
	v_dual_mov_b32 v4, v11 :: v_dual_mov_b32 v11, v12
	v_lshlrev_b64 v[3:4], 1, v[3:4]
	s_delay_alu instid0(VALU_DEP_2) | instskip(NEXT) | instid1(VALU_DEP_2)
	v_lshlrev_b64 v[10:11], 1, v[10:11]
	v_add_co_u32 v3, vcc_lo, v3, s4
	s_delay_alu instid0(VALU_DEP_3) | instskip(NEXT) | instid1(VALU_DEP_3)
	v_add_co_ci_u32_e32 v4, vcc_lo, s5, v4, vcc_lo
	v_add_co_u32 v10, vcc_lo, v10, s0
	s_delay_alu instid0(VALU_DEP_4) | instskip(NEXT) | instid1(VALU_DEP_4)
	v_add_co_ci_u32_e32 v11, vcc_lo, s1, v11, vcc_lo
	v_add_co_u32 v3, vcc_lo, v5, v3
	s_delay_alu instid0(VALU_DEP_4) | instskip(NEXT) | instid1(VALU_DEP_4)
	v_add_co_ci_u32_e32 v4, vcc_lo, v6, v4, vcc_lo
	v_add_co_u32 v5, vcc_lo, v8, v10
	s_delay_alu instid0(VALU_DEP_4)
	v_add_co_ci_u32_e32 v6, vcc_lo, v9, v11, vcc_lo
	v_mov_b32_e32 v8, v0
	s_lshl_b64 s[4:5], s[6:7], 7
	s_mov_b32 s1, 0
	.p2align	6
.LBB352_3:                              ; =>This Inner Loop Header: Depth=1
	global_load_u16 v9, v[3:4], off
	global_load_u16 v10, v[5:6], off
	v_add_nc_u32_e32 v8, 64, v8
	v_add_co_u32 v3, vcc_lo, v3, s4
	v_add_co_ci_u32_e32 v4, vcc_lo, s5, v4, vcc_lo
	v_add_co_u32 v5, vcc_lo, v5, s2
	s_delay_alu instid0(VALU_DEP_4) | instskip(SKIP_1) | instid1(VALU_DEP_2)
	v_cmp_le_i32_e64 s0, s10, v8
	v_add_co_ci_u32_e32 v6, vcc_lo, s3, v6, vcc_lo
	s_or_b32 s1, s0, s1
	s_waitcnt vmcnt(0)
	v_fmac_f16_e32 v7, v9, v10
	s_and_not1_b32 exec_lo, exec_lo, s1
	s_cbranch_execnz .LBB352_3
; %bb.4:
	s_or_b32 exec_lo, exec_lo, s1
.LBB352_5:
	s_delay_alu instid0(SALU_CYCLE_1)
	s_or_b32 exec_lo, exec_lo, s11
	v_mbcnt_lo_u32_b32 v4, -1, 0
	v_and_b32_e32 v3, 0xffff, v7
	s_barrier
	buffer_gl0_inv
	v_lshlrev_b32_e32 v5, 2, v4
	v_cmp_gt_u32_e32 vcc_lo, 16, v4
	ds_bpermute_b32 v3, v5, v3
	v_cndmask_b32_e64 v5, 0, 1, vcc_lo
	v_cmp_gt_u32_e32 vcc_lo, 24, v4
	s_delay_alu instid0(VALU_DEP_2) | instskip(NEXT) | instid1(VALU_DEP_1)
	v_lshlrev_b32_e32 v5, 4, v5
	v_add_lshl_u32 v5, v5, v4, 2
	s_waitcnt lgkmcnt(0)
	v_add_f16_e32 v6, v7, v3
	s_delay_alu instid0(VALU_DEP_1) | instskip(NEXT) | instid1(VALU_DEP_1)
	v_and_b32_e32 v7, 0xffff, v6
	v_and_or_b32 v3, 0xffff0000, v3, v7
	ds_bpermute_b32 v3, v5, v3
	v_cndmask_b32_e64 v5, 0, 1, vcc_lo
	v_cmp_gt_u32_e32 vcc_lo, 28, v4
	s_delay_alu instid0(VALU_DEP_2) | instskip(NEXT) | instid1(VALU_DEP_1)
	v_lshlrev_b32_e32 v5, 3, v5
	v_add_lshl_u32 v5, v5, v4, 2
	s_waitcnt lgkmcnt(0)
	v_add_f16_e32 v6, v6, v3
	s_delay_alu instid0(VALU_DEP_1) | instskip(NEXT) | instid1(VALU_DEP_1)
	v_and_b32_e32 v7, 0xffff, v6
	v_and_or_b32 v3, 0xffff0000, v3, v7
	;; [unrolled: 11-line block ×3, first 2 shown]
	ds_bpermute_b32 v3, v5, v3
	v_cndmask_b32_e64 v5, 0, 1, vcc_lo
	v_cmp_ne_u32_e32 vcc_lo, 31, v4
	s_delay_alu instid0(VALU_DEP_2) | instskip(NEXT) | instid1(VALU_DEP_1)
	v_lshlrev_b32_e32 v5, 1, v5
	v_add_lshl_u32 v5, v5, v4, 2
	v_add_co_ci_u32_e32 v4, vcc_lo, 0, v4, vcc_lo
	v_cmp_eq_u32_e32 vcc_lo, 0, v0
	s_delay_alu instid0(VALU_DEP_2) | instskip(SKIP_2) | instid1(VALU_DEP_1)
	v_lshlrev_b32_e32 v4, 2, v4
	s_waitcnt lgkmcnt(0)
	v_add_f16_e32 v6, v6, v3
	v_and_b32_e32 v7, 0xffff, v6
	s_delay_alu instid0(VALU_DEP_1) | instskip(SKIP_3) | instid1(VALU_DEP_1)
	v_and_or_b32 v3, 0xffff0000, v3, v7
	ds_bpermute_b32 v5, v5, v3
	s_waitcnt lgkmcnt(0)
	v_add_f16_e32 v3, v6, v5
	v_and_b32_e32 v6, 0xffff, v3
	s_delay_alu instid0(VALU_DEP_1)
	v_and_or_b32 v5, 0xffff0000, v5, v6
	ds_bpermute_b32 v4, v4, v5
	s_and_b32 exec_lo, exec_lo, vcc_lo
	s_cbranch_execz .LBB352_7
; %bb.6:
	v_lshlrev_b64 v[0:1], 2, v[1:2]
	s_waitcnt lgkmcnt(0)
	v_add_f16_e32 v2, v3, v4
	s_delay_alu instid0(VALU_DEP_1) | instskip(NEXT) | instid1(VALU_DEP_3)
	v_cvt_f32_f16_e32 v2, v2
	v_add_co_u32 v0, vcc_lo, s8, v0
	s_delay_alu instid0(VALU_DEP_4)
	v_add_co_ci_u32_e32 v1, vcc_lo, s9, v1, vcc_lo
	global_store_b32 v[0:1], v2, off
.LBB352_7:
	s_nop 0
	s_sendmsg sendmsg(MSG_DEALLOC_VGPRS)
	s_endpgm
	.section	.rodata,"a",@progbits
	.p2align	6, 0x0
	.amdhsa_kernel _ZL28rocblas_dot_batched_4_kernelIlLi64ELi4ELb0EDF16_fPKPKDF16_EviT5_lT_lS4_lS5_liPT4_
		.amdhsa_group_segment_fixed_size 0
		.amdhsa_private_segment_fixed_size 0
		.amdhsa_kernarg_size 88
		.amdhsa_user_sgpr_count 15
		.amdhsa_user_sgpr_dispatch_ptr 0
		.amdhsa_user_sgpr_queue_ptr 0
		.amdhsa_user_sgpr_kernarg_segment_ptr 1
		.amdhsa_user_sgpr_dispatch_id 0
		.amdhsa_user_sgpr_private_segment_size 0
		.amdhsa_wavefront_size32 1
		.amdhsa_uses_dynamic_stack 0
		.amdhsa_enable_private_segment 0
		.amdhsa_system_sgpr_workgroup_id_x 1
		.amdhsa_system_sgpr_workgroup_id_y 0
		.amdhsa_system_sgpr_workgroup_id_z 0
		.amdhsa_system_sgpr_workgroup_info 0
		.amdhsa_system_vgpr_workitem_id 1
		.amdhsa_next_free_vgpr 14
		.amdhsa_next_free_sgpr 16
		.amdhsa_reserve_vcc 1
		.amdhsa_float_round_mode_32 0
		.amdhsa_float_round_mode_16_64 0
		.amdhsa_float_denorm_mode_32 3
		.amdhsa_float_denorm_mode_16_64 3
		.amdhsa_dx10_clamp 1
		.amdhsa_ieee_mode 1
		.amdhsa_fp16_overflow 0
		.amdhsa_workgroup_processor_mode 1
		.amdhsa_memory_ordered 1
		.amdhsa_forward_progress 0
		.amdhsa_shared_vgpr_count 0
		.amdhsa_exception_fp_ieee_invalid_op 0
		.amdhsa_exception_fp_denorm_src 0
		.amdhsa_exception_fp_ieee_div_zero 0
		.amdhsa_exception_fp_ieee_overflow 0
		.amdhsa_exception_fp_ieee_underflow 0
		.amdhsa_exception_fp_ieee_inexact 0
		.amdhsa_exception_int_div_zero 0
	.end_amdhsa_kernel
	.section	.text._ZL28rocblas_dot_batched_4_kernelIlLi64ELi4ELb0EDF16_fPKPKDF16_EviT5_lT_lS4_lS5_liPT4_,"axG",@progbits,_ZL28rocblas_dot_batched_4_kernelIlLi64ELi4ELb0EDF16_fPKPKDF16_EviT5_lT_lS4_lS5_liPT4_,comdat
.Lfunc_end352:
	.size	_ZL28rocblas_dot_batched_4_kernelIlLi64ELi4ELb0EDF16_fPKPKDF16_EviT5_lT_lS4_lS5_liPT4_, .Lfunc_end352-_ZL28rocblas_dot_batched_4_kernelIlLi64ELi4ELb0EDF16_fPKPKDF16_EviT5_lT_lS4_lS5_liPT4_
                                        ; -- End function
	.section	.AMDGPU.csdata,"",@progbits
; Kernel info:
; codeLenInByte = 900
; NumSgprs: 18
; NumVgprs: 14
; ScratchSize: 0
; MemoryBound: 0
; FloatMode: 240
; IeeeMode: 1
; LDSByteSize: 0 bytes/workgroup (compile time only)
; SGPRBlocks: 2
; VGPRBlocks: 1
; NumSGPRsForWavesPerEU: 18
; NumVGPRsForWavesPerEU: 14
; Occupancy: 16
; WaveLimiterHint : 0
; COMPUTE_PGM_RSRC2:SCRATCH_EN: 0
; COMPUTE_PGM_RSRC2:USER_SGPR: 15
; COMPUTE_PGM_RSRC2:TRAP_HANDLER: 0
; COMPUTE_PGM_RSRC2:TGID_X_EN: 1
; COMPUTE_PGM_RSRC2:TGID_Y_EN: 0
; COMPUTE_PGM_RSRC2:TGID_Z_EN: 0
; COMPUTE_PGM_RSRC2:TIDIG_COMP_CNT: 1
	.section	.text._ZL26rocblas_dot_kernel_inc1by2ILb1ELi1024ELi32ELb0EfPKPKDF16_DF16_EviT4_llS4_lliPT5_PT3_,"axG",@progbits,_ZL26rocblas_dot_kernel_inc1by2ILb1ELi1024ELi32ELb0EfPKPKDF16_DF16_EviT4_llS4_lliPT5_PT3_,comdat
	.globl	_ZL26rocblas_dot_kernel_inc1by2ILb1ELi1024ELi32ELb0EfPKPKDF16_DF16_EviT4_llS4_lliPT5_PT3_ ; -- Begin function _ZL26rocblas_dot_kernel_inc1by2ILb1ELi1024ELi32ELb0EfPKPKDF16_DF16_EviT4_llS4_lliPT5_PT3_
	.p2align	8
	.type	_ZL26rocblas_dot_kernel_inc1by2ILb1ELi1024ELi32ELb0EfPKPKDF16_DF16_EviT4_llS4_lliPT5_PT3_,@function
_ZL26rocblas_dot_kernel_inc1by2ILb1ELi1024ELi32ELb0EfPKPKDF16_DF16_EviT4_llS4_lliPT5_PT3_: ; @_ZL26rocblas_dot_kernel_inc1by2ILb1ELi1024ELi32ELb0EfPKPKDF16_DF16_EviT4_llS4_lliPT5_PT3_
; %bb.0:
	s_clause 0x1
	s_load_b128 s[8:11], s[0:1], 0x8
	s_load_b128 s[4:7], s[0:1], 0x20
	s_mov_b32 s2, s15
	s_mov_b32 s3, 0
	s_clause 0x1
	s_load_b32 s14, s[0:1], 0x0
	s_load_b64 s[12:13], s[0:1], 0x48
	s_lshl_b64 s[16:17], s[2:3], 3
	v_dual_mov_b32 v5, 0 :: v_dual_lshlrev_b32 v6, 1, v0
	s_waitcnt lgkmcnt(0)
	s_add_u32 s0, s8, s16
	s_addc_u32 s1, s9, s17
	s_add_u32 s4, s4, s16
	s_addc_u32 s5, s5, s17
	s_load_b64 s[8:9], s[0:1], 0x0
	s_load_b64 s[4:5], s[4:5], 0x0
	s_add_i32 s0, s14, -1
	s_mov_b32 s1, exec_lo
	v_cmpx_gt_i32_e64 s0, v6
	s_cbranch_execz .LBB353_4
; %bb.1:
	v_lshlrev_b32_e32 v3, 2, v0
	s_lshl_b64 s[16:17], s[6:7], 1
	v_mov_b32_e32 v5, 0
	s_waitcnt lgkmcnt(0)
	s_add_u32 s15, s4, s16
	s_addc_u32 s18, s5, s17
	s_lshl_b64 s[16:17], s[10:11], 1
	v_add_co_u32 v1, s15, s15, v3
	s_delay_alu instid0(VALU_DEP_1) | instskip(SKIP_3) | instid1(VALU_DEP_1)
	v_add_co_ci_u32_e64 v2, null, s18, 0, s15
	s_add_u32 s15, s8, s16
	s_addc_u32 s16, s9, s17
	v_add_co_u32 v3, s15, s15, v3
	v_add_co_ci_u32_e64 v4, null, s16, 0, s15
	s_mov_b32 s15, s3
	s_mov_b32 s16, s3
	.p2align	6
.LBB353_2:                              ; =>This Inner Loop Header: Depth=1
	global_load_b32 v7, v[1:2], off
	global_load_b32 v8, v[3:4], off
	v_add_co_u32 v1, vcc_lo, 0x1000, v1
	v_add_nc_u32_e32 v6, 0x800, v6
	v_add_co_ci_u32_e32 v2, vcc_lo, 0, v2, vcc_lo
	v_add_co_u32 v3, vcc_lo, 0x1000, v3
	v_add_co_ci_u32_e32 v4, vcc_lo, 0, v4, vcc_lo
	s_add_i32 s17, s16, 1
	v_cmp_le_i32_e32 vcc_lo, s0, v6
	s_cmp_gt_u32 s16, 30
	s_cselect_b32 s16, -1, 0
	s_delay_alu instid0(SALU_CYCLE_1) | instskip(NEXT) | instid1(SALU_CYCLE_1)
	s_or_b32 s16, s16, vcc_lo
	s_and_b32 s16, exec_lo, s16
	s_delay_alu instid0(SALU_CYCLE_1) | instskip(SKIP_3) | instid1(VALU_DEP_1)
	s_or_b32 s15, s16, s15
	s_mov_b32 s16, s17
	s_waitcnt vmcnt(0)
	v_pk_mul_f16 v7, v7, v8
	v_add_f16_e32 v5, v5, v7
	v_lshrrev_b32_e32 v7, 16, v7
	s_delay_alu instid0(VALU_DEP_1)
	v_add_f16_e32 v5, v5, v7
	s_and_not1_b32 exec_lo, exec_lo, s15
	s_cbranch_execnz .LBB353_2
; %bb.3:
	s_or_b32 exec_lo, exec_lo, s15
.LBB353_4:
	s_delay_alu instid0(SALU_CYCLE_1) | instskip(SKIP_3) | instid1(SALU_CYCLE_1)
	s_or_b32 exec_lo, exec_lo, s1
	v_cmp_eq_u32_e32 vcc_lo, s0, v6
	s_bitcmp1_b32 s14, 0
	s_cselect_b32 s1, -1, 0
	s_and_b32 s1, s1, vcc_lo
	s_delay_alu instid0(SALU_CYCLE_1)
	s_and_saveexec_b32 s14, s1
	s_cbranch_execz .LBB353_6
; %bb.5:
	s_lshl_b64 s[10:11], s[10:11], 1
	s_mov_b32 s1, 0
	s_waitcnt lgkmcnt(0)
	s_add_u32 s8, s8, s10
	s_addc_u32 s9, s9, s11
	s_lshl_b64 s[6:7], s[6:7], 1
	v_mov_b32_e32 v1, 0
	s_add_u32 s6, s4, s6
	s_addc_u32 s7, s5, s7
	s_lshl_b64 s[0:1], s[0:1], 1
	s_delay_alu instid0(SALU_CYCLE_1)
	s_add_u32 s4, s8, s0
	s_addc_u32 s5, s9, s1
	s_add_u32 s0, s6, s0
	s_addc_u32 s1, s7, s1
	s_clause 0x1
	global_load_u16 v2, v1, s[0:1]
	global_load_u16 v1, v1, s[4:5]
	s_waitcnt vmcnt(0)
	v_fmac_f16_e32 v5, v2, v1
.LBB353_6:
	s_or_b32 exec_lo, exec_lo, s14
	v_and_b32_e32 v6, 31, v0
	v_cmp_gt_u32_e32 vcc_lo, 32, v0
	s_delay_alu instid0(VALU_DEP_2)
	v_lshlrev_b32_e32 v1, 1, v6
	s_and_saveexec_b32 s0, vcc_lo
	s_cbranch_execz .LBB353_8
; %bb.7:
	v_mov_b32_e32 v2, 0
	ds_store_b16 v1, v2
.LBB353_8:
	s_or_b32 exec_lo, exec_lo, s0
	v_mbcnt_lo_u32_b32 v7, -1, 0
	v_and_b32_e32 v3, 0xffff, v5
	s_mov_b32 s1, exec_lo
	s_waitcnt lgkmcnt(0)
	s_barrier
	v_cmp_gt_u32_e64 s0, 16, v7
	buffer_gl0_inv
	v_cndmask_b32_e64 v2, 0, 1, s0
	v_cmp_gt_u32_e64 s0, 24, v7
	s_delay_alu instid0(VALU_DEP_2) | instskip(NEXT) | instid1(VALU_DEP_1)
	v_lshlrev_b32_e32 v2, 4, v2
	v_add_lshl_u32 v2, v2, v7, 2
	ds_bpermute_b32 v4, v2, v3
	v_cndmask_b32_e64 v3, 0, 1, s0
	v_cmp_gt_u32_e64 s0, 28, v7
	s_delay_alu instid0(VALU_DEP_2) | instskip(NEXT) | instid1(VALU_DEP_1)
	v_lshlrev_b32_e32 v3, 3, v3
	v_add_lshl_u32 v3, v3, v7, 2
	s_waitcnt lgkmcnt(0)
	v_add_f16_e32 v5, v5, v4
	s_delay_alu instid0(VALU_DEP_1) | instskip(NEXT) | instid1(VALU_DEP_1)
	v_and_b32_e32 v8, 0xffff, v5
	v_and_or_b32 v4, 0xffff0000, v4, v8
	ds_bpermute_b32 v8, v3, v4
	v_cndmask_b32_e64 v4, 0, 1, s0
	v_cmp_gt_u32_e64 s0, 30, v7
	s_delay_alu instid0(VALU_DEP_2) | instskip(NEXT) | instid1(VALU_DEP_1)
	v_lshlrev_b32_e32 v4, 2, v4
	v_add_lshl_u32 v4, v4, v7, 2
	s_waitcnt lgkmcnt(0)
	v_add_f16_e32 v5, v5, v8
	s_delay_alu instid0(VALU_DEP_1) | instskip(NEXT) | instid1(VALU_DEP_1)
	v_and_b32_e32 v9, 0xffff, v5
	v_and_or_b32 v8, 0xffff0000, v8, v9
	v_cndmask_b32_e64 v9, 0, 1, s0
	v_cmp_ne_u32_e64 s0, 31, v7
	ds_bpermute_b32 v8, v4, v8
	s_waitcnt lgkmcnt(0)
	v_add_f16_e32 v10, v5, v8
	v_lshlrev_b32_e32 v5, 1, v9
	s_delay_alu instid0(VALU_DEP_2) | instskip(NEXT) | instid1(VALU_DEP_2)
	v_and_b32_e32 v9, 0xffff, v10
	v_add_lshl_u32 v5, v5, v7, 2
	v_add_co_ci_u32_e64 v7, s0, 0, v7, s0
	s_delay_alu instid0(VALU_DEP_3) | instskip(NEXT) | instid1(VALU_DEP_2)
	v_and_or_b32 v8, 0xffff0000, v8, v9
	v_lshlrev_b32_e32 v7, 2, v7
	ds_bpermute_b32 v9, v5, v8
	s_waitcnt lgkmcnt(0)
	v_add_f16_e32 v8, v10, v9
	s_delay_alu instid0(VALU_DEP_1) | instskip(NEXT) | instid1(VALU_DEP_1)
	v_and_b32_e32 v10, 0xffff, v8
	v_and_or_b32 v9, 0xffff0000, v9, v10
	ds_bpermute_b32 v9, v7, v9
	v_cmpx_eq_u32_e32 0, v6
	s_cbranch_execz .LBB353_10
; %bb.9:
	v_lshrrev_b32_e32 v6, 4, v0
	s_waitcnt lgkmcnt(0)
	v_add_f16_e32 v8, v8, v9
	s_delay_alu instid0(VALU_DEP_2)
	v_and_b32_e32 v6, 62, v6
	ds_store_b16 v6, v8
.LBB353_10:
	s_or_b32 exec_lo, exec_lo, s1
	v_mov_b32_e32 v6, 0
	s_waitcnt lgkmcnt(0)
	s_barrier
	buffer_gl0_inv
	s_and_saveexec_b32 s0, vcc_lo
	s_cbranch_execz .LBB353_12
; %bb.11:
	ds_load_u16 v6, v1
.LBB353_12:
	s_or_b32 exec_lo, exec_lo, s0
	s_and_saveexec_b32 s0, vcc_lo
	s_cbranch_execz .LBB353_14
; %bb.13:
	s_waitcnt lgkmcnt(0)
	v_and_b32_e32 v1, 0xffff, v6
	ds_bpermute_b32 v1, v2, v1
	s_waitcnt lgkmcnt(0)
	v_add_f16_e32 v2, v6, v1
	s_delay_alu instid0(VALU_DEP_1) | instskip(NEXT) | instid1(VALU_DEP_1)
	v_and_b32_e32 v6, 0xffff, v2
	v_and_or_b32 v1, 0xffff0000, v1, v6
	ds_bpermute_b32 v1, v3, v1
	s_waitcnt lgkmcnt(0)
	v_add_f16_e32 v2, v2, v1
	s_delay_alu instid0(VALU_DEP_1) | instskip(NEXT) | instid1(VALU_DEP_1)
	v_and_b32_e32 v3, 0xffff, v2
	v_and_or_b32 v1, 0xffff0000, v1, v3
	;; [unrolled: 6-line block ×4, first 2 shown]
	ds_bpermute_b32 v1, v7, v1
	s_waitcnt lgkmcnt(0)
	v_add_f16_e32 v6, v2, v1
.LBB353_14:
	s_or_b32 exec_lo, exec_lo, s0
	s_delay_alu instid0(SALU_CYCLE_1)
	s_mov_b32 s0, exec_lo
	v_cmpx_eq_u32_e32 0, v0
	s_cbranch_execz .LBB353_16
; %bb.15:
	s_waitcnt lgkmcnt(0)
	v_cvt_f32_f16_e32 v0, v6
	s_lshl_b64 s[0:1], s[2:3], 2
	v_mov_b32_e32 v1, 0
	s_add_u32 s0, s12, s0
	s_addc_u32 s1, s13, s1
	global_store_b32 v1, v0, s[0:1]
.LBB353_16:
	s_nop 0
	s_sendmsg sendmsg(MSG_DEALLOC_VGPRS)
	s_endpgm
	.section	.rodata,"a",@progbits
	.p2align	6, 0x0
	.amdhsa_kernel _ZL26rocblas_dot_kernel_inc1by2ILb1ELi1024ELi32ELb0EfPKPKDF16_DF16_EviT4_llS4_lliPT5_PT3_
		.amdhsa_group_segment_fixed_size 64
		.amdhsa_private_segment_fixed_size 0
		.amdhsa_kernarg_size 80
		.amdhsa_user_sgpr_count 14
		.amdhsa_user_sgpr_dispatch_ptr 0
		.amdhsa_user_sgpr_queue_ptr 0
		.amdhsa_user_sgpr_kernarg_segment_ptr 1
		.amdhsa_user_sgpr_dispatch_id 0
		.amdhsa_user_sgpr_private_segment_size 0
		.amdhsa_wavefront_size32 1
		.amdhsa_uses_dynamic_stack 0
		.amdhsa_enable_private_segment 0
		.amdhsa_system_sgpr_workgroup_id_x 1
		.amdhsa_system_sgpr_workgroup_id_y 0
		.amdhsa_system_sgpr_workgroup_id_z 1
		.amdhsa_system_sgpr_workgroup_info 0
		.amdhsa_system_vgpr_workitem_id 0
		.amdhsa_next_free_vgpr 11
		.amdhsa_next_free_sgpr 19
		.amdhsa_reserve_vcc 1
		.amdhsa_float_round_mode_32 0
		.amdhsa_float_round_mode_16_64 0
		.amdhsa_float_denorm_mode_32 3
		.amdhsa_float_denorm_mode_16_64 3
		.amdhsa_dx10_clamp 1
		.amdhsa_ieee_mode 1
		.amdhsa_fp16_overflow 0
		.amdhsa_workgroup_processor_mode 1
		.amdhsa_memory_ordered 1
		.amdhsa_forward_progress 0
		.amdhsa_shared_vgpr_count 0
		.amdhsa_exception_fp_ieee_invalid_op 0
		.amdhsa_exception_fp_denorm_src 0
		.amdhsa_exception_fp_ieee_div_zero 0
		.amdhsa_exception_fp_ieee_overflow 0
		.amdhsa_exception_fp_ieee_underflow 0
		.amdhsa_exception_fp_ieee_inexact 0
		.amdhsa_exception_int_div_zero 0
	.end_amdhsa_kernel
	.section	.text._ZL26rocblas_dot_kernel_inc1by2ILb1ELi1024ELi32ELb0EfPKPKDF16_DF16_EviT4_llS4_lliPT5_PT3_,"axG",@progbits,_ZL26rocblas_dot_kernel_inc1by2ILb1ELi1024ELi32ELb0EfPKPKDF16_DF16_EviT4_llS4_lliPT5_PT3_,comdat
.Lfunc_end353:
	.size	_ZL26rocblas_dot_kernel_inc1by2ILb1ELi1024ELi32ELb0EfPKPKDF16_DF16_EviT4_llS4_lliPT5_PT3_, .Lfunc_end353-_ZL26rocblas_dot_kernel_inc1by2ILb1ELi1024ELi32ELb0EfPKPKDF16_DF16_EviT4_llS4_lliPT5_PT3_
                                        ; -- End function
	.section	.AMDGPU.csdata,"",@progbits
; Kernel info:
; codeLenInByte = 1192
; NumSgprs: 21
; NumVgprs: 11
; ScratchSize: 0
; MemoryBound: 0
; FloatMode: 240
; IeeeMode: 1
; LDSByteSize: 64 bytes/workgroup (compile time only)
; SGPRBlocks: 2
; VGPRBlocks: 1
; NumSGPRsForWavesPerEU: 21
; NumVGPRsForWavesPerEU: 11
; Occupancy: 16
; WaveLimiterHint : 1
; COMPUTE_PGM_RSRC2:SCRATCH_EN: 0
; COMPUTE_PGM_RSRC2:USER_SGPR: 14
; COMPUTE_PGM_RSRC2:TRAP_HANDLER: 0
; COMPUTE_PGM_RSRC2:TGID_X_EN: 1
; COMPUTE_PGM_RSRC2:TGID_Y_EN: 0
; COMPUTE_PGM_RSRC2:TGID_Z_EN: 1
; COMPUTE_PGM_RSRC2:TIDIG_COMP_CNT: 0
	.section	.text._ZL18rocblas_dot_kernelIlLb1ELi1024ELi32ELb0EfPKPKDF16_DF16_EviT5_lT_lS4_lS5_liPT6_PT4_,"axG",@progbits,_ZL18rocblas_dot_kernelIlLb1ELi1024ELi32ELb0EfPKPKDF16_DF16_EviT5_lT_lS4_lS5_liPT6_PT4_,comdat
	.globl	_ZL18rocblas_dot_kernelIlLb1ELi1024ELi32ELb0EfPKPKDF16_DF16_EviT5_lT_lS4_lS5_liPT6_PT4_ ; -- Begin function _ZL18rocblas_dot_kernelIlLb1ELi1024ELi32ELb0EfPKPKDF16_DF16_EviT5_lT_lS4_lS5_liPT6_PT4_
	.p2align	8
	.type	_ZL18rocblas_dot_kernelIlLb1ELi1024ELi32ELb0EfPKPKDF16_DF16_EviT5_lT_lS4_lS5_liPT6_PT4_,@function
_ZL18rocblas_dot_kernelIlLb1ELi1024ELi32ELb0EfPKPKDF16_DF16_EviT5_lT_lS4_lS5_liPT6_PT4_: ; @_ZL18rocblas_dot_kernelIlLb1ELi1024ELi32ELb0EfPKPKDF16_DF16_EviT5_lT_lS4_lS5_liPT6_PT4_
; %bb.0:
	s_clause 0x1
	s_load_b32 s14, s[0:1], 0x0
	s_load_b64 s[2:3], s[0:1], 0x58
	v_mov_b32_e32 v5, 0
	s_mov_b32 s12, s15
	s_mov_b32 s13, 0
	s_mov_b32 s15, exec_lo
	s_waitcnt lgkmcnt(0)
	v_cmpx_gt_i32_e64 s14, v0
	s_cbranch_execz .LBB354_4
; %bb.1:
	s_clause 0x4
	s_load_b64 s[16:17], s[0:1], 0x8
	s_load_b128 s[8:11], s[0:1], 0x10
	s_load_b128 s[4:7], s[0:1], 0x30
	s_load_b64 s[18:19], s[0:1], 0x28
	s_load_b32 s20, s[0:1], 0x60
	s_lshl_b64 s[0:1], s[12:13], 3
	s_waitcnt lgkmcnt(0)
	s_add_u32 s16, s16, s0
	v_mad_u64_u32 v[1:2], null, s10, v0, 0
	v_mad_u64_u32 v[3:4], null, s6, v0, 0
	s_addc_u32 s17, s17, s1
	s_add_u32 s18, s18, s0
	s_load_b64 s[16:17], s[16:17], 0x0
	s_addc_u32 s19, s19, s1
	s_lshl_b64 s[8:9], s[8:9], 1
	s_load_b64 s[18:19], s[18:19], 0x0
	s_delay_alu instid0(VALU_DEP_1) | instskip(SKIP_2) | instid1(SALU_CYCLE_1)
	v_mad_u64_u32 v[7:8], null, s11, v0, v[2:3]
	v_mov_b32_e32 v5, 0
	s_lshl_b32 s1, s20, 10
	s_mul_hi_u32 s0, s10, s1
	s_mul_i32 s11, s11, s1
	s_mul_i32 s20, s10, s1
	s_delay_alu instid0(VALU_DEP_2) | instskip(SKIP_3) | instid1(VALU_DEP_2)
	v_mov_b32_e32 v2, v7
	v_mad_u64_u32 v[8:9], null, s7, v0, v[4:5]
	s_mul_hi_u32 s23, s6, s1
	s_mul_i32 s22, s6, s1
	v_lshlrev_b64 v[1:2], 1, v[1:2]
	s_mul_i32 s7, s7, s1
	v_or_b32_e32 v6, s1, v0
	s_waitcnt lgkmcnt(0)
	s_add_u32 s16, s16, s8
	v_mov_b32_e32 v4, v8
	s_addc_u32 s17, s17, s9
	s_ashr_i32 s24, s1, 31
	s_lshl_b64 s[8:9], s[4:5], 1
	s_mul_i32 s4, s10, s24
	v_lshlrev_b64 v[3:4], 1, v[3:4]
	s_add_i32 s0, s0, s4
	v_add_co_u32 v1, vcc_lo, s16, v1
	s_add_i32 s21, s0, s11
	s_mul_i32 s0, s6, s24
	s_lshl_b64 s[4:5], s[20:21], 1
	s_add_u32 s6, s18, s8
	v_add_co_ci_u32_e32 v2, vcc_lo, s17, v2, vcc_lo
	s_addc_u32 s8, s19, s9
	v_add_co_u32 v3, vcc_lo, s6, v3
	s_add_i32 s0, s23, s0
	v_add_co_ci_u32_e32 v4, vcc_lo, s8, v4, vcc_lo
	s_add_i32 s23, s0, s7
	s_mov_b32 s8, s13
	s_lshl_b64 s[6:7], s[22:23], 1
	s_mov_b32 s9, s13
	.p2align	6
.LBB354_2:                              ; =>This Inner Loop Header: Depth=1
	global_load_u16 v7, v[3:4], off
	global_load_u16 v8, v[1:2], off
	v_add_co_u32 v1, s0, v1, s4
	s_delay_alu instid0(VALU_DEP_1)
	v_add_co_ci_u32_e64 v2, s0, s5, v2, s0
	s_add_i32 s10, s9, 1
	v_cmp_le_i32_e32 vcc_lo, s14, v6
	v_add_co_u32 v3, s0, v3, s6
	s_cmp_gt_u32 s9, 30
	v_add_co_ci_u32_e64 v4, s0, s7, v4, s0
	s_cselect_b32 s0, -1, 0
	v_add_nc_u32_e32 v6, s1, v6
	s_or_b32 s0, s0, vcc_lo
	s_mov_b32 s9, s10
	s_and_b32 s0, exec_lo, s0
	s_delay_alu instid0(SALU_CYCLE_1)
	s_or_b32 s8, s0, s8
	s_waitcnt vmcnt(0)
	v_fmac_f16_e32 v5, v7, v8
	s_and_not1_b32 exec_lo, exec_lo, s8
	s_cbranch_execnz .LBB354_2
; %bb.3:
	s_or_b32 exec_lo, exec_lo, s8
.LBB354_4:
	s_delay_alu instid0(SALU_CYCLE_1) | instskip(SKIP_2) | instid1(VALU_DEP_2)
	s_or_b32 exec_lo, exec_lo, s15
	v_and_b32_e32 v6, 31, v0
	v_cmp_gt_u32_e32 vcc_lo, 32, v0
	v_lshlrev_b32_e32 v1, 1, v6
	s_and_saveexec_b32 s0, vcc_lo
	s_cbranch_execz .LBB354_6
; %bb.5:
	v_mov_b32_e32 v2, 0
	ds_store_b16 v1, v2
.LBB354_6:
	s_or_b32 exec_lo, exec_lo, s0
	v_mbcnt_lo_u32_b32 v7, -1, 0
	v_and_b32_e32 v3, 0xffff, v5
	s_mov_b32 s1, exec_lo
	s_waitcnt lgkmcnt(0)
	s_barrier
	v_cmp_gt_u32_e64 s0, 16, v7
	buffer_gl0_inv
	v_cndmask_b32_e64 v2, 0, 1, s0
	v_cmp_gt_u32_e64 s0, 24, v7
	s_delay_alu instid0(VALU_DEP_2) | instskip(NEXT) | instid1(VALU_DEP_1)
	v_lshlrev_b32_e32 v2, 4, v2
	v_add_lshl_u32 v2, v2, v7, 2
	ds_bpermute_b32 v4, v2, v3
	v_cndmask_b32_e64 v3, 0, 1, s0
	v_cmp_gt_u32_e64 s0, 28, v7
	s_delay_alu instid0(VALU_DEP_2) | instskip(NEXT) | instid1(VALU_DEP_1)
	v_lshlrev_b32_e32 v3, 3, v3
	v_add_lshl_u32 v3, v3, v7, 2
	s_waitcnt lgkmcnt(0)
	v_add_f16_e32 v5, v5, v4
	s_delay_alu instid0(VALU_DEP_1) | instskip(NEXT) | instid1(VALU_DEP_1)
	v_and_b32_e32 v8, 0xffff, v5
	v_and_or_b32 v4, 0xffff0000, v4, v8
	ds_bpermute_b32 v8, v3, v4
	v_cndmask_b32_e64 v4, 0, 1, s0
	v_cmp_gt_u32_e64 s0, 30, v7
	s_delay_alu instid0(VALU_DEP_2) | instskip(NEXT) | instid1(VALU_DEP_1)
	v_lshlrev_b32_e32 v4, 2, v4
	v_add_lshl_u32 v4, v4, v7, 2
	s_waitcnt lgkmcnt(0)
	v_add_f16_e32 v5, v5, v8
	s_delay_alu instid0(VALU_DEP_1) | instskip(NEXT) | instid1(VALU_DEP_1)
	v_and_b32_e32 v9, 0xffff, v5
	v_and_or_b32 v8, 0xffff0000, v8, v9
	v_cndmask_b32_e64 v9, 0, 1, s0
	v_cmp_ne_u32_e64 s0, 31, v7
	ds_bpermute_b32 v8, v4, v8
	s_waitcnt lgkmcnt(0)
	v_add_f16_e32 v10, v5, v8
	v_lshlrev_b32_e32 v5, 1, v9
	s_delay_alu instid0(VALU_DEP_2) | instskip(NEXT) | instid1(VALU_DEP_2)
	v_and_b32_e32 v9, 0xffff, v10
	v_add_lshl_u32 v5, v5, v7, 2
	v_add_co_ci_u32_e64 v7, s0, 0, v7, s0
	s_delay_alu instid0(VALU_DEP_3) | instskip(NEXT) | instid1(VALU_DEP_2)
	v_and_or_b32 v8, 0xffff0000, v8, v9
	v_lshlrev_b32_e32 v7, 2, v7
	ds_bpermute_b32 v9, v5, v8
	s_waitcnt lgkmcnt(0)
	v_add_f16_e32 v8, v10, v9
	s_delay_alu instid0(VALU_DEP_1) | instskip(NEXT) | instid1(VALU_DEP_1)
	v_and_b32_e32 v10, 0xffff, v8
	v_and_or_b32 v9, 0xffff0000, v9, v10
	ds_bpermute_b32 v9, v7, v9
	v_cmpx_eq_u32_e32 0, v6
	s_cbranch_execz .LBB354_8
; %bb.7:
	v_lshrrev_b32_e32 v6, 4, v0
	s_waitcnt lgkmcnt(0)
	v_add_f16_e32 v8, v8, v9
	s_delay_alu instid0(VALU_DEP_2)
	v_and_b32_e32 v6, 62, v6
	ds_store_b16 v6, v8
.LBB354_8:
	s_or_b32 exec_lo, exec_lo, s1
	v_mov_b32_e32 v6, 0
	s_waitcnt lgkmcnt(0)
	s_barrier
	buffer_gl0_inv
	s_and_saveexec_b32 s0, vcc_lo
	s_cbranch_execz .LBB354_10
; %bb.9:
	ds_load_u16 v6, v1
.LBB354_10:
	s_or_b32 exec_lo, exec_lo, s0
	s_and_saveexec_b32 s0, vcc_lo
	s_cbranch_execz .LBB354_12
; %bb.11:
	s_waitcnt lgkmcnt(0)
	v_and_b32_e32 v1, 0xffff, v6
	ds_bpermute_b32 v1, v2, v1
	s_waitcnt lgkmcnt(0)
	v_add_f16_e32 v2, v6, v1
	s_delay_alu instid0(VALU_DEP_1) | instskip(NEXT) | instid1(VALU_DEP_1)
	v_and_b32_e32 v6, 0xffff, v2
	v_and_or_b32 v1, 0xffff0000, v1, v6
	ds_bpermute_b32 v1, v3, v1
	s_waitcnt lgkmcnt(0)
	v_add_f16_e32 v2, v2, v1
	s_delay_alu instid0(VALU_DEP_1) | instskip(NEXT) | instid1(VALU_DEP_1)
	v_and_b32_e32 v3, 0xffff, v2
	v_and_or_b32 v1, 0xffff0000, v1, v3
	;; [unrolled: 6-line block ×4, first 2 shown]
	ds_bpermute_b32 v1, v7, v1
	s_waitcnt lgkmcnt(0)
	v_add_f16_e32 v6, v2, v1
.LBB354_12:
	s_or_b32 exec_lo, exec_lo, s0
	s_delay_alu instid0(SALU_CYCLE_1)
	s_mov_b32 s0, exec_lo
	v_cmpx_eq_u32_e32 0, v0
	s_cbranch_execz .LBB354_14
; %bb.13:
	s_waitcnt lgkmcnt(0)
	v_cvt_f32_f16_e32 v0, v6
	s_lshl_b64 s[0:1], s[12:13], 2
	v_mov_b32_e32 v1, 0
	s_add_u32 s0, s2, s0
	s_addc_u32 s1, s3, s1
	global_store_b32 v1, v0, s[0:1]
.LBB354_14:
	s_nop 0
	s_sendmsg sendmsg(MSG_DEALLOC_VGPRS)
	s_endpgm
	.section	.rodata,"a",@progbits
	.p2align	6, 0x0
	.amdhsa_kernel _ZL18rocblas_dot_kernelIlLb1ELi1024ELi32ELb0EfPKPKDF16_DF16_EviT5_lT_lS4_lS5_liPT6_PT4_
		.amdhsa_group_segment_fixed_size 64
		.amdhsa_private_segment_fixed_size 0
		.amdhsa_kernarg_size 352
		.amdhsa_user_sgpr_count 14
		.amdhsa_user_sgpr_dispatch_ptr 0
		.amdhsa_user_sgpr_queue_ptr 0
		.amdhsa_user_sgpr_kernarg_segment_ptr 1
		.amdhsa_user_sgpr_dispatch_id 0
		.amdhsa_user_sgpr_private_segment_size 0
		.amdhsa_wavefront_size32 1
		.amdhsa_uses_dynamic_stack 0
		.amdhsa_enable_private_segment 0
		.amdhsa_system_sgpr_workgroup_id_x 1
		.amdhsa_system_sgpr_workgroup_id_y 0
		.amdhsa_system_sgpr_workgroup_id_z 1
		.amdhsa_system_sgpr_workgroup_info 0
		.amdhsa_system_vgpr_workitem_id 0
		.amdhsa_next_free_vgpr 11
		.amdhsa_next_free_sgpr 25
		.amdhsa_reserve_vcc 1
		.amdhsa_float_round_mode_32 0
		.amdhsa_float_round_mode_16_64 0
		.amdhsa_float_denorm_mode_32 3
		.amdhsa_float_denorm_mode_16_64 3
		.amdhsa_dx10_clamp 1
		.amdhsa_ieee_mode 1
		.amdhsa_fp16_overflow 0
		.amdhsa_workgroup_processor_mode 1
		.amdhsa_memory_ordered 1
		.amdhsa_forward_progress 0
		.amdhsa_shared_vgpr_count 0
		.amdhsa_exception_fp_ieee_invalid_op 0
		.amdhsa_exception_fp_denorm_src 0
		.amdhsa_exception_fp_ieee_div_zero 0
		.amdhsa_exception_fp_ieee_overflow 0
		.amdhsa_exception_fp_ieee_underflow 0
		.amdhsa_exception_fp_ieee_inexact 0
		.amdhsa_exception_int_div_zero 0
	.end_amdhsa_kernel
	.section	.text._ZL18rocblas_dot_kernelIlLb1ELi1024ELi32ELb0EfPKPKDF16_DF16_EviT5_lT_lS4_lS5_liPT6_PT4_,"axG",@progbits,_ZL18rocblas_dot_kernelIlLb1ELi1024ELi32ELb0EfPKPKDF16_DF16_EviT5_lT_lS4_lS5_liPT6_PT4_,comdat
.Lfunc_end354:
	.size	_ZL18rocblas_dot_kernelIlLb1ELi1024ELi32ELb0EfPKPKDF16_DF16_EviT5_lT_lS4_lS5_liPT6_PT4_, .Lfunc_end354-_ZL18rocblas_dot_kernelIlLb1ELi1024ELi32ELb0EfPKPKDF16_DF16_EviT5_lT_lS4_lS5_liPT6_PT4_
                                        ; -- End function
	.section	.AMDGPU.csdata,"",@progbits
; Kernel info:
; codeLenInByte = 1180
; NumSgprs: 27
; NumVgprs: 11
; ScratchSize: 0
; MemoryBound: 0
; FloatMode: 240
; IeeeMode: 1
; LDSByteSize: 64 bytes/workgroup (compile time only)
; SGPRBlocks: 3
; VGPRBlocks: 1
; NumSGPRsForWavesPerEU: 27
; NumVGPRsForWavesPerEU: 11
; Occupancy: 16
; WaveLimiterHint : 0
; COMPUTE_PGM_RSRC2:SCRATCH_EN: 0
; COMPUTE_PGM_RSRC2:USER_SGPR: 14
; COMPUTE_PGM_RSRC2:TRAP_HANDLER: 0
; COMPUTE_PGM_RSRC2:TGID_X_EN: 1
; COMPUTE_PGM_RSRC2:TGID_Y_EN: 0
; COMPUTE_PGM_RSRC2:TGID_Z_EN: 1
; COMPUTE_PGM_RSRC2:TIDIG_COMP_CNT: 0
	.section	.text._ZL24rocblas_dot_kernel_magsqIlLb1ELi1024ELi32ELb0EfPKPKDF16_DF16_EviT5_lT_liPT6_PT4_,"axG",@progbits,_ZL24rocblas_dot_kernel_magsqIlLb1ELi1024ELi32ELb0EfPKPKDF16_DF16_EviT5_lT_liPT6_PT4_,comdat
	.globl	_ZL24rocblas_dot_kernel_magsqIlLb1ELi1024ELi32ELb0EfPKPKDF16_DF16_EviT5_lT_liPT6_PT4_ ; -- Begin function _ZL24rocblas_dot_kernel_magsqIlLb1ELi1024ELi32ELb0EfPKPKDF16_DF16_EviT5_lT_liPT6_PT4_
	.p2align	8
	.type	_ZL24rocblas_dot_kernel_magsqIlLb1ELi1024ELi32ELb0EfPKPKDF16_DF16_EviT5_lT_liPT6_PT4_,@function
_ZL24rocblas_dot_kernel_magsqIlLb1ELi1024ELi32ELb0EfPKPKDF16_DF16_EviT5_lT_liPT6_PT4_: ; @_ZL24rocblas_dot_kernel_magsqIlLb1ELi1024ELi32ELb0EfPKPKDF16_DF16_EviT5_lT_liPT6_PT4_
; %bb.0:
	s_clause 0x1
	s_load_b32 s8, s[0:1], 0x0
	s_load_b64 s[2:3], s[0:1], 0x38
	v_mov_b32_e32 v3, 0
	s_mov_b32 s4, s15
	s_mov_b32 s5, 0
	s_mov_b32 s9, exec_lo
	s_waitcnt lgkmcnt(0)
	v_cmpx_gt_i32_e64 s8, v0
	s_cbranch_execz .LBB355_4
; %bb.1:
	s_clause 0x1
	s_load_b64 s[6:7], s[0:1], 0x8
	s_load_b128 s[12:15], s[0:1], 0x10
	s_lshl_b64 s[10:11], s[4:5], 3
	s_load_b32 s16, s[0:1], 0x40
	s_waitcnt lgkmcnt(0)
	s_add_u32 s0, s6, s10
	v_mad_u64_u32 v[1:2], null, s14, v0, 0
	s_addc_u32 s1, s7, s11
	s_lshl_b64 s[10:11], s[12:13], 1
	s_load_b64 s[6:7], s[0:1], 0x0
	s_lshl_b32 s1, s16, 10
	s_delay_alu instid0(SALU_CYCLE_1) | instskip(NEXT) | instid1(VALU_DEP_1)
	s_mul_hi_u32 s0, s14, s1
	v_mad_u64_u32 v[3:4], null, s15, v0, v[2:3]
	v_or_b32_e32 v4, s1, v0
	s_delay_alu instid0(VALU_DEP_2) | instskip(NEXT) | instid1(VALU_DEP_1)
	v_dual_mov_b32 v2, v3 :: v_dual_mov_b32 v3, 0
	v_lshlrev_b64 v[1:2], 1, v[1:2]
	s_waitcnt lgkmcnt(0)
	s_add_u32 s10, s6, s10
	s_addc_u32 s11, s7, s11
	s_ashr_i32 s6, s1, 31
	s_delay_alu instid0(VALU_DEP_1)
	v_add_co_u32 v1, vcc_lo, s10, v1
	s_mul_i32 s6, s14, s6
	s_mul_i32 s7, s15, s1
	s_add_i32 s0, s0, s6
	v_add_co_ci_u32_e32 v2, vcc_lo, s11, v2, vcc_lo
	s_mul_i32 s6, s14, s1
	s_add_i32 s7, s0, s7
	s_mov_b32 s10, s5
	s_lshl_b64 s[6:7], s[6:7], 1
	s_mov_b32 s11, s5
	.p2align	6
.LBB355_2:                              ; =>This Inner Loop Header: Depth=1
	global_load_u16 v5, v[1:2], off
	s_add_i32 s12, s11, 1
	v_cmp_le_i32_e32 vcc_lo, s8, v4
	v_add_co_u32 v1, s0, v1, s6
	s_cmp_gt_u32 s11, 30
	v_add_co_ci_u32_e64 v2, s0, s7, v2, s0
	s_cselect_b32 s0, -1, 0
	v_add_nc_u32_e32 v4, s1, v4
	s_or_b32 s0, s0, vcc_lo
	s_mov_b32 s11, s12
	s_and_b32 s0, exec_lo, s0
	s_delay_alu instid0(SALU_CYCLE_1)
	s_or_b32 s10, s0, s10
	s_waitcnt vmcnt(0)
	v_fmac_f16_e32 v3, v5, v5
	s_and_not1_b32 exec_lo, exec_lo, s10
	s_cbranch_execnz .LBB355_2
; %bb.3:
	s_or_b32 exec_lo, exec_lo, s10
.LBB355_4:
	s_delay_alu instid0(SALU_CYCLE_1) | instskip(SKIP_2) | instid1(VALU_DEP_2)
	s_or_b32 exec_lo, exec_lo, s9
	v_and_b32_e32 v5, 31, v0
	v_cmp_gt_u32_e32 vcc_lo, 32, v0
	v_lshlrev_b32_e32 v1, 1, v5
	s_and_saveexec_b32 s0, vcc_lo
	s_cbranch_execz .LBB355_6
; %bb.5:
	v_mov_b32_e32 v2, 0
	ds_store_b16 v1, v2
.LBB355_6:
	s_or_b32 exec_lo, exec_lo, s0
	v_mbcnt_lo_u32_b32 v7, -1, 0
	v_and_b32_e32 v4, 0xffff, v3
	s_mov_b32 s1, exec_lo
	s_waitcnt lgkmcnt(0)
	s_barrier
	v_cmp_gt_u32_e64 s0, 16, v7
	buffer_gl0_inv
	v_cndmask_b32_e64 v2, 0, 1, s0
	v_cmp_gt_u32_e64 s0, 24, v7
	s_delay_alu instid0(VALU_DEP_2) | instskip(NEXT) | instid1(VALU_DEP_2)
	v_lshlrev_b32_e32 v2, 4, v2
	v_cndmask_b32_e64 v6, 0, 1, s0
	v_cmp_gt_u32_e64 s0, 28, v7
	s_delay_alu instid0(VALU_DEP_3) | instskip(SKIP_4) | instid1(VALU_DEP_2)
	v_add_lshl_u32 v2, v2, v7, 2
	ds_bpermute_b32 v4, v2, v4
	s_waitcnt lgkmcnt(0)
	v_add_f16_e32 v8, v3, v4
	v_lshlrev_b32_e32 v3, 3, v6
	v_and_b32_e32 v6, 0xffff, v8
	s_delay_alu instid0(VALU_DEP_2) | instskip(NEXT) | instid1(VALU_DEP_2)
	v_add_lshl_u32 v3, v3, v7, 2
	v_and_or_b32 v4, 0xffff0000, v4, v6
	ds_bpermute_b32 v6, v3, v4
	v_cndmask_b32_e64 v4, 0, 1, s0
	v_cmp_gt_u32_e64 s0, 30, v7
	s_delay_alu instid0(VALU_DEP_2) | instskip(NEXT) | instid1(VALU_DEP_1)
	v_lshlrev_b32_e32 v4, 2, v4
	v_add_lshl_u32 v4, v4, v7, 2
	s_waitcnt lgkmcnt(0)
	v_add_f16_e32 v8, v8, v6
	s_delay_alu instid0(VALU_DEP_1) | instskip(NEXT) | instid1(VALU_DEP_1)
	v_and_b32_e32 v9, 0xffff, v8
	v_and_or_b32 v6, 0xffff0000, v6, v9
	ds_bpermute_b32 v9, v4, v6
	v_cndmask_b32_e64 v6, 0, 1, s0
	v_cmp_ne_u32_e64 s0, 31, v7
	s_delay_alu instid0(VALU_DEP_2) | instskip(NEXT) | instid1(VALU_DEP_1)
	v_lshlrev_b32_e32 v6, 1, v6
	v_add_lshl_u32 v6, v6, v7, 2
	s_delay_alu instid0(VALU_DEP_3) | instskip(NEXT) | instid1(VALU_DEP_1)
	v_add_co_ci_u32_e64 v7, s0, 0, v7, s0
	v_lshlrev_b32_e32 v7, 2, v7
	s_waitcnt lgkmcnt(0)
	v_add_f16_e32 v8, v8, v9
	s_delay_alu instid0(VALU_DEP_1) | instskip(NEXT) | instid1(VALU_DEP_1)
	v_and_b32_e32 v10, 0xffff, v8
	v_and_or_b32 v9, 0xffff0000, v9, v10
	ds_bpermute_b32 v9, v6, v9
	s_waitcnt lgkmcnt(0)
	v_add_f16_e32 v8, v8, v9
	s_delay_alu instid0(VALU_DEP_1) | instskip(NEXT) | instid1(VALU_DEP_1)
	v_and_b32_e32 v10, 0xffff, v8
	v_and_or_b32 v9, 0xffff0000, v9, v10
	ds_bpermute_b32 v9, v7, v9
	v_cmpx_eq_u32_e32 0, v5
	s_cbranch_execz .LBB355_8
; %bb.7:
	v_lshrrev_b32_e32 v5, 4, v0
	s_waitcnt lgkmcnt(0)
	v_add_f16_e32 v8, v8, v9
	s_delay_alu instid0(VALU_DEP_2)
	v_and_b32_e32 v5, 62, v5
	ds_store_b16 v5, v8
.LBB355_8:
	s_or_b32 exec_lo, exec_lo, s1
	v_mov_b32_e32 v5, 0
	s_waitcnt lgkmcnt(0)
	s_barrier
	buffer_gl0_inv
	s_and_saveexec_b32 s0, vcc_lo
	s_cbranch_execz .LBB355_10
; %bb.9:
	ds_load_u16 v5, v1
.LBB355_10:
	s_or_b32 exec_lo, exec_lo, s0
	s_and_saveexec_b32 s0, vcc_lo
	s_cbranch_execz .LBB355_12
; %bb.11:
	s_waitcnt lgkmcnt(0)
	v_and_b32_e32 v1, 0xffff, v5
	ds_bpermute_b32 v1, v2, v1
	s_waitcnt lgkmcnt(0)
	v_add_f16_e32 v2, v5, v1
	s_delay_alu instid0(VALU_DEP_1) | instskip(NEXT) | instid1(VALU_DEP_1)
	v_and_b32_e32 v5, 0xffff, v2
	v_and_or_b32 v1, 0xffff0000, v1, v5
	ds_bpermute_b32 v1, v3, v1
	s_waitcnt lgkmcnt(0)
	v_add_f16_e32 v2, v2, v1
	s_delay_alu instid0(VALU_DEP_1) | instskip(NEXT) | instid1(VALU_DEP_1)
	v_and_b32_e32 v3, 0xffff, v2
	v_and_or_b32 v1, 0xffff0000, v1, v3
	;; [unrolled: 6-line block ×4, first 2 shown]
	ds_bpermute_b32 v1, v7, v1
	s_waitcnt lgkmcnt(0)
	v_add_f16_e32 v5, v2, v1
.LBB355_12:
	s_or_b32 exec_lo, exec_lo, s0
	s_delay_alu instid0(SALU_CYCLE_1)
	s_mov_b32 s0, exec_lo
	v_cmpx_eq_u32_e32 0, v0
	s_cbranch_execz .LBB355_14
; %bb.13:
	s_waitcnt lgkmcnt(0)
	v_cvt_f32_f16_e32 v0, v5
	s_lshl_b64 s[0:1], s[4:5], 2
	v_mov_b32_e32 v1, 0
	s_add_u32 s0, s2, s0
	s_addc_u32 s1, s3, s1
	global_store_b32 v1, v0, s[0:1]
.LBB355_14:
	s_nop 0
	s_sendmsg sendmsg(MSG_DEALLOC_VGPRS)
	s_endpgm
	.section	.rodata,"a",@progbits
	.p2align	6, 0x0
	.amdhsa_kernel _ZL24rocblas_dot_kernel_magsqIlLb1ELi1024ELi32ELb0EfPKPKDF16_DF16_EviT5_lT_liPT6_PT4_
		.amdhsa_group_segment_fixed_size 64
		.amdhsa_private_segment_fixed_size 0
		.amdhsa_kernarg_size 320
		.amdhsa_user_sgpr_count 14
		.amdhsa_user_sgpr_dispatch_ptr 0
		.amdhsa_user_sgpr_queue_ptr 0
		.amdhsa_user_sgpr_kernarg_segment_ptr 1
		.amdhsa_user_sgpr_dispatch_id 0
		.amdhsa_user_sgpr_private_segment_size 0
		.amdhsa_wavefront_size32 1
		.amdhsa_uses_dynamic_stack 0
		.amdhsa_enable_private_segment 0
		.amdhsa_system_sgpr_workgroup_id_x 1
		.amdhsa_system_sgpr_workgroup_id_y 0
		.amdhsa_system_sgpr_workgroup_id_z 1
		.amdhsa_system_sgpr_workgroup_info 0
		.amdhsa_system_vgpr_workitem_id 0
		.amdhsa_next_free_vgpr 11
		.amdhsa_next_free_sgpr 17
		.amdhsa_reserve_vcc 1
		.amdhsa_float_round_mode_32 0
		.amdhsa_float_round_mode_16_64 0
		.amdhsa_float_denorm_mode_32 3
		.amdhsa_float_denorm_mode_16_64 3
		.amdhsa_dx10_clamp 1
		.amdhsa_ieee_mode 1
		.amdhsa_fp16_overflow 0
		.amdhsa_workgroup_processor_mode 1
		.amdhsa_memory_ordered 1
		.amdhsa_forward_progress 0
		.amdhsa_shared_vgpr_count 0
		.amdhsa_exception_fp_ieee_invalid_op 0
		.amdhsa_exception_fp_denorm_src 0
		.amdhsa_exception_fp_ieee_div_zero 0
		.amdhsa_exception_fp_ieee_overflow 0
		.amdhsa_exception_fp_ieee_underflow 0
		.amdhsa_exception_fp_ieee_inexact 0
		.amdhsa_exception_int_div_zero 0
	.end_amdhsa_kernel
	.section	.text._ZL24rocblas_dot_kernel_magsqIlLb1ELi1024ELi32ELb0EfPKPKDF16_DF16_EviT5_lT_liPT6_PT4_,"axG",@progbits,_ZL24rocblas_dot_kernel_magsqIlLb1ELi1024ELi32ELb0EfPKPKDF16_DF16_EviT5_lT_liPT6_PT4_,comdat
.Lfunc_end355:
	.size	_ZL24rocblas_dot_kernel_magsqIlLb1ELi1024ELi32ELb0EfPKPKDF16_DF16_EviT5_lT_liPT6_PT4_, .Lfunc_end355-_ZL24rocblas_dot_kernel_magsqIlLb1ELi1024ELi32ELb0EfPKPKDF16_DF16_EviT5_lT_liPT6_PT4_
                                        ; -- End function
	.section	.AMDGPU.csdata,"",@progbits
; Kernel info:
; codeLenInByte = 1048
; NumSgprs: 19
; NumVgprs: 11
; ScratchSize: 0
; MemoryBound: 0
; FloatMode: 240
; IeeeMode: 1
; LDSByteSize: 64 bytes/workgroup (compile time only)
; SGPRBlocks: 2
; VGPRBlocks: 1
; NumSGPRsForWavesPerEU: 19
; NumVGPRsForWavesPerEU: 11
; Occupancy: 16
; WaveLimiterHint : 0
; COMPUTE_PGM_RSRC2:SCRATCH_EN: 0
; COMPUTE_PGM_RSRC2:USER_SGPR: 14
; COMPUTE_PGM_RSRC2:TRAP_HANDLER: 0
; COMPUTE_PGM_RSRC2:TGID_X_EN: 1
; COMPUTE_PGM_RSRC2:TGID_Y_EN: 0
; COMPUTE_PGM_RSRC2:TGID_Z_EN: 1
; COMPUTE_PGM_RSRC2:TIDIG_COMP_CNT: 0
	.section	.text._ZL23rocblas_dot_kernel_inc1ILb0ELi512ELi4ELb0EfPKPKDF16_DF16_EviT4_llS4_lliPT5_PT3_,"axG",@progbits,_ZL23rocblas_dot_kernel_inc1ILb0ELi512ELi4ELb0EfPKPKDF16_DF16_EviT4_llS4_lliPT5_PT3_,comdat
	.globl	_ZL23rocblas_dot_kernel_inc1ILb0ELi512ELi4ELb0EfPKPKDF16_DF16_EviT4_llS4_lliPT5_PT3_ ; -- Begin function _ZL23rocblas_dot_kernel_inc1ILb0ELi512ELi4ELb0EfPKPKDF16_DF16_EviT4_llS4_lliPT5_PT3_
	.p2align	8
	.type	_ZL23rocblas_dot_kernel_inc1ILb0ELi512ELi4ELb0EfPKPKDF16_DF16_EviT4_llS4_lliPT5_PT3_,@function
_ZL23rocblas_dot_kernel_inc1ILb0ELi512ELi4ELb0EfPKPKDF16_DF16_EviT4_llS4_lliPT5_PT3_: ; @_ZL23rocblas_dot_kernel_inc1ILb0ELi512ELi4ELb0EfPKPKDF16_DF16_EviT4_llS4_lliPT5_PT3_
; %bb.0:
	s_clause 0x2
	s_load_b32 s12, s[0:1], 0x50
	s_load_b32 s13, s[0:1], 0x0
	s_load_b128 s[4:7], s[0:1], 0x40
	v_lshl_or_b32 v3, s14, 9, v0
	v_mov_b32_e32 v5, 0
	s_mov_b32 s2, s15
	s_mov_b32 s3, 0
	s_mov_b32 s15, exec_lo
	s_waitcnt lgkmcnt(0)
	v_cmpx_gt_i32_e64 s13, v3
	s_cbranch_execz .LBB356_4
; %bb.1:
	s_clause 0x1
	s_load_b128 s[8:11], s[0:1], 0x8
	s_load_b128 s[20:23], s[0:1], 0x20
	s_lshl_b64 s[18:19], s[2:3], 3
	v_ashrrev_i32_e32 v4, 31, v3
	v_mov_b32_e32 v5, 0
	s_delay_alu instid0(VALU_DEP_2)
	v_lshlrev_b64 v[1:2], 1, v[3:4]
	s_waitcnt lgkmcnt(0)
	s_add_u32 s0, s8, s18
	s_addc_u32 s1, s9, s19
	s_lshl_b64 s[10:11], s[10:11], 1
	s_load_b64 s[8:9], s[0:1], 0x0
	s_waitcnt lgkmcnt(0)
	s_add_u32 s1, s8, s10
	s_addc_u32 s16, s9, s11
	s_add_u32 s8, s20, s18
	s_addc_u32 s9, s21, s19
	s_lshl_b64 s[10:11], s[22:23], 1
	s_load_b64 s[8:9], s[8:9], 0x0
	s_mov_b32 s19, s3
	s_waitcnt lgkmcnt(0)
	s_add_u32 s17, s8, s10
	s_addc_u32 s18, s9, s11
	s_lshl_b32 s8, s12, 9
	s_delay_alu instid0(SALU_CYCLE_1) | instskip(SKIP_1) | instid1(SALU_CYCLE_1)
	v_add_nc_u32_e32 v3, s8, v3
	s_ashr_i32 s9, s8, 31
	s_lshl_b64 s[10:11], s[8:9], 1
	s_mov_b32 s9, s3
	.p2align	6
.LBB356_2:                              ; =>This Inner Loop Header: Depth=1
	v_add_co_u32 v6, vcc_lo, s17, v1
	v_add_co_ci_u32_e32 v7, vcc_lo, s18, v2, vcc_lo
	v_add_co_u32 v8, vcc_lo, s1, v1
	v_add_co_ci_u32_e32 v9, vcc_lo, s16, v2, vcc_lo
	s_add_i32 s20, s19, 1
	global_load_u16 v4, v[6:7], off
	global_load_u16 v6, v[8:9], off
	v_cmp_le_i32_e32 vcc_lo, s13, v3
	v_add_co_u32 v1, s0, v1, s10
	s_cmp_gt_u32 s19, 2
	v_add_co_ci_u32_e64 v2, s0, s11, v2, s0
	s_cselect_b32 s0, -1, 0
	v_add_nc_u32_e32 v3, s8, v3
	s_or_b32 s0, s0, vcc_lo
	s_mov_b32 s19, s20
	s_and_b32 s0, exec_lo, s0
	s_delay_alu instid0(SALU_CYCLE_1)
	s_or_b32 s9, s0, s9
	s_waitcnt vmcnt(0)
	v_fmac_f16_e32 v5, v4, v6
	s_and_not1_b32 exec_lo, exec_lo, s9
	s_cbranch_execnz .LBB356_2
; %bb.3:
	s_or_b32 exec_lo, exec_lo, s9
.LBB356_4:
	s_delay_alu instid0(SALU_CYCLE_1) | instskip(SKIP_2) | instid1(VALU_DEP_2)
	s_or_b32 exec_lo, exec_lo, s15
	v_and_b32_e32 v3, 31, v0
	v_cmp_gt_u32_e32 vcc_lo, 32, v0
	v_lshlrev_b32_e32 v1, 1, v3
	s_and_saveexec_b32 s0, vcc_lo
	s_cbranch_execz .LBB356_6
; %bb.5:
	v_mov_b32_e32 v2, 0
	ds_store_b16 v1, v2
.LBB356_6:
	s_or_b32 exec_lo, exec_lo, s0
	v_mbcnt_lo_u32_b32 v6, -1, 0
	v_and_b32_e32 v4, 0xffff, v5
	s_mov_b32 s1, exec_lo
	s_waitcnt lgkmcnt(0)
	s_barrier
	v_cmp_gt_u32_e64 s0, 16, v6
	buffer_gl0_inv
	v_cndmask_b32_e64 v2, 0, 1, s0
	v_cmp_gt_u32_e64 s0, 24, v6
	s_delay_alu instid0(VALU_DEP_2) | instskip(NEXT) | instid1(VALU_DEP_1)
	v_lshlrev_b32_e32 v2, 4, v2
	v_add_lshl_u32 v2, v2, v6, 2
	ds_bpermute_b32 v4, v2, v4
	v_cndmask_b32_e64 v2, 0, 1, s0
	v_cmp_gt_u32_e64 s0, 28, v6
	s_delay_alu instid0(VALU_DEP_2) | instskip(NEXT) | instid1(VALU_DEP_1)
	v_lshlrev_b32_e32 v2, 3, v2
	v_add_lshl_u32 v2, v2, v6, 2
	s_waitcnt lgkmcnt(0)
	v_add_f16_e32 v5, v5, v4
	s_delay_alu instid0(VALU_DEP_1) | instskip(NEXT) | instid1(VALU_DEP_1)
	v_and_b32_e32 v7, 0xffff, v5
	v_and_or_b32 v4, 0xffff0000, v4, v7
	ds_bpermute_b32 v7, v2, v4
	v_cndmask_b32_e64 v4, 0, 1, s0
	v_cmp_gt_u32_e64 s0, 30, v6
	s_delay_alu instid0(VALU_DEP_2) | instskip(NEXT) | instid1(VALU_DEP_1)
	v_lshlrev_b32_e32 v4, 2, v4
	v_add_lshl_u32 v4, v4, v6, 2
	s_waitcnt lgkmcnt(0)
	v_add_f16_e32 v5, v5, v7
	s_delay_alu instid0(VALU_DEP_1) | instskip(NEXT) | instid1(VALU_DEP_1)
	v_and_b32_e32 v8, 0xffff, v5
	v_and_or_b32 v7, 0xffff0000, v7, v8
	v_cndmask_b32_e64 v8, 0, 1, s0
	v_cmp_ne_u32_e64 s0, 31, v6
	ds_bpermute_b32 v7, v4, v7
	s_waitcnt lgkmcnt(0)
	v_add_f16_e32 v9, v5, v7
	v_lshlrev_b32_e32 v5, 1, v8
	s_delay_alu instid0(VALU_DEP_2) | instskip(NEXT) | instid1(VALU_DEP_2)
	v_and_b32_e32 v8, 0xffff, v9
	v_add_lshl_u32 v5, v5, v6, 2
	v_add_co_ci_u32_e64 v6, s0, 0, v6, s0
	s_delay_alu instid0(VALU_DEP_3) | instskip(NEXT) | instid1(VALU_DEP_2)
	v_and_or_b32 v7, 0xffff0000, v7, v8
	v_lshlrev_b32_e32 v6, 2, v6
	ds_bpermute_b32 v8, v5, v7
	s_waitcnt lgkmcnt(0)
	v_add_f16_e32 v7, v9, v8
	s_delay_alu instid0(VALU_DEP_1) | instskip(NEXT) | instid1(VALU_DEP_1)
	v_and_b32_e32 v9, 0xffff, v7
	v_and_or_b32 v8, 0xffff0000, v8, v9
	ds_bpermute_b32 v8, v6, v8
	v_cmpx_eq_u32_e32 0, v3
	s_cbranch_execz .LBB356_8
; %bb.7:
	v_lshrrev_b32_e32 v3, 4, v0
	s_waitcnt lgkmcnt(0)
	v_add_f16_e32 v7, v7, v8
	s_delay_alu instid0(VALU_DEP_2)
	v_and_b32_e32 v3, 30, v3
	ds_store_b16 v3, v7
.LBB356_8:
	s_or_b32 exec_lo, exec_lo, s1
	v_mov_b32_e32 v3, 0
	s_mov_b32 s1, exec_lo
	s_waitcnt lgkmcnt(0)
	s_barrier
	buffer_gl0_inv
	v_cmpx_gt_u32_e32 16, v0
	s_cbranch_execz .LBB356_10
; %bb.9:
	ds_load_u16 v3, v1
.LBB356_10:
	s_or_b32 exec_lo, exec_lo, s1
	s_and_saveexec_b32 s0, vcc_lo
	s_cbranch_execz .LBB356_12
; %bb.11:
	s_waitcnt lgkmcnt(0)
	v_and_b32_e32 v1, 0xffff, v3
	ds_bpermute_b32 v1, v2, v1
	s_waitcnt lgkmcnt(0)
	v_add_f16_e32 v2, v3, v1
	s_delay_alu instid0(VALU_DEP_1) | instskip(NEXT) | instid1(VALU_DEP_1)
	v_and_b32_e32 v3, 0xffff, v2
	v_and_or_b32 v1, 0xffff0000, v1, v3
	ds_bpermute_b32 v1, v4, v1
	s_waitcnt lgkmcnt(0)
	v_add_f16_e32 v2, v2, v1
	s_delay_alu instid0(VALU_DEP_1) | instskip(NEXT) | instid1(VALU_DEP_1)
	v_and_b32_e32 v3, 0xffff, v2
	v_and_or_b32 v1, 0xffff0000, v1, v3
	;; [unrolled: 6-line block ×3, first 2 shown]
	ds_bpermute_b32 v1, v6, v1
	s_waitcnt lgkmcnt(0)
	v_add_f16_e32 v3, v2, v1
.LBB356_12:
	s_or_b32 exec_lo, exec_lo, s0
	s_delay_alu instid0(SALU_CYCLE_1)
	s_mov_b32 s0, exec_lo
	v_cmpx_eq_u32_e32 0, v0
	s_cbranch_execz .LBB356_17
; %bb.13:
	s_cmp_lg_u32 s12, 1
	s_mov_b32 s15, -1
	s_cbranch_scc0 .LBB356_15
; %bb.14:
	s_mul_hi_u32 s1, s12, s2
	s_mul_i32 s0, s12, s2
	s_mov_b32 s15, 0
	s_lshl_b64 s[0:1], s[0:1], 1
	v_mov_b32_e32 v0, 0
	s_add_u32 s4, s4, s0
	s_addc_u32 s5, s5, s1
	s_lshl_b64 s[0:1], s[14:15], 1
	s_delay_alu instid0(SALU_CYCLE_1)
	s_add_u32 s0, s4, s0
	s_addc_u32 s1, s5, s1
	s_waitcnt lgkmcnt(0)
	global_store_b16 v0, v3, s[0:1]
.LBB356_15:
	s_and_not1_b32 vcc_lo, exec_lo, s15
	s_cbranch_vccnz .LBB356_17
; %bb.16:
	s_waitcnt lgkmcnt(0)
	v_cvt_f32_f16_e32 v0, v3
	s_lshl_b64 s[0:1], s[2:3], 2
	v_mov_b32_e32 v1, 0
	s_add_u32 s0, s6, s0
	s_addc_u32 s1, s7, s1
	global_store_b32 v1, v0, s[0:1]
.LBB356_17:
	s_nop 0
	s_sendmsg sendmsg(MSG_DEALLOC_VGPRS)
	s_endpgm
	.section	.rodata,"a",@progbits
	.p2align	6, 0x0
	.amdhsa_kernel _ZL23rocblas_dot_kernel_inc1ILb0ELi512ELi4ELb0EfPKPKDF16_DF16_EviT4_llS4_lliPT5_PT3_
		.amdhsa_group_segment_fixed_size 64
		.amdhsa_private_segment_fixed_size 0
		.amdhsa_kernarg_size 336
		.amdhsa_user_sgpr_count 14
		.amdhsa_user_sgpr_dispatch_ptr 0
		.amdhsa_user_sgpr_queue_ptr 0
		.amdhsa_user_sgpr_kernarg_segment_ptr 1
		.amdhsa_user_sgpr_dispatch_id 0
		.amdhsa_user_sgpr_private_segment_size 0
		.amdhsa_wavefront_size32 1
		.amdhsa_uses_dynamic_stack 0
		.amdhsa_enable_private_segment 0
		.amdhsa_system_sgpr_workgroup_id_x 1
		.amdhsa_system_sgpr_workgroup_id_y 0
		.amdhsa_system_sgpr_workgroup_id_z 1
		.amdhsa_system_sgpr_workgroup_info 0
		.amdhsa_system_vgpr_workitem_id 0
		.amdhsa_next_free_vgpr 10
		.amdhsa_next_free_sgpr 24
		.amdhsa_reserve_vcc 1
		.amdhsa_float_round_mode_32 0
		.amdhsa_float_round_mode_16_64 0
		.amdhsa_float_denorm_mode_32 3
		.amdhsa_float_denorm_mode_16_64 3
		.amdhsa_dx10_clamp 1
		.amdhsa_ieee_mode 1
		.amdhsa_fp16_overflow 0
		.amdhsa_workgroup_processor_mode 1
		.amdhsa_memory_ordered 1
		.amdhsa_forward_progress 0
		.amdhsa_shared_vgpr_count 0
		.amdhsa_exception_fp_ieee_invalid_op 0
		.amdhsa_exception_fp_denorm_src 0
		.amdhsa_exception_fp_ieee_div_zero 0
		.amdhsa_exception_fp_ieee_overflow 0
		.amdhsa_exception_fp_ieee_underflow 0
		.amdhsa_exception_fp_ieee_inexact 0
		.amdhsa_exception_int_div_zero 0
	.end_amdhsa_kernel
	.section	.text._ZL23rocblas_dot_kernel_inc1ILb0ELi512ELi4ELb0EfPKPKDF16_DF16_EviT4_llS4_lliPT5_PT3_,"axG",@progbits,_ZL23rocblas_dot_kernel_inc1ILb0ELi512ELi4ELb0EfPKPKDF16_DF16_EviT4_llS4_lliPT5_PT3_,comdat
.Lfunc_end356:
	.size	_ZL23rocblas_dot_kernel_inc1ILb0ELi512ELi4ELb0EfPKPKDF16_DF16_EviT4_llS4_lliPT5_PT3_, .Lfunc_end356-_ZL23rocblas_dot_kernel_inc1ILb0ELi512ELi4ELb0EfPKPKDF16_DF16_EviT4_llS4_lliPT5_PT3_
                                        ; -- End function
	.section	.AMDGPU.csdata,"",@progbits
; Kernel info:
; codeLenInByte = 1100
; NumSgprs: 26
; NumVgprs: 10
; ScratchSize: 0
; MemoryBound: 0
; FloatMode: 240
; IeeeMode: 1
; LDSByteSize: 64 bytes/workgroup (compile time only)
; SGPRBlocks: 3
; VGPRBlocks: 1
; NumSGPRsForWavesPerEU: 26
; NumVGPRsForWavesPerEU: 10
; Occupancy: 16
; WaveLimiterHint : 1
; COMPUTE_PGM_RSRC2:SCRATCH_EN: 0
; COMPUTE_PGM_RSRC2:USER_SGPR: 14
; COMPUTE_PGM_RSRC2:TRAP_HANDLER: 0
; COMPUTE_PGM_RSRC2:TGID_X_EN: 1
; COMPUTE_PGM_RSRC2:TGID_Y_EN: 0
; COMPUTE_PGM_RSRC2:TGID_Z_EN: 1
; COMPUTE_PGM_RSRC2:TIDIG_COMP_CNT: 0
	.section	.text._ZL18rocblas_dot_kernelIlLb0ELi512ELi4ELb0EfPKPKDF16_DF16_EviT5_lT_lS4_lS5_liPT6_PT4_,"axG",@progbits,_ZL18rocblas_dot_kernelIlLb0ELi512ELi4ELb0EfPKPKDF16_DF16_EviT5_lT_lS4_lS5_liPT6_PT4_,comdat
	.globl	_ZL18rocblas_dot_kernelIlLb0ELi512ELi4ELb0EfPKPKDF16_DF16_EviT5_lT_lS4_lS5_liPT6_PT4_ ; -- Begin function _ZL18rocblas_dot_kernelIlLb0ELi512ELi4ELb0EfPKPKDF16_DF16_EviT5_lT_lS4_lS5_liPT6_PT4_
	.p2align	8
	.type	_ZL18rocblas_dot_kernelIlLb0ELi512ELi4ELb0EfPKPKDF16_DF16_EviT5_lT_lS4_lS5_liPT6_PT4_,@function
_ZL18rocblas_dot_kernelIlLb0ELi512ELi4ELb0EfPKPKDF16_DF16_EviT5_lT_lS4_lS5_liPT6_PT4_: ; @_ZL18rocblas_dot_kernelIlLb0ELi512ELi4ELb0EfPKPKDF16_DF16_EviT5_lT_lS4_lS5_liPT6_PT4_
; %bb.0:
	s_clause 0x2
	s_load_b32 s12, s[0:1], 0x60
	s_load_b32 s13, s[0:1], 0x0
	s_load_b128 s[4:7], s[0:1], 0x50
	v_lshl_or_b32 v1, s14, 9, v0
	v_mov_b32_e32 v5, 0
	s_mov_b32 s2, s15
	s_mov_b32 s3, 0
	s_mov_b32 s15, exec_lo
	s_waitcnt lgkmcnt(0)
	v_cmpx_gt_i32_e64 s13, v1
	s_cbranch_execz .LBB357_4
; %bb.1:
	s_clause 0x3
	s_load_b64 s[20:21], s[0:1], 0x8
	s_load_b128 s[16:19], s[0:1], 0x10
	s_load_b128 s[8:11], s[0:1], 0x30
	s_load_b64 s[0:1], s[0:1], 0x28
	s_lshl_b64 s[22:23], s[2:3], 3
	v_ashrrev_i32_e32 v4, 31, v1
	s_waitcnt lgkmcnt(0)
	s_add_u32 s20, s20, s22
	s_addc_u32 s21, s21, s23
	v_mul_lo_u32 v9, s19, v1
	s_load_b64 s[20:21], s[20:21], 0x0
	s_add_u32 s22, s0, s22
	s_addc_u32 s23, s1, s23
	v_mul_lo_u32 v10, s18, v4
	v_mad_u64_u32 v[2:3], null, s18, v1, 0
	s_load_b64 s[22:23], s[22:23], 0x0
	v_mul_lo_u32 v11, s11, v1
	v_mul_lo_u32 v4, s10, v4
	v_mad_u64_u32 v[7:8], null, s10, v1, 0
	s_lshl_b64 s[16:17], s[16:17], 1
	s_delay_alu instid0(VALU_DEP_4) | instskip(SKIP_1) | instid1(SALU_CYCLE_1)
	v_add3_u32 v3, v3, v10, v9
	s_lshl_b32 s1, s12, 9
	v_dual_mov_b32 v5, 0 :: v_dual_add_nc_u32 v6, s1, v1
	s_mul_hi_u32 s0, s18, s1
	s_delay_alu instid0(VALU_DEP_3)
	v_add3_u32 v8, v8, v4, v11
	v_lshlrev_b64 v[1:2], 1, v[2:3]
	s_mul_i32 s19, s19, s1
	s_waitcnt lgkmcnt(0)
	s_add_u32 s20, s20, s16
	s_addc_u32 s21, s21, s17
	s_ashr_i32 s28, s1, 31
	v_lshlrev_b64 v[3:4], 1, v[7:8]
	s_mul_i32 s16, s18, s28
	s_mul_i32 s24, s18, s1
	s_add_i32 s0, s0, s16
	s_lshl_b64 s[16:17], s[8:9], 1
	s_add_i32 s25, s0, s19
	v_add_co_u32 v1, vcc_lo, s20, v1
	s_lshl_b64 s[8:9], s[24:25], 1
	s_mul_hi_u32 s27, s10, s1
	s_mul_i32 s26, s10, s1
	s_mul_i32 s0, s10, s28
	s_add_u32 s10, s22, s16
	v_add_co_ci_u32_e32 v2, vcc_lo, s21, v2, vcc_lo
	s_addc_u32 s16, s23, s17
	v_add_co_u32 v3, vcc_lo, s10, v3
	s_mul_i32 s11, s11, s1
	s_add_i32 s0, s27, s0
	v_add_co_ci_u32_e32 v4, vcc_lo, s16, v4, vcc_lo
	s_add_i32 s27, s0, s11
	s_mov_b32 s16, s3
	s_lshl_b64 s[10:11], s[26:27], 1
	s_mov_b32 s17, s3
	.p2align	6
.LBB357_2:                              ; =>This Inner Loop Header: Depth=1
	global_load_u16 v7, v[3:4], off
	global_load_u16 v8, v[1:2], off
	v_add_co_u32 v1, s0, v1, s8
	s_delay_alu instid0(VALU_DEP_1)
	v_add_co_ci_u32_e64 v2, s0, s9, v2, s0
	s_add_i32 s18, s17, 1
	v_cmp_le_i32_e32 vcc_lo, s13, v6
	v_add_co_u32 v3, s0, v3, s10
	s_cmp_gt_u32 s17, 2
	v_add_co_ci_u32_e64 v4, s0, s11, v4, s0
	s_cselect_b32 s0, -1, 0
	v_add_nc_u32_e32 v6, s1, v6
	s_or_b32 s0, s0, vcc_lo
	s_mov_b32 s17, s18
	s_and_b32 s0, exec_lo, s0
	s_delay_alu instid0(SALU_CYCLE_1)
	s_or_b32 s16, s0, s16
	s_waitcnt vmcnt(0)
	v_fmac_f16_e32 v5, v7, v8
	s_and_not1_b32 exec_lo, exec_lo, s16
	s_cbranch_execnz .LBB357_2
; %bb.3:
	s_or_b32 exec_lo, exec_lo, s16
.LBB357_4:
	s_delay_alu instid0(SALU_CYCLE_1) | instskip(SKIP_2) | instid1(VALU_DEP_2)
	s_or_b32 exec_lo, exec_lo, s15
	v_and_b32_e32 v3, 31, v0
	v_cmp_gt_u32_e32 vcc_lo, 32, v0
	v_lshlrev_b32_e32 v1, 1, v3
	s_and_saveexec_b32 s0, vcc_lo
	s_cbranch_execz .LBB357_6
; %bb.5:
	v_mov_b32_e32 v2, 0
	ds_store_b16 v1, v2
.LBB357_6:
	s_or_b32 exec_lo, exec_lo, s0
	v_mbcnt_lo_u32_b32 v6, -1, 0
	v_and_b32_e32 v4, 0xffff, v5
	s_mov_b32 s1, exec_lo
	s_waitcnt lgkmcnt(0)
	s_barrier
	v_cmp_gt_u32_e64 s0, 16, v6
	buffer_gl0_inv
	v_cndmask_b32_e64 v2, 0, 1, s0
	v_cmp_gt_u32_e64 s0, 24, v6
	s_delay_alu instid0(VALU_DEP_2) | instskip(NEXT) | instid1(VALU_DEP_1)
	v_lshlrev_b32_e32 v2, 4, v2
	v_add_lshl_u32 v2, v2, v6, 2
	ds_bpermute_b32 v4, v2, v4
	v_cndmask_b32_e64 v2, 0, 1, s0
	v_cmp_gt_u32_e64 s0, 28, v6
	s_delay_alu instid0(VALU_DEP_2) | instskip(NEXT) | instid1(VALU_DEP_1)
	v_lshlrev_b32_e32 v2, 3, v2
	v_add_lshl_u32 v2, v2, v6, 2
	s_waitcnt lgkmcnt(0)
	v_add_f16_e32 v5, v5, v4
	s_delay_alu instid0(VALU_DEP_1) | instskip(NEXT) | instid1(VALU_DEP_1)
	v_and_b32_e32 v7, 0xffff, v5
	v_and_or_b32 v4, 0xffff0000, v4, v7
	ds_bpermute_b32 v7, v2, v4
	v_cndmask_b32_e64 v4, 0, 1, s0
	v_cmp_gt_u32_e64 s0, 30, v6
	s_delay_alu instid0(VALU_DEP_2) | instskip(NEXT) | instid1(VALU_DEP_1)
	v_lshlrev_b32_e32 v4, 2, v4
	v_add_lshl_u32 v4, v4, v6, 2
	s_waitcnt lgkmcnt(0)
	v_add_f16_e32 v5, v5, v7
	s_delay_alu instid0(VALU_DEP_1) | instskip(NEXT) | instid1(VALU_DEP_1)
	v_and_b32_e32 v8, 0xffff, v5
	v_and_or_b32 v7, 0xffff0000, v7, v8
	v_cndmask_b32_e64 v8, 0, 1, s0
	v_cmp_ne_u32_e64 s0, 31, v6
	ds_bpermute_b32 v7, v4, v7
	s_waitcnt lgkmcnt(0)
	v_add_f16_e32 v9, v5, v7
	v_lshlrev_b32_e32 v5, 1, v8
	s_delay_alu instid0(VALU_DEP_2) | instskip(NEXT) | instid1(VALU_DEP_2)
	v_and_b32_e32 v8, 0xffff, v9
	v_add_lshl_u32 v5, v5, v6, 2
	v_add_co_ci_u32_e64 v6, s0, 0, v6, s0
	s_delay_alu instid0(VALU_DEP_3) | instskip(NEXT) | instid1(VALU_DEP_2)
	v_and_or_b32 v7, 0xffff0000, v7, v8
	v_lshlrev_b32_e32 v6, 2, v6
	ds_bpermute_b32 v8, v5, v7
	s_waitcnt lgkmcnt(0)
	v_add_f16_e32 v7, v9, v8
	s_delay_alu instid0(VALU_DEP_1) | instskip(NEXT) | instid1(VALU_DEP_1)
	v_and_b32_e32 v9, 0xffff, v7
	v_and_or_b32 v8, 0xffff0000, v8, v9
	ds_bpermute_b32 v8, v6, v8
	v_cmpx_eq_u32_e32 0, v3
	s_cbranch_execz .LBB357_8
; %bb.7:
	v_lshrrev_b32_e32 v3, 4, v0
	s_waitcnt lgkmcnt(0)
	v_add_f16_e32 v7, v7, v8
	s_delay_alu instid0(VALU_DEP_2)
	v_and_b32_e32 v3, 30, v3
	ds_store_b16 v3, v7
.LBB357_8:
	s_or_b32 exec_lo, exec_lo, s1
	v_mov_b32_e32 v3, 0
	s_mov_b32 s1, exec_lo
	s_waitcnt lgkmcnt(0)
	s_barrier
	buffer_gl0_inv
	v_cmpx_gt_u32_e32 16, v0
	s_cbranch_execz .LBB357_10
; %bb.9:
	ds_load_u16 v3, v1
.LBB357_10:
	s_or_b32 exec_lo, exec_lo, s1
	s_and_saveexec_b32 s0, vcc_lo
	s_cbranch_execz .LBB357_12
; %bb.11:
	s_waitcnt lgkmcnt(0)
	v_and_b32_e32 v1, 0xffff, v3
	ds_bpermute_b32 v1, v2, v1
	s_waitcnt lgkmcnt(0)
	v_add_f16_e32 v2, v3, v1
	s_delay_alu instid0(VALU_DEP_1) | instskip(NEXT) | instid1(VALU_DEP_1)
	v_and_b32_e32 v3, 0xffff, v2
	v_and_or_b32 v1, 0xffff0000, v1, v3
	ds_bpermute_b32 v1, v4, v1
	s_waitcnt lgkmcnt(0)
	v_add_f16_e32 v2, v2, v1
	s_delay_alu instid0(VALU_DEP_1) | instskip(NEXT) | instid1(VALU_DEP_1)
	v_and_b32_e32 v3, 0xffff, v2
	v_and_or_b32 v1, 0xffff0000, v1, v3
	;; [unrolled: 6-line block ×3, first 2 shown]
	ds_bpermute_b32 v1, v6, v1
	s_waitcnt lgkmcnt(0)
	v_add_f16_e32 v3, v2, v1
.LBB357_12:
	s_or_b32 exec_lo, exec_lo, s0
	s_delay_alu instid0(SALU_CYCLE_1)
	s_mov_b32 s0, exec_lo
	v_cmpx_eq_u32_e32 0, v0
	s_cbranch_execz .LBB357_17
; %bb.13:
	s_cmp_lg_u32 s12, 1
	s_mov_b32 s15, -1
	s_cbranch_scc0 .LBB357_15
; %bb.14:
	s_mul_hi_u32 s1, s12, s2
	s_mul_i32 s0, s12, s2
	s_mov_b32 s15, 0
	s_lshl_b64 s[0:1], s[0:1], 1
	v_mov_b32_e32 v0, 0
	s_add_u32 s4, s4, s0
	s_addc_u32 s5, s5, s1
	s_lshl_b64 s[0:1], s[14:15], 1
	s_delay_alu instid0(SALU_CYCLE_1)
	s_add_u32 s0, s4, s0
	s_addc_u32 s1, s5, s1
	s_waitcnt lgkmcnt(0)
	global_store_b16 v0, v3, s[0:1]
.LBB357_15:
	s_and_not1_b32 vcc_lo, exec_lo, s15
	s_cbranch_vccnz .LBB357_17
; %bb.16:
	s_waitcnt lgkmcnt(0)
	v_cvt_f32_f16_e32 v0, v3
	s_lshl_b64 s[0:1], s[2:3], 2
	v_mov_b32_e32 v1, 0
	s_add_u32 s0, s6, s0
	s_addc_u32 s1, s7, s1
	global_store_b32 v1, v0, s[0:1]
.LBB357_17:
	s_nop 0
	s_sendmsg sendmsg(MSG_DEALLOC_VGPRS)
	s_endpgm
	.section	.rodata,"a",@progbits
	.p2align	6, 0x0
	.amdhsa_kernel _ZL18rocblas_dot_kernelIlLb0ELi512ELi4ELb0EfPKPKDF16_DF16_EviT5_lT_lS4_lS5_liPT6_PT4_
		.amdhsa_group_segment_fixed_size 64
		.amdhsa_private_segment_fixed_size 0
		.amdhsa_kernarg_size 352
		.amdhsa_user_sgpr_count 14
		.amdhsa_user_sgpr_dispatch_ptr 0
		.amdhsa_user_sgpr_queue_ptr 0
		.amdhsa_user_sgpr_kernarg_segment_ptr 1
		.amdhsa_user_sgpr_dispatch_id 0
		.amdhsa_user_sgpr_private_segment_size 0
		.amdhsa_wavefront_size32 1
		.amdhsa_uses_dynamic_stack 0
		.amdhsa_enable_private_segment 0
		.amdhsa_system_sgpr_workgroup_id_x 1
		.amdhsa_system_sgpr_workgroup_id_y 0
		.amdhsa_system_sgpr_workgroup_id_z 1
		.amdhsa_system_sgpr_workgroup_info 0
		.amdhsa_system_vgpr_workitem_id 0
		.amdhsa_next_free_vgpr 12
		.amdhsa_next_free_sgpr 29
		.amdhsa_reserve_vcc 1
		.amdhsa_float_round_mode_32 0
		.amdhsa_float_round_mode_16_64 0
		.amdhsa_float_denorm_mode_32 3
		.amdhsa_float_denorm_mode_16_64 3
		.amdhsa_dx10_clamp 1
		.amdhsa_ieee_mode 1
		.amdhsa_fp16_overflow 0
		.amdhsa_workgroup_processor_mode 1
		.amdhsa_memory_ordered 1
		.amdhsa_forward_progress 0
		.amdhsa_shared_vgpr_count 0
		.amdhsa_exception_fp_ieee_invalid_op 0
		.amdhsa_exception_fp_denorm_src 0
		.amdhsa_exception_fp_ieee_div_zero 0
		.amdhsa_exception_fp_ieee_overflow 0
		.amdhsa_exception_fp_ieee_underflow 0
		.amdhsa_exception_fp_ieee_inexact 0
		.amdhsa_exception_int_div_zero 0
	.end_amdhsa_kernel
	.section	.text._ZL18rocblas_dot_kernelIlLb0ELi512ELi4ELb0EfPKPKDF16_DF16_EviT5_lT_lS4_lS5_liPT6_PT4_,"axG",@progbits,_ZL18rocblas_dot_kernelIlLb0ELi512ELi4ELb0EfPKPKDF16_DF16_EviT5_lT_lS4_lS5_liPT6_PT4_,comdat
.Lfunc_end357:
	.size	_ZL18rocblas_dot_kernelIlLb0ELi512ELi4ELb0EfPKPKDF16_DF16_EviT5_lT_lS4_lS5_liPT6_PT4_, .Lfunc_end357-_ZL18rocblas_dot_kernelIlLb0ELi512ELi4ELb0EfPKPKDF16_DF16_EviT5_lT_lS4_lS5_liPT6_PT4_
                                        ; -- End function
	.section	.AMDGPU.csdata,"",@progbits
; Kernel info:
; codeLenInByte = 1256
; NumSgprs: 31
; NumVgprs: 12
; ScratchSize: 0
; MemoryBound: 0
; FloatMode: 240
; IeeeMode: 1
; LDSByteSize: 64 bytes/workgroup (compile time only)
; SGPRBlocks: 3
; VGPRBlocks: 1
; NumSGPRsForWavesPerEU: 31
; NumVGPRsForWavesPerEU: 12
; Occupancy: 16
; WaveLimiterHint : 0
; COMPUTE_PGM_RSRC2:SCRATCH_EN: 0
; COMPUTE_PGM_RSRC2:USER_SGPR: 14
; COMPUTE_PGM_RSRC2:TRAP_HANDLER: 0
; COMPUTE_PGM_RSRC2:TGID_X_EN: 1
; COMPUTE_PGM_RSRC2:TGID_Y_EN: 0
; COMPUTE_PGM_RSRC2:TGID_Z_EN: 1
; COMPUTE_PGM_RSRC2:TIDIG_COMP_CNT: 0
	.section	.text._ZL24rocblas_dot_kernel_magsqIlLb0ELi512ELi4ELb0EfPKPKDF16_DF16_EviT5_lT_liPT6_PT4_,"axG",@progbits,_ZL24rocblas_dot_kernel_magsqIlLb0ELi512ELi4ELb0EfPKPKDF16_DF16_EviT5_lT_liPT6_PT4_,comdat
	.globl	_ZL24rocblas_dot_kernel_magsqIlLb0ELi512ELi4ELb0EfPKPKDF16_DF16_EviT5_lT_liPT6_PT4_ ; -- Begin function _ZL24rocblas_dot_kernel_magsqIlLb0ELi512ELi4ELb0EfPKPKDF16_DF16_EviT5_lT_liPT6_PT4_
	.p2align	8
	.type	_ZL24rocblas_dot_kernel_magsqIlLb0ELi512ELi4ELb0EfPKPKDF16_DF16_EviT5_lT_liPT6_PT4_,@function
_ZL24rocblas_dot_kernel_magsqIlLb0ELi512ELi4ELb0EfPKPKDF16_DF16_EviT5_lT_liPT6_PT4_: ; @_ZL24rocblas_dot_kernel_magsqIlLb0ELi512ELi4ELb0EfPKPKDF16_DF16_EviT5_lT_liPT6_PT4_
; %bb.0:
	s_clause 0x2
	s_load_b32 s11, s[0:1], 0x0
	s_load_b128 s[4:7], s[0:1], 0x30
	s_load_b32 s10, s[0:1], 0x40
	v_lshl_or_b32 v1, s14, 9, v0
	v_mov_b32_e32 v3, 0
	s_mov_b32 s8, s15
	s_mov_b32 s9, 0
	s_mov_b32 s12, exec_lo
	s_waitcnt lgkmcnt(0)
	v_cmpx_gt_i32_e64 s11, v1
	s_cbranch_execz .LBB358_4
; %bb.1:
	s_clause 0x1
	s_load_b64 s[16:17], s[0:1], 0x8
	s_load_b128 s[0:3], s[0:1], 0x10
	s_lshl_b64 s[18:19], s[8:9], 3
	v_ashrrev_i32_e32 v2, 31, v1
	s_waitcnt lgkmcnt(0)
	s_add_u32 s16, s16, s18
	s_addc_u32 s17, s17, s19
	v_mul_lo_u32 v4, s3, v1
	s_load_b64 s[16:17], s[16:17], 0x0
	v_mul_lo_u32 v2, s2, v2
	v_mad_u64_u32 v[5:6], null, s2, v1, 0
	s_lshl_b32 s13, s10, 9
	v_mov_b32_e32 v3, 0
	s_lshl_b64 s[0:1], s[0:1], 1
	s_mul_hi_u32 s15, s2, s13
	s_mul_i32 s3, s3, s13
	s_delay_alu instid0(VALU_DEP_2) | instskip(SKIP_1) | instid1(VALU_DEP_2)
	v_add3_u32 v6, v6, v2, v4
	v_add_nc_u32_e32 v4, s13, v1
	v_lshlrev_b64 v[1:2], 1, v[5:6]
	s_waitcnt lgkmcnt(0)
	s_add_u32 s0, s16, s0
	s_addc_u32 s1, s17, s1
	s_ashr_i32 s16, s13, 31
	s_delay_alu instid0(VALU_DEP_1)
	v_add_co_u32 v1, vcc_lo, s0, v1
	s_mul_i32 s16, s2, s16
	v_add_co_ci_u32_e32 v2, vcc_lo, s1, v2, vcc_lo
	s_add_i32 s15, s15, s16
	s_mul_i32 s2, s2, s13
	s_add_i32 s3, s15, s3
	s_mov_b32 s1, s9
	s_lshl_b64 s[2:3], s[2:3], 1
	s_mov_b32 s15, s9
	.p2align	6
.LBB358_2:                              ; =>This Inner Loop Header: Depth=1
	global_load_u16 v5, v[1:2], off
	s_add_i32 s16, s15, 1
	v_cmp_le_i32_e32 vcc_lo, s11, v4
	v_add_co_u32 v1, s0, v1, s2
	s_cmp_gt_u32 s15, 2
	v_add_co_ci_u32_e64 v2, s0, s3, v2, s0
	s_cselect_b32 s0, -1, 0
	v_add_nc_u32_e32 v4, s13, v4
	s_or_b32 s0, s0, vcc_lo
	s_mov_b32 s15, s16
	s_and_b32 s0, exec_lo, s0
	s_delay_alu instid0(SALU_CYCLE_1)
	s_or_b32 s1, s0, s1
	s_waitcnt vmcnt(0)
	v_fmac_f16_e32 v3, v5, v5
	s_and_not1_b32 exec_lo, exec_lo, s1
	s_cbranch_execnz .LBB358_2
; %bb.3:
	s_or_b32 exec_lo, exec_lo, s1
.LBB358_4:
	s_delay_alu instid0(SALU_CYCLE_1) | instskip(SKIP_2) | instid1(VALU_DEP_2)
	s_or_b32 exec_lo, exec_lo, s12
	v_and_b32_e32 v5, 31, v0
	v_cmp_gt_u32_e32 vcc_lo, 32, v0
	v_lshlrev_b32_e32 v1, 1, v5
	s_and_saveexec_b32 s0, vcc_lo
	s_cbranch_execz .LBB358_6
; %bb.5:
	v_mov_b32_e32 v2, 0
	ds_store_b16 v1, v2
.LBB358_6:
	s_or_b32 exec_lo, exec_lo, s0
	v_mbcnt_lo_u32_b32 v7, -1, 0
	v_and_b32_e32 v4, 0xffff, v3
	s_mov_b32 s1, exec_lo
	s_waitcnt lgkmcnt(0)
	s_barrier
	v_cmp_gt_u32_e64 s0, 16, v7
	buffer_gl0_inv
	v_cndmask_b32_e64 v2, 0, 1, s0
	v_cmp_gt_u32_e64 s0, 24, v7
	s_delay_alu instid0(VALU_DEP_2) | instskip(NEXT) | instid1(VALU_DEP_1)
	v_lshlrev_b32_e32 v2, 4, v2
	v_add_lshl_u32 v2, v2, v7, 2
	ds_bpermute_b32 v4, v2, v4
	v_cndmask_b32_e64 v2, 0, 1, s0
	v_cmp_gt_u32_e64 s0, 28, v7
	s_delay_alu instid0(VALU_DEP_2) | instskip(NEXT) | instid1(VALU_DEP_1)
	v_lshlrev_b32_e32 v2, 3, v2
	v_add_lshl_u32 v2, v2, v7, 2
	s_waitcnt lgkmcnt(0)
	v_add_f16_e32 v3, v3, v4
	s_delay_alu instid0(VALU_DEP_1) | instskip(NEXT) | instid1(VALU_DEP_1)
	v_and_b32_e32 v6, 0xffff, v3
	v_and_or_b32 v4, 0xffff0000, v4, v6
	ds_bpermute_b32 v6, v2, v4
	v_cndmask_b32_e64 v4, 0, 1, s0
	v_cmp_gt_u32_e64 s0, 30, v7
	s_delay_alu instid0(VALU_DEP_2) | instskip(NEXT) | instid1(VALU_DEP_1)
	v_lshlrev_b32_e32 v4, 2, v4
	v_add_lshl_u32 v4, v4, v7, 2
	s_waitcnt lgkmcnt(0)
	v_add_f16_e32 v3, v3, v6
	s_delay_alu instid0(VALU_DEP_1) | instskip(NEXT) | instid1(VALU_DEP_1)
	v_and_b32_e32 v8, 0xffff, v3
	v_and_or_b32 v6, 0xffff0000, v6, v8
	ds_bpermute_b32 v8, v4, v6
	v_cndmask_b32_e64 v6, 0, 1, s0
	v_cmp_ne_u32_e64 s0, 31, v7
	s_delay_alu instid0(VALU_DEP_2) | instskip(NEXT) | instid1(VALU_DEP_1)
	v_lshlrev_b32_e32 v6, 1, v6
	v_add_lshl_u32 v6, v6, v7, 2
	s_delay_alu instid0(VALU_DEP_3) | instskip(NEXT) | instid1(VALU_DEP_1)
	v_add_co_ci_u32_e64 v7, s0, 0, v7, s0
	v_lshlrev_b32_e32 v7, 2, v7
	s_waitcnt lgkmcnt(0)
	v_add_f16_e32 v3, v3, v8
	s_delay_alu instid0(VALU_DEP_1) | instskip(NEXT) | instid1(VALU_DEP_1)
	v_and_b32_e32 v9, 0xffff, v3
	v_and_or_b32 v8, 0xffff0000, v8, v9
	ds_bpermute_b32 v8, v6, v8
	s_waitcnt lgkmcnt(0)
	v_add_f16_e32 v3, v3, v8
	s_delay_alu instid0(VALU_DEP_1) | instskip(NEXT) | instid1(VALU_DEP_1)
	v_and_b32_e32 v9, 0xffff, v3
	v_and_or_b32 v8, 0xffff0000, v8, v9
	ds_bpermute_b32 v8, v7, v8
	v_cmpx_eq_u32_e32 0, v5
	s_cbranch_execz .LBB358_8
; %bb.7:
	v_lshrrev_b32_e32 v5, 4, v0
	s_waitcnt lgkmcnt(0)
	v_add_f16_e32 v3, v3, v8
	s_delay_alu instid0(VALU_DEP_2)
	v_and_b32_e32 v5, 30, v5
	ds_store_b16 v5, v3
.LBB358_8:
	s_or_b32 exec_lo, exec_lo, s1
	v_mov_b32_e32 v3, 0
	s_mov_b32 s1, exec_lo
	s_waitcnt lgkmcnt(0)
	s_barrier
	buffer_gl0_inv
	v_cmpx_gt_u32_e32 16, v0
	s_cbranch_execz .LBB358_10
; %bb.9:
	ds_load_u16 v3, v1
.LBB358_10:
	s_or_b32 exec_lo, exec_lo, s1
	s_and_saveexec_b32 s0, vcc_lo
	s_cbranch_execz .LBB358_12
; %bb.11:
	s_waitcnt lgkmcnt(0)
	v_and_b32_e32 v1, 0xffff, v3
	ds_bpermute_b32 v1, v2, v1
	s_waitcnt lgkmcnt(0)
	v_add_f16_e32 v2, v3, v1
	s_delay_alu instid0(VALU_DEP_1) | instskip(NEXT) | instid1(VALU_DEP_1)
	v_and_b32_e32 v3, 0xffff, v2
	v_and_or_b32 v1, 0xffff0000, v1, v3
	ds_bpermute_b32 v1, v4, v1
	s_waitcnt lgkmcnt(0)
	v_add_f16_e32 v2, v2, v1
	s_delay_alu instid0(VALU_DEP_1) | instskip(NEXT) | instid1(VALU_DEP_1)
	v_and_b32_e32 v3, 0xffff, v2
	v_and_or_b32 v1, 0xffff0000, v1, v3
	;; [unrolled: 6-line block ×3, first 2 shown]
	ds_bpermute_b32 v1, v7, v1
	s_waitcnt lgkmcnt(0)
	v_add_f16_e32 v3, v2, v1
.LBB358_12:
	s_or_b32 exec_lo, exec_lo, s0
	s_delay_alu instid0(SALU_CYCLE_1)
	s_mov_b32 s0, exec_lo
	v_cmpx_eq_u32_e32 0, v0
	s_cbranch_execz .LBB358_17
; %bb.13:
	s_cmp_lg_u32 s10, 1
	s_mov_b32 s15, -1
	s_cbranch_scc0 .LBB358_15
; %bb.14:
	s_mul_hi_u32 s1, s10, s8
	s_mul_i32 s0, s10, s8
	s_mov_b32 s15, 0
	s_lshl_b64 s[0:1], s[0:1], 1
	v_mov_b32_e32 v0, 0
	s_add_u32 s2, s4, s0
	s_addc_u32 s3, s5, s1
	s_lshl_b64 s[0:1], s[14:15], 1
	s_delay_alu instid0(SALU_CYCLE_1)
	s_add_u32 s0, s2, s0
	s_addc_u32 s1, s3, s1
	s_waitcnt lgkmcnt(0)
	global_store_b16 v0, v3, s[0:1]
.LBB358_15:
	s_and_not1_b32 vcc_lo, exec_lo, s15
	s_cbranch_vccnz .LBB358_17
; %bb.16:
	s_waitcnt lgkmcnt(0)
	v_cvt_f32_f16_e32 v0, v3
	s_lshl_b64 s[0:1], s[8:9], 2
	v_mov_b32_e32 v1, 0
	s_add_u32 s0, s6, s0
	s_addc_u32 s1, s7, s1
	global_store_b32 v1, v0, s[0:1]
.LBB358_17:
	s_nop 0
	s_sendmsg sendmsg(MSG_DEALLOC_VGPRS)
	s_endpgm
	.section	.rodata,"a",@progbits
	.p2align	6, 0x0
	.amdhsa_kernel _ZL24rocblas_dot_kernel_magsqIlLb0ELi512ELi4ELb0EfPKPKDF16_DF16_EviT5_lT_liPT6_PT4_
		.amdhsa_group_segment_fixed_size 64
		.amdhsa_private_segment_fixed_size 0
		.amdhsa_kernarg_size 320
		.amdhsa_user_sgpr_count 14
		.amdhsa_user_sgpr_dispatch_ptr 0
		.amdhsa_user_sgpr_queue_ptr 0
		.amdhsa_user_sgpr_kernarg_segment_ptr 1
		.amdhsa_user_sgpr_dispatch_id 0
		.amdhsa_user_sgpr_private_segment_size 0
		.amdhsa_wavefront_size32 1
		.amdhsa_uses_dynamic_stack 0
		.amdhsa_enable_private_segment 0
		.amdhsa_system_sgpr_workgroup_id_x 1
		.amdhsa_system_sgpr_workgroup_id_y 0
		.amdhsa_system_sgpr_workgroup_id_z 1
		.amdhsa_system_sgpr_workgroup_info 0
		.amdhsa_system_vgpr_workitem_id 0
		.amdhsa_next_free_vgpr 10
		.amdhsa_next_free_sgpr 20
		.amdhsa_reserve_vcc 1
		.amdhsa_float_round_mode_32 0
		.amdhsa_float_round_mode_16_64 0
		.amdhsa_float_denorm_mode_32 3
		.amdhsa_float_denorm_mode_16_64 3
		.amdhsa_dx10_clamp 1
		.amdhsa_ieee_mode 1
		.amdhsa_fp16_overflow 0
		.amdhsa_workgroup_processor_mode 1
		.amdhsa_memory_ordered 1
		.amdhsa_forward_progress 0
		.amdhsa_shared_vgpr_count 0
		.amdhsa_exception_fp_ieee_invalid_op 0
		.amdhsa_exception_fp_denorm_src 0
		.amdhsa_exception_fp_ieee_div_zero 0
		.amdhsa_exception_fp_ieee_overflow 0
		.amdhsa_exception_fp_ieee_underflow 0
		.amdhsa_exception_fp_ieee_inexact 0
		.amdhsa_exception_int_div_zero 0
	.end_amdhsa_kernel
	.section	.text._ZL24rocblas_dot_kernel_magsqIlLb0ELi512ELi4ELb0EfPKPKDF16_DF16_EviT5_lT_liPT6_PT4_,"axG",@progbits,_ZL24rocblas_dot_kernel_magsqIlLb0ELi512ELi4ELb0EfPKPKDF16_DF16_EviT5_lT_liPT6_PT4_,comdat
.Lfunc_end358:
	.size	_ZL24rocblas_dot_kernel_magsqIlLb0ELi512ELi4ELb0EfPKPKDF16_DF16_EviT5_lT_liPT6_PT4_, .Lfunc_end358-_ZL24rocblas_dot_kernel_magsqIlLb0ELi512ELi4ELb0EfPKPKDF16_DF16_EviT5_lT_liPT6_PT4_
                                        ; -- End function
	.section	.AMDGPU.csdata,"",@progbits
; Kernel info:
; codeLenInByte = 1108
; NumSgprs: 22
; NumVgprs: 10
; ScratchSize: 0
; MemoryBound: 0
; FloatMode: 240
; IeeeMode: 1
; LDSByteSize: 64 bytes/workgroup (compile time only)
; SGPRBlocks: 2
; VGPRBlocks: 1
; NumSGPRsForWavesPerEU: 22
; NumVGPRsForWavesPerEU: 10
; Occupancy: 16
; WaveLimiterHint : 0
; COMPUTE_PGM_RSRC2:SCRATCH_EN: 0
; COMPUTE_PGM_RSRC2:USER_SGPR: 14
; COMPUTE_PGM_RSRC2:TRAP_HANDLER: 0
; COMPUTE_PGM_RSRC2:TGID_X_EN: 1
; COMPUTE_PGM_RSRC2:TGID_Y_EN: 0
; COMPUTE_PGM_RSRC2:TGID_Z_EN: 1
; COMPUTE_PGM_RSRC2:TIDIG_COMP_CNT: 0
	.section	.text._ZL28rocblas_dot_batched_4_kernelIlLi32ELi4ELb0EffPK16rocblas_bfloat16EviT5_lT_lS3_lS4_liPT4_,"axG",@progbits,_ZL28rocblas_dot_batched_4_kernelIlLi32ELi4ELb0EffPK16rocblas_bfloat16EviT5_lT_lS3_lS4_liPT4_,comdat
	.globl	_ZL28rocblas_dot_batched_4_kernelIlLi32ELi4ELb0EffPK16rocblas_bfloat16EviT5_lT_lS3_lS4_liPT4_ ; -- Begin function _ZL28rocblas_dot_batched_4_kernelIlLi32ELi4ELb0EffPK16rocblas_bfloat16EviT5_lT_lS3_lS4_liPT4_
	.p2align	8
	.type	_ZL28rocblas_dot_batched_4_kernelIlLi32ELi4ELb0EffPK16rocblas_bfloat16EviT5_lT_lS3_lS4_liPT4_,@function
_ZL28rocblas_dot_batched_4_kernelIlLi32ELi4ELb0EffPK16rocblas_bfloat16EviT5_lT_lS3_lS4_liPT4_: ; @_ZL28rocblas_dot_batched_4_kernelIlLi32ELi4ELb0EffPK16rocblas_bfloat16EviT5_lT_lS3_lS4_liPT4_
; %bb.0:
	s_load_b32 s2, s[0:1], 0x48
	v_bfe_u32 v1, v0, 10, 10
	s_delay_alu instid0(VALU_DEP_1) | instskip(SKIP_1) | instid1(VALU_DEP_1)
	v_lshl_add_u32 v1, s15, 2, v1
	s_waitcnt lgkmcnt(0)
	v_cmp_gt_u32_e32 vcc_lo, s2, v1
	s_and_saveexec_b32 s2, vcc_lo
	s_cbranch_execz .LBB359_7
; %bb.1:
	s_clause 0x1
	s_load_b32 s16, s[0:1], 0x0
	s_load_b64 s[2:3], s[0:1], 0x50
	v_mov_b32_e32 v2, 0
	v_and_b32_e32 v0, 0x3ff, v0
	s_mov_b32 s17, exec_lo
	s_delay_alu instid0(VALU_DEP_2) | instskip(SKIP_1) | instid1(VALU_DEP_2)
	v_mov_b32_e32 v7, v2
	s_waitcnt lgkmcnt(0)
	v_cmpx_gt_i32_e64 s16, v0
	s_cbranch_execz .LBB359_5
; %bb.2:
	s_clause 0x3
	s_load_b128 s[12:15], s[0:1], 0x10
	s_load_b256 s[4:11], s[0:1], 0x20
	s_load_b64 s[18:19], s[0:1], 0x40
	s_load_b64 s[0:1], s[0:1], 0x8
	s_waitcnt lgkmcnt(0)
	v_mad_u64_u32 v[3:4], null, s14, v0, 0
	v_mad_u64_u32 v[5:6], null, s4, v1, 0
	;; [unrolled: 1-line block ×4, first 2 shown]
	s_lshl_b64 s[12:13], s[12:13], 1
	s_delay_alu instid0(VALU_DEP_3) | instskip(SKIP_4) | instid1(VALU_DEP_2)
	v_mad_u64_u32 v[12:13], null, s15, v0, v[4:5]
	v_mov_b32_e32 v7, 0
	s_add_u32 s12, s0, s12
	s_addc_u32 s13, s1, s13
	s_lshl_b64 s[0:1], s[8:9], 1
	v_mov_b32_e32 v4, v12
	v_mad_u64_u32 v[13:14], null, s5, v1, v[6:7]
	v_mad_u64_u32 v[14:15], null, s11, v0, v[9:10]
	;; [unrolled: 1-line block ×3, first 2 shown]
	s_delay_alu instid0(VALU_DEP_4) | instskip(SKIP_1) | instid1(VALU_DEP_4)
	v_lshlrev_b64 v[3:4], 1, v[3:4]
	s_lshl_b64 s[4:5], s[14:15], 6
	v_mov_b32_e32 v6, v13
	s_add_u32 s0, s6, s0
	s_delay_alu instid0(VALU_DEP_4) | instskip(SKIP_1) | instid1(VALU_DEP_4)
	v_mov_b32_e32 v9, v14
	s_addc_u32 s1, s7, s1
	v_mov_b32_e32 v11, v15
	v_lshlrev_b64 v[5:6], 1, v[5:6]
	s_lshl_b64 s[6:7], s[10:11], 6
	v_lshlrev_b64 v[8:9], 1, v[8:9]
	s_delay_alu instid0(VALU_DEP_3) | instskip(NEXT) | instid1(VALU_DEP_3)
	v_lshlrev_b64 v[10:11], 1, v[10:11]
	v_add_co_u32 v3, vcc_lo, v3, v5
	s_delay_alu instid0(VALU_DEP_4) | instskip(NEXT) | instid1(VALU_DEP_3)
	v_add_co_ci_u32_e32 v4, vcc_lo, v4, v6, vcc_lo
	v_add_co_u32 v5, vcc_lo, v8, v10
	v_mov_b32_e32 v8, v0
	v_add_co_ci_u32_e32 v6, vcc_lo, v9, v11, vcc_lo
	v_add_co_u32 v3, vcc_lo, s12, v3
	v_add_co_ci_u32_e32 v4, vcc_lo, s13, v4, vcc_lo
	v_add_co_u32 v5, vcc_lo, s0, v5
	s_delay_alu instid0(VALU_DEP_4)
	v_add_co_ci_u32_e32 v6, vcc_lo, s1, v6, vcc_lo
	s_mov_b32 s1, 0
	.p2align	6
.LBB359_3:                              ; =>This Inner Loop Header: Depth=1
	global_load_u16 v9, v[5:6], off
	global_load_u16 v10, v[3:4], off
	v_add_co_u32 v3, vcc_lo, v3, s4
	v_add_co_ci_u32_e32 v4, vcc_lo, s5, v4, vcc_lo
	v_add_co_u32 v5, vcc_lo, v5, s6
	v_add_co_ci_u32_e32 v6, vcc_lo, s7, v6, vcc_lo
	s_waitcnt vmcnt(1)
	v_lshlrev_b32_e32 v9, 16, v9
	s_waitcnt vmcnt(0)
	v_lshlrev_b32_e32 v10, 16, v10
	s_delay_alu instid0(VALU_DEP_1) | instskip(NEXT) | instid1(VALU_DEP_1)
	v_dual_fmac_f32 v7, v10, v9 :: v_dual_add_nc_u32 v8, 32, v8
	v_cmp_le_i32_e64 s0, s16, v8
	s_delay_alu instid0(VALU_DEP_1) | instskip(NEXT) | instid1(SALU_CYCLE_1)
	s_or_b32 s1, s0, s1
	s_and_not1_b32 exec_lo, exec_lo, s1
	s_cbranch_execnz .LBB359_3
; %bb.4:
	s_or_b32 exec_lo, exec_lo, s1
.LBB359_5:
	s_delay_alu instid0(SALU_CYCLE_1)
	s_or_b32 exec_lo, exec_lo, s17
	v_mbcnt_lo_u32_b32 v3, -1, 0
	s_barrier
	buffer_gl0_inv
	v_cmp_gt_u32_e32 vcc_lo, 16, v3
	v_cndmask_b32_e64 v4, 0, 1, vcc_lo
	v_cmp_gt_u32_e32 vcc_lo, 24, v3
	s_delay_alu instid0(VALU_DEP_2) | instskip(SKIP_2) | instid1(VALU_DEP_3)
	v_lshlrev_b32_e32 v4, 4, v4
	v_cndmask_b32_e64 v5, 0, 1, vcc_lo
	v_cmp_gt_u32_e32 vcc_lo, 28, v3
	v_add_lshl_u32 v4, v4, v3, 2
	v_cndmask_b32_e64 v6, 0, 1, vcc_lo
	v_cmp_gt_u32_e32 vcc_lo, 30, v3
	ds_bpermute_b32 v4, v4, v7
	v_lshlrev_b32_e32 v5, 3, v5
	v_lshlrev_b32_e32 v6, 2, v6
	s_delay_alu instid0(VALU_DEP_1)
	v_add_lshl_u32 v6, v6, v3, 2
	s_waitcnt lgkmcnt(0)
	v_add_f32_e32 v4, v7, v4
	v_add_lshl_u32 v5, v5, v3, 2
	ds_bpermute_b32 v5, v5, v4
	s_waitcnt lgkmcnt(0)
	v_add_f32_e32 v4, v4, v5
	ds_bpermute_b32 v5, v6, v4
	v_cndmask_b32_e64 v6, 0, 1, vcc_lo
	v_cmp_ne_u32_e32 vcc_lo, 31, v3
	s_delay_alu instid0(VALU_DEP_2) | instskip(NEXT) | instid1(VALU_DEP_1)
	v_lshlrev_b32_e32 v6, 1, v6
	v_add_lshl_u32 v6, v6, v3, 2
	s_waitcnt lgkmcnt(0)
	v_add_f32_e32 v4, v4, v5
	ds_bpermute_b32 v5, v6, v4
	v_add_co_ci_u32_e32 v6, vcc_lo, 0, v3, vcc_lo
	v_cmp_eq_u32_e32 vcc_lo, 0, v0
	s_waitcnt lgkmcnt(0)
	s_delay_alu instid0(VALU_DEP_2)
	v_dual_add_f32 v3, v4, v5 :: v_dual_lshlrev_b32 v4, 2, v6
	ds_bpermute_b32 v4, v4, v3
	s_and_b32 exec_lo, exec_lo, vcc_lo
	s_cbranch_execz .LBB359_7
; %bb.6:
	v_lshlrev_b64 v[0:1], 2, v[1:2]
	s_waitcnt lgkmcnt(0)
	v_add_f32_e32 v2, v3, v4
	s_delay_alu instid0(VALU_DEP_2) | instskip(NEXT) | instid1(VALU_DEP_3)
	v_add_co_u32 v0, vcc_lo, s2, v0
	v_add_co_ci_u32_e32 v1, vcc_lo, s3, v1, vcc_lo
	global_store_b32 v[0:1], v2, off
.LBB359_7:
	s_nop 0
	s_sendmsg sendmsg(MSG_DEALLOC_VGPRS)
	s_endpgm
	.section	.rodata,"a",@progbits
	.p2align	6, 0x0
	.amdhsa_kernel _ZL28rocblas_dot_batched_4_kernelIlLi32ELi4ELb0EffPK16rocblas_bfloat16EviT5_lT_lS3_lS4_liPT4_
		.amdhsa_group_segment_fixed_size 0
		.amdhsa_private_segment_fixed_size 0
		.amdhsa_kernarg_size 88
		.amdhsa_user_sgpr_count 15
		.amdhsa_user_sgpr_dispatch_ptr 0
		.amdhsa_user_sgpr_queue_ptr 0
		.amdhsa_user_sgpr_kernarg_segment_ptr 1
		.amdhsa_user_sgpr_dispatch_id 0
		.amdhsa_user_sgpr_private_segment_size 0
		.amdhsa_wavefront_size32 1
		.amdhsa_uses_dynamic_stack 0
		.amdhsa_enable_private_segment 0
		.amdhsa_system_sgpr_workgroup_id_x 1
		.amdhsa_system_sgpr_workgroup_id_y 0
		.amdhsa_system_sgpr_workgroup_id_z 0
		.amdhsa_system_sgpr_workgroup_info 0
		.amdhsa_system_vgpr_workitem_id 1
		.amdhsa_next_free_vgpr 17
		.amdhsa_next_free_sgpr 20
		.amdhsa_reserve_vcc 1
		.amdhsa_float_round_mode_32 0
		.amdhsa_float_round_mode_16_64 0
		.amdhsa_float_denorm_mode_32 3
		.amdhsa_float_denorm_mode_16_64 3
		.amdhsa_dx10_clamp 1
		.amdhsa_ieee_mode 1
		.amdhsa_fp16_overflow 0
		.amdhsa_workgroup_processor_mode 1
		.amdhsa_memory_ordered 1
		.amdhsa_forward_progress 0
		.amdhsa_shared_vgpr_count 0
		.amdhsa_exception_fp_ieee_invalid_op 0
		.amdhsa_exception_fp_denorm_src 0
		.amdhsa_exception_fp_ieee_div_zero 0
		.amdhsa_exception_fp_ieee_overflow 0
		.amdhsa_exception_fp_ieee_underflow 0
		.amdhsa_exception_fp_ieee_inexact 0
		.amdhsa_exception_int_div_zero 0
	.end_amdhsa_kernel
	.section	.text._ZL28rocblas_dot_batched_4_kernelIlLi32ELi4ELb0EffPK16rocblas_bfloat16EviT5_lT_lS3_lS4_liPT4_,"axG",@progbits,_ZL28rocblas_dot_batched_4_kernelIlLi32ELi4ELb0EffPK16rocblas_bfloat16EviT5_lT_lS3_lS4_liPT4_,comdat
.Lfunc_end359:
	.size	_ZL28rocblas_dot_batched_4_kernelIlLi32ELi4ELb0EffPK16rocblas_bfloat16EviT5_lT_lS3_lS4_liPT4_, .Lfunc_end359-_ZL28rocblas_dot_batched_4_kernelIlLi32ELi4ELb0EffPK16rocblas_bfloat16EviT5_lT_lS3_lS4_liPT4_
                                        ; -- End function
	.section	.AMDGPU.csdata,"",@progbits
; Kernel info:
; codeLenInByte = 756
; NumSgprs: 22
; NumVgprs: 17
; ScratchSize: 0
; MemoryBound: 0
; FloatMode: 240
; IeeeMode: 1
; LDSByteSize: 0 bytes/workgroup (compile time only)
; SGPRBlocks: 2
; VGPRBlocks: 2
; NumSGPRsForWavesPerEU: 22
; NumVGPRsForWavesPerEU: 17
; Occupancy: 16
; WaveLimiterHint : 0
; COMPUTE_PGM_RSRC2:SCRATCH_EN: 0
; COMPUTE_PGM_RSRC2:USER_SGPR: 15
; COMPUTE_PGM_RSRC2:TRAP_HANDLER: 0
; COMPUTE_PGM_RSRC2:TGID_X_EN: 1
; COMPUTE_PGM_RSRC2:TGID_Y_EN: 0
; COMPUTE_PGM_RSRC2:TGID_Z_EN: 0
; COMPUTE_PGM_RSRC2:TIDIG_COMP_CNT: 1
	.section	.text._ZL28rocblas_dot_batched_4_kernelIlLi64ELi4ELb0EffPK16rocblas_bfloat16EviT5_lT_lS3_lS4_liPT4_,"axG",@progbits,_ZL28rocblas_dot_batched_4_kernelIlLi64ELi4ELb0EffPK16rocblas_bfloat16EviT5_lT_lS3_lS4_liPT4_,comdat
	.globl	_ZL28rocblas_dot_batched_4_kernelIlLi64ELi4ELb0EffPK16rocblas_bfloat16EviT5_lT_lS3_lS4_liPT4_ ; -- Begin function _ZL28rocblas_dot_batched_4_kernelIlLi64ELi4ELb0EffPK16rocblas_bfloat16EviT5_lT_lS3_lS4_liPT4_
	.p2align	8
	.type	_ZL28rocblas_dot_batched_4_kernelIlLi64ELi4ELb0EffPK16rocblas_bfloat16EviT5_lT_lS3_lS4_liPT4_,@function
_ZL28rocblas_dot_batched_4_kernelIlLi64ELi4ELb0EffPK16rocblas_bfloat16EviT5_lT_lS3_lS4_liPT4_: ; @_ZL28rocblas_dot_batched_4_kernelIlLi64ELi4ELb0EffPK16rocblas_bfloat16EviT5_lT_lS3_lS4_liPT4_
; %bb.0:
	s_load_b32 s2, s[0:1], 0x48
	v_bfe_u32 v1, v0, 10, 10
	s_delay_alu instid0(VALU_DEP_1) | instskip(SKIP_1) | instid1(VALU_DEP_1)
	v_lshl_add_u32 v1, s15, 2, v1
	s_waitcnt lgkmcnt(0)
	v_cmp_gt_u32_e32 vcc_lo, s2, v1
	s_and_saveexec_b32 s2, vcc_lo
	s_cbranch_execz .LBB360_7
; %bb.1:
	s_clause 0x1
	s_load_b32 s16, s[0:1], 0x0
	s_load_b64 s[2:3], s[0:1], 0x50
	v_mov_b32_e32 v2, 0
	v_and_b32_e32 v0, 0x3ff, v0
	s_mov_b32 s17, exec_lo
	s_delay_alu instid0(VALU_DEP_2) | instskip(SKIP_1) | instid1(VALU_DEP_2)
	v_mov_b32_e32 v7, v2
	s_waitcnt lgkmcnt(0)
	v_cmpx_gt_i32_e64 s16, v0
	s_cbranch_execz .LBB360_5
; %bb.2:
	s_clause 0x3
	s_load_b128 s[12:15], s[0:1], 0x10
	s_load_b256 s[4:11], s[0:1], 0x20
	s_load_b64 s[18:19], s[0:1], 0x40
	s_load_b64 s[0:1], s[0:1], 0x8
	s_waitcnt lgkmcnt(0)
	v_mad_u64_u32 v[3:4], null, s14, v0, 0
	v_mad_u64_u32 v[5:6], null, s4, v1, 0
	;; [unrolled: 1-line block ×4, first 2 shown]
	s_lshl_b64 s[12:13], s[12:13], 1
	s_delay_alu instid0(VALU_DEP_3) | instskip(SKIP_4) | instid1(VALU_DEP_2)
	v_mad_u64_u32 v[12:13], null, s15, v0, v[4:5]
	v_mov_b32_e32 v7, 0
	s_add_u32 s12, s0, s12
	s_addc_u32 s13, s1, s13
	s_lshl_b64 s[0:1], s[8:9], 1
	v_mov_b32_e32 v4, v12
	v_mad_u64_u32 v[13:14], null, s5, v1, v[6:7]
	v_mad_u64_u32 v[14:15], null, s11, v0, v[9:10]
	;; [unrolled: 1-line block ×3, first 2 shown]
	s_delay_alu instid0(VALU_DEP_4) | instskip(SKIP_1) | instid1(VALU_DEP_4)
	v_lshlrev_b64 v[3:4], 1, v[3:4]
	s_lshl_b64 s[4:5], s[14:15], 7
	v_mov_b32_e32 v6, v13
	s_add_u32 s0, s6, s0
	s_delay_alu instid0(VALU_DEP_4) | instskip(SKIP_1) | instid1(VALU_DEP_4)
	v_mov_b32_e32 v9, v14
	s_addc_u32 s1, s7, s1
	v_mov_b32_e32 v11, v15
	v_lshlrev_b64 v[5:6], 1, v[5:6]
	s_lshl_b64 s[6:7], s[10:11], 7
	v_lshlrev_b64 v[8:9], 1, v[8:9]
	s_delay_alu instid0(VALU_DEP_3) | instskip(NEXT) | instid1(VALU_DEP_3)
	v_lshlrev_b64 v[10:11], 1, v[10:11]
	v_add_co_u32 v3, vcc_lo, v3, v5
	s_delay_alu instid0(VALU_DEP_4) | instskip(NEXT) | instid1(VALU_DEP_3)
	v_add_co_ci_u32_e32 v4, vcc_lo, v4, v6, vcc_lo
	v_add_co_u32 v5, vcc_lo, v8, v10
	v_mov_b32_e32 v8, v0
	v_add_co_ci_u32_e32 v6, vcc_lo, v9, v11, vcc_lo
	v_add_co_u32 v3, vcc_lo, s12, v3
	v_add_co_ci_u32_e32 v4, vcc_lo, s13, v4, vcc_lo
	v_add_co_u32 v5, vcc_lo, s0, v5
	s_delay_alu instid0(VALU_DEP_4)
	v_add_co_ci_u32_e32 v6, vcc_lo, s1, v6, vcc_lo
	s_mov_b32 s1, 0
	.p2align	6
.LBB360_3:                              ; =>This Inner Loop Header: Depth=1
	global_load_u16 v9, v[5:6], off
	global_load_u16 v10, v[3:4], off
	v_add_co_u32 v3, vcc_lo, v3, s4
	v_add_co_ci_u32_e32 v4, vcc_lo, s5, v4, vcc_lo
	v_add_co_u32 v5, vcc_lo, v5, s6
	v_add_co_ci_u32_e32 v6, vcc_lo, s7, v6, vcc_lo
	s_waitcnt vmcnt(1)
	v_lshlrev_b32_e32 v9, 16, v9
	s_waitcnt vmcnt(0)
	v_lshlrev_b32_e32 v10, 16, v10
	s_delay_alu instid0(VALU_DEP_1) | instskip(NEXT) | instid1(VALU_DEP_1)
	v_dual_fmac_f32 v7, v10, v9 :: v_dual_add_nc_u32 v8, 64, v8
	v_cmp_le_i32_e64 s0, s16, v8
	s_delay_alu instid0(VALU_DEP_1) | instskip(NEXT) | instid1(SALU_CYCLE_1)
	s_or_b32 s1, s0, s1
	s_and_not1_b32 exec_lo, exec_lo, s1
	s_cbranch_execnz .LBB360_3
; %bb.4:
	s_or_b32 exec_lo, exec_lo, s1
.LBB360_5:
	s_delay_alu instid0(SALU_CYCLE_1)
	s_or_b32 exec_lo, exec_lo, s17
	v_mbcnt_lo_u32_b32 v3, -1, 0
	s_barrier
	buffer_gl0_inv
	v_lshlrev_b32_e32 v4, 2, v3
	v_cmp_gt_u32_e32 vcc_lo, 16, v3
	ds_bpermute_b32 v4, v4, v7
	v_cndmask_b32_e64 v5, 0, 1, vcc_lo
	v_cmp_gt_u32_e32 vcc_lo, 24, v3
	s_delay_alu instid0(VALU_DEP_2) | instskip(SKIP_2) | instid1(VALU_DEP_2)
	v_lshlrev_b32_e32 v5, 4, v5
	v_cndmask_b32_e64 v6, 0, 1, vcc_lo
	v_cmp_gt_u32_e32 vcc_lo, 28, v3
	v_lshlrev_b32_e32 v6, 3, v6
	s_delay_alu instid0(VALU_DEP_1)
	v_add_lshl_u32 v6, v6, v3, 2
	s_waitcnt lgkmcnt(0)
	v_add_f32_e32 v4, v7, v4
	v_add_lshl_u32 v5, v5, v3, 2
	ds_bpermute_b32 v5, v5, v4
	s_waitcnt lgkmcnt(0)
	v_add_f32_e32 v4, v4, v5
	ds_bpermute_b32 v5, v6, v4
	v_cndmask_b32_e64 v6, 0, 1, vcc_lo
	v_cmp_gt_u32_e32 vcc_lo, 30, v3
	s_delay_alu instid0(VALU_DEP_2) | instskip(NEXT) | instid1(VALU_DEP_1)
	v_lshlrev_b32_e32 v6, 2, v6
	v_add_lshl_u32 v6, v6, v3, 2
	s_waitcnt lgkmcnt(0)
	v_add_f32_e32 v4, v4, v5
	ds_bpermute_b32 v5, v6, v4
	v_cndmask_b32_e64 v6, 0, 1, vcc_lo
	v_cmp_ne_u32_e32 vcc_lo, 31, v3
	s_delay_alu instid0(VALU_DEP_2) | instskip(NEXT) | instid1(VALU_DEP_1)
	v_lshlrev_b32_e32 v6, 1, v6
	v_add_lshl_u32 v6, v6, v3, 2
	s_waitcnt lgkmcnt(0)
	v_add_f32_e32 v4, v4, v5
	ds_bpermute_b32 v5, v6, v4
	v_add_co_ci_u32_e32 v6, vcc_lo, 0, v3, vcc_lo
	v_cmp_eq_u32_e32 vcc_lo, 0, v0
	s_waitcnt lgkmcnt(0)
	s_delay_alu instid0(VALU_DEP_2)
	v_dual_add_f32 v3, v4, v5 :: v_dual_lshlrev_b32 v4, 2, v6
	ds_bpermute_b32 v4, v4, v3
	s_and_b32 exec_lo, exec_lo, vcc_lo
	s_cbranch_execz .LBB360_7
; %bb.6:
	v_lshlrev_b64 v[0:1], 2, v[1:2]
	s_waitcnt lgkmcnt(0)
	v_add_f32_e32 v2, v3, v4
	s_delay_alu instid0(VALU_DEP_2) | instskip(NEXT) | instid1(VALU_DEP_3)
	v_add_co_u32 v0, vcc_lo, s2, v0
	v_add_co_ci_u32_e32 v1, vcc_lo, s3, v1, vcc_lo
	global_store_b32 v[0:1], v2, off
.LBB360_7:
	s_nop 0
	s_sendmsg sendmsg(MSG_DEALLOC_VGPRS)
	s_endpgm
	.section	.rodata,"a",@progbits
	.p2align	6, 0x0
	.amdhsa_kernel _ZL28rocblas_dot_batched_4_kernelIlLi64ELi4ELb0EffPK16rocblas_bfloat16EviT5_lT_lS3_lS4_liPT4_
		.amdhsa_group_segment_fixed_size 0
		.amdhsa_private_segment_fixed_size 0
		.amdhsa_kernarg_size 88
		.amdhsa_user_sgpr_count 15
		.amdhsa_user_sgpr_dispatch_ptr 0
		.amdhsa_user_sgpr_queue_ptr 0
		.amdhsa_user_sgpr_kernarg_segment_ptr 1
		.amdhsa_user_sgpr_dispatch_id 0
		.amdhsa_user_sgpr_private_segment_size 0
		.amdhsa_wavefront_size32 1
		.amdhsa_uses_dynamic_stack 0
		.amdhsa_enable_private_segment 0
		.amdhsa_system_sgpr_workgroup_id_x 1
		.amdhsa_system_sgpr_workgroup_id_y 0
		.amdhsa_system_sgpr_workgroup_id_z 0
		.amdhsa_system_sgpr_workgroup_info 0
		.amdhsa_system_vgpr_workitem_id 1
		.amdhsa_next_free_vgpr 17
		.amdhsa_next_free_sgpr 20
		.amdhsa_reserve_vcc 1
		.amdhsa_float_round_mode_32 0
		.amdhsa_float_round_mode_16_64 0
		.amdhsa_float_denorm_mode_32 3
		.amdhsa_float_denorm_mode_16_64 3
		.amdhsa_dx10_clamp 1
		.amdhsa_ieee_mode 1
		.amdhsa_fp16_overflow 0
		.amdhsa_workgroup_processor_mode 1
		.amdhsa_memory_ordered 1
		.amdhsa_forward_progress 0
		.amdhsa_shared_vgpr_count 0
		.amdhsa_exception_fp_ieee_invalid_op 0
		.amdhsa_exception_fp_denorm_src 0
		.amdhsa_exception_fp_ieee_div_zero 0
		.amdhsa_exception_fp_ieee_overflow 0
		.amdhsa_exception_fp_ieee_underflow 0
		.amdhsa_exception_fp_ieee_inexact 0
		.amdhsa_exception_int_div_zero 0
	.end_amdhsa_kernel
	.section	.text._ZL28rocblas_dot_batched_4_kernelIlLi64ELi4ELb0EffPK16rocblas_bfloat16EviT5_lT_lS3_lS4_liPT4_,"axG",@progbits,_ZL28rocblas_dot_batched_4_kernelIlLi64ELi4ELb0EffPK16rocblas_bfloat16EviT5_lT_lS3_lS4_liPT4_,comdat
.Lfunc_end360:
	.size	_ZL28rocblas_dot_batched_4_kernelIlLi64ELi4ELb0EffPK16rocblas_bfloat16EviT5_lT_lS3_lS4_liPT4_, .Lfunc_end360-_ZL28rocblas_dot_batched_4_kernelIlLi64ELi4ELb0EffPK16rocblas_bfloat16EviT5_lT_lS3_lS4_liPT4_
                                        ; -- End function
	.section	.AMDGPU.csdata,"",@progbits
; Kernel info:
; codeLenInByte = 780
; NumSgprs: 22
; NumVgprs: 17
; ScratchSize: 0
; MemoryBound: 0
; FloatMode: 240
; IeeeMode: 1
; LDSByteSize: 0 bytes/workgroup (compile time only)
; SGPRBlocks: 2
; VGPRBlocks: 2
; NumSGPRsForWavesPerEU: 22
; NumVGPRsForWavesPerEU: 17
; Occupancy: 16
; WaveLimiterHint : 0
; COMPUTE_PGM_RSRC2:SCRATCH_EN: 0
; COMPUTE_PGM_RSRC2:USER_SGPR: 15
; COMPUTE_PGM_RSRC2:TRAP_HANDLER: 0
; COMPUTE_PGM_RSRC2:TGID_X_EN: 1
; COMPUTE_PGM_RSRC2:TGID_Y_EN: 0
; COMPUTE_PGM_RSRC2:TGID_Z_EN: 0
; COMPUTE_PGM_RSRC2:TIDIG_COMP_CNT: 1
	.section	.text._ZL26rocblas_dot_kernel_inc1by2ILb1ELi1024ELi32ELb0EfPK16rocblas_bfloat16fEviT4_llS3_lliPT5_PT3_,"axG",@progbits,_ZL26rocblas_dot_kernel_inc1by2ILb1ELi1024ELi32ELb0EfPK16rocblas_bfloat16fEviT4_llS3_lliPT5_PT3_,comdat
	.globl	_ZL26rocblas_dot_kernel_inc1by2ILb1ELi1024ELi32ELb0EfPK16rocblas_bfloat16fEviT4_llS3_lliPT5_PT3_ ; -- Begin function _ZL26rocblas_dot_kernel_inc1by2ILb1ELi1024ELi32ELb0EfPK16rocblas_bfloat16fEviT4_llS3_lliPT5_PT3_
	.p2align	8
	.type	_ZL26rocblas_dot_kernel_inc1by2ILb1ELi1024ELi32ELb0EfPK16rocblas_bfloat16fEviT4_llS3_lliPT5_PT3_,@function
_ZL26rocblas_dot_kernel_inc1by2ILb1ELi1024ELi32ELb0EfPK16rocblas_bfloat16fEviT4_llS3_lliPT5_PT3_: ; @_ZL26rocblas_dot_kernel_inc1by2ILb1ELi1024ELi32ELb0EfPK16rocblas_bfloat16fEviT4_llS3_lliPT5_PT3_
; %bb.0:
	s_mov_b32 s2, s15
	s_clause 0x5
	s_load_b128 s[8:11], s[0:1], 0x10
	s_load_b128 s[4:7], s[0:1], 0x28
	s_load_b32 s17, s[0:1], 0x0
	s_load_b64 s[12:13], s[0:1], 0x48
	s_load_b64 s[14:15], s[0:1], 0x8
	;; [unrolled: 1-line block ×3, first 2 shown]
	v_dual_mov_b32 v5, 0 :: v_dual_lshlrev_b32 v6, 1, v0
	s_mov_b32 s3, 0
	s_waitcnt lgkmcnt(0)
	s_mul_i32 s11, s2, s11
	s_mul_hi_u32 s18, s2, s10
	s_mul_i32 s7, s2, s7
	s_mul_hi_u32 s19, s2, s6
	s_add_i32 s16, s17, -1
	s_add_i32 s11, s18, s11
	s_mul_i32 s10, s2, s10
	s_add_i32 s7, s19, s7
	s_mul_i32 s6, s2, s6
	s_mov_b32 s18, exec_lo
	v_cmpx_gt_i32_e64 s16, v6
	s_cbranch_execz .LBB361_4
; %bb.1:
	s_lshl_b64 s[22:23], s[4:5], 1
	s_lshl_b64 s[20:21], s[6:7], 1
	v_lshlrev_b32_e32 v3, 2, v0
	s_add_u32 s19, s0, s22
	s_addc_u32 s22, s1, s23
	s_add_u32 s19, s19, s20
	s_addc_u32 s20, s22, s21
	v_add_co_u32 v1, s19, s19, v3
	s_delay_alu instid0(VALU_DEP_1)
	v_add_co_ci_u32_e64 v2, null, s20, 0, s19
	s_lshl_b64 s[20:21], s[8:9], 1
	s_lshl_b64 s[22:23], s[10:11], 1
	s_add_u32 s19, s14, s20
	s_addc_u32 s20, s15, s21
	s_add_u32 s19, s19, s22
	s_addc_u32 s20, s20, s23
	v_add_co_u32 v3, s19, s19, v3
	v_mov_b32_e32 v5, 0
	v_add_co_ci_u32_e64 v4, null, s20, 0, s19
	s_mov_b32 s19, s3
	s_mov_b32 s20, s3
	.p2align	6
.LBB361_2:                              ; =>This Inner Loop Header: Depth=1
	global_load_b32 v7, v[1:2], off
	global_load_b32 v8, v[3:4], off
	v_add_co_u32 v1, vcc_lo, 0x1000, v1
	v_add_co_ci_u32_e32 v2, vcc_lo, 0, v2, vcc_lo
	v_add_co_u32 v3, vcc_lo, 0x1000, v3
	v_add_co_ci_u32_e32 v4, vcc_lo, 0, v4, vcc_lo
	s_add_i32 s21, s20, 1
	s_cmp_gt_u32 s20, 30
	s_cselect_b32 s20, -1, 0
	s_waitcnt vmcnt(1)
	v_lshlrev_b32_e32 v9, 16, v7
	s_waitcnt vmcnt(0)
	v_lshlrev_b32_e32 v10, 16, v8
	v_and_b32_e32 v7, 0xffff0000, v7
	s_delay_alu instid0(VALU_DEP_2) | instskip(NEXT) | instid1(VALU_DEP_1)
	v_dual_fmac_f32 v5, v9, v10 :: v_dual_and_b32 v8, 0xffff0000, v8
	v_dual_fmac_f32 v5, v7, v8 :: v_dual_add_nc_u32 v6, 0x800, v6
	s_delay_alu instid0(VALU_DEP_1) | instskip(SKIP_1) | instid1(SALU_CYCLE_1)
	v_cmp_le_i32_e32 vcc_lo, s16, v6
	s_or_b32 s20, s20, vcc_lo
	s_and_b32 s20, exec_lo, s20
	s_delay_alu instid0(SALU_CYCLE_1)
	s_or_b32 s19, s20, s19
	s_mov_b32 s20, s21
	s_and_not1_b32 exec_lo, exec_lo, s19
	s_cbranch_execnz .LBB361_2
; %bb.3:
	s_or_b32 exec_lo, exec_lo, s19
.LBB361_4:
	s_delay_alu instid0(SALU_CYCLE_1) | instskip(SKIP_3) | instid1(SALU_CYCLE_1)
	s_or_b32 exec_lo, exec_lo, s18
	v_cmp_eq_u32_e32 vcc_lo, s16, v6
	s_bitcmp1_b32 s17, 0
	s_cselect_b32 s17, -1, 0
	s_and_b32 s17, s17, vcc_lo
	s_delay_alu instid0(SALU_CYCLE_1)
	s_and_saveexec_b32 s18, s17
	s_cbranch_execz .LBB361_6
; %bb.5:
	s_lshl_b64 s[10:11], s[10:11], 1
	s_mov_b32 s17, 0
	s_add_u32 s10, s14, s10
	s_addc_u32 s11, s15, s11
	s_lshl_b64 s[8:9], s[8:9], 1
	v_mov_b32_e32 v1, 0
	s_add_u32 s8, s10, s8
	s_addc_u32 s9, s11, s9
	s_lshl_b64 s[6:7], s[6:7], 1
	s_delay_alu instid0(SALU_CYCLE_1) | instskip(SKIP_2) | instid1(SALU_CYCLE_1)
	s_add_u32 s6, s0, s6
	s_addc_u32 s7, s1, s7
	s_lshl_b64 s[0:1], s[4:5], 1
	s_add_u32 s4, s6, s0
	s_addc_u32 s5, s7, s1
	s_lshl_b64 s[0:1], s[16:17], 1
	s_delay_alu instid0(SALU_CYCLE_1)
	s_add_u32 s4, s4, s0
	s_addc_u32 s5, s5, s1
	s_add_u32 s0, s8, s0
	s_addc_u32 s1, s9, s1
	s_clause 0x1
	global_load_u16 v2, v1, s[0:1]
	global_load_u16 v1, v1, s[4:5]
	s_waitcnt vmcnt(1)
	v_lshlrev_b32_e32 v2, 16, v2
	s_waitcnt vmcnt(0)
	v_lshlrev_b32_e32 v1, 16, v1
	s_delay_alu instid0(VALU_DEP_1)
	v_fmac_f32_e32 v5, v1, v2
.LBB361_6:
	s_or_b32 exec_lo, exec_lo, s18
	v_and_b32_e32 v7, 31, v0
	v_cmp_gt_u32_e32 vcc_lo, 32, v0
	s_delay_alu instid0(VALU_DEP_2)
	v_lshlrev_b32_e32 v1, 2, v7
	s_and_saveexec_b32 s0, vcc_lo
	s_cbranch_execz .LBB361_8
; %bb.7:
	v_mov_b32_e32 v2, 0
	ds_store_b32 v1, v2
.LBB361_8:
	s_or_b32 exec_lo, exec_lo, s0
	v_mbcnt_lo_u32_b32 v6, -1, 0
	s_mov_b32 s1, exec_lo
	s_waitcnt lgkmcnt(0)
	s_barrier
	buffer_gl0_inv
	v_cmp_gt_u32_e64 s0, 16, v6
	s_delay_alu instid0(VALU_DEP_1) | instskip(SKIP_1) | instid1(VALU_DEP_2)
	v_cndmask_b32_e64 v2, 0, 1, s0
	v_cmp_gt_u32_e64 s0, 24, v6
	v_lshlrev_b32_e32 v2, 4, v2
	s_delay_alu instid0(VALU_DEP_2) | instskip(SKIP_1) | instid1(VALU_DEP_3)
	v_cndmask_b32_e64 v3, 0, 1, s0
	v_cmp_gt_u32_e64 s0, 28, v6
	v_add_lshl_u32 v2, v2, v6, 2
	ds_bpermute_b32 v4, v2, v5
	s_waitcnt lgkmcnt(0)
	v_add_f32_e32 v5, v5, v4
	v_lshlrev_b32_e32 v3, 3, v3
	v_cndmask_b32_e64 v4, 0, 1, s0
	v_cmp_gt_u32_e64 s0, 30, v6
	s_delay_alu instid0(VALU_DEP_3) | instskip(NEXT) | instid1(VALU_DEP_3)
	v_add_lshl_u32 v3, v3, v6, 2
	v_lshlrev_b32_e32 v4, 2, v4
	ds_bpermute_b32 v8, v3, v5
	v_add_lshl_u32 v4, v4, v6, 2
	s_waitcnt lgkmcnt(0)
	v_add_f32_e32 v8, v5, v8
	v_cndmask_b32_e64 v5, 0, 1, s0
	v_cmp_ne_u32_e64 s0, 31, v6
	ds_bpermute_b32 v9, v4, v8
	v_lshlrev_b32_e32 v5, 1, v5
	s_delay_alu instid0(VALU_DEP_1) | instskip(SKIP_1) | instid1(VALU_DEP_1)
	v_add_lshl_u32 v5, v5, v6, 2
	v_add_co_ci_u32_e64 v6, s0, 0, v6, s0
	v_lshlrev_b32_e32 v6, 2, v6
	s_waitcnt lgkmcnt(0)
	v_add_f32_e32 v8, v8, v9
	ds_bpermute_b32 v9, v5, v8
	s_waitcnt lgkmcnt(0)
	v_add_f32_e32 v8, v8, v9
	ds_bpermute_b32 v9, v6, v8
	v_cmpx_eq_u32_e32 0, v7
	s_cbranch_execz .LBB361_10
; %bb.9:
	v_lshrrev_b32_e32 v7, 3, v0
	s_waitcnt lgkmcnt(0)
	s_delay_alu instid0(VALU_DEP_1)
	v_dual_add_f32 v8, v8, v9 :: v_dual_and_b32 v7, 0x7c, v7
	ds_store_b32 v7, v8
.LBB361_10:
	s_or_b32 exec_lo, exec_lo, s1
	v_mov_b32_e32 v7, 0
	s_waitcnt lgkmcnt(0)
	s_barrier
	buffer_gl0_inv
	s_and_saveexec_b32 s0, vcc_lo
	s_cbranch_execz .LBB361_12
; %bb.11:
	ds_load_b32 v7, v1
.LBB361_12:
	s_or_b32 exec_lo, exec_lo, s0
	s_and_saveexec_b32 s0, vcc_lo
	s_cbranch_execz .LBB361_14
; %bb.13:
	s_waitcnt lgkmcnt(0)
	ds_bpermute_b32 v1, v2, v7
	s_waitcnt lgkmcnt(0)
	v_add_f32_e32 v1, v7, v1
	ds_bpermute_b32 v2, v3, v1
	s_waitcnt lgkmcnt(0)
	v_add_f32_e32 v1, v1, v2
	;; [unrolled: 3-line block ×5, first 2 shown]
.LBB361_14:
	s_or_b32 exec_lo, exec_lo, s0
	s_delay_alu instid0(SALU_CYCLE_1)
	s_mov_b32 s0, exec_lo
	v_cmpx_eq_u32_e32 0, v0
	s_cbranch_execz .LBB361_16
; %bb.15:
	s_lshl_b64 s[0:1], s[2:3], 2
	v_mov_b32_e32 v0, 0
	s_add_u32 s0, s12, s0
	s_addc_u32 s1, s13, s1
	s_waitcnt lgkmcnt(0)
	global_store_b32 v0, v7, s[0:1]
.LBB361_16:
	s_nop 0
	s_sendmsg sendmsg(MSG_DEALLOC_VGPRS)
	s_endpgm
	.section	.rodata,"a",@progbits
	.p2align	6, 0x0
	.amdhsa_kernel _ZL26rocblas_dot_kernel_inc1by2ILb1ELi1024ELi32ELb0EfPK16rocblas_bfloat16fEviT4_llS3_lliPT5_PT3_
		.amdhsa_group_segment_fixed_size 128
		.amdhsa_private_segment_fixed_size 0
		.amdhsa_kernarg_size 80
		.amdhsa_user_sgpr_count 14
		.amdhsa_user_sgpr_dispatch_ptr 0
		.amdhsa_user_sgpr_queue_ptr 0
		.amdhsa_user_sgpr_kernarg_segment_ptr 1
		.amdhsa_user_sgpr_dispatch_id 0
		.amdhsa_user_sgpr_private_segment_size 0
		.amdhsa_wavefront_size32 1
		.amdhsa_uses_dynamic_stack 0
		.amdhsa_enable_private_segment 0
		.amdhsa_system_sgpr_workgroup_id_x 1
		.amdhsa_system_sgpr_workgroup_id_y 0
		.amdhsa_system_sgpr_workgroup_id_z 1
		.amdhsa_system_sgpr_workgroup_info 0
		.amdhsa_system_vgpr_workitem_id 0
		.amdhsa_next_free_vgpr 11
		.amdhsa_next_free_sgpr 24
		.amdhsa_reserve_vcc 1
		.amdhsa_float_round_mode_32 0
		.amdhsa_float_round_mode_16_64 0
		.amdhsa_float_denorm_mode_32 3
		.amdhsa_float_denorm_mode_16_64 3
		.amdhsa_dx10_clamp 1
		.amdhsa_ieee_mode 1
		.amdhsa_fp16_overflow 0
		.amdhsa_workgroup_processor_mode 1
		.amdhsa_memory_ordered 1
		.amdhsa_forward_progress 0
		.amdhsa_shared_vgpr_count 0
		.amdhsa_exception_fp_ieee_invalid_op 0
		.amdhsa_exception_fp_denorm_src 0
		.amdhsa_exception_fp_ieee_div_zero 0
		.amdhsa_exception_fp_ieee_overflow 0
		.amdhsa_exception_fp_ieee_underflow 0
		.amdhsa_exception_fp_ieee_inexact 0
		.amdhsa_exception_int_div_zero 0
	.end_amdhsa_kernel
	.section	.text._ZL26rocblas_dot_kernel_inc1by2ILb1ELi1024ELi32ELb0EfPK16rocblas_bfloat16fEviT4_llS3_lliPT5_PT3_,"axG",@progbits,_ZL26rocblas_dot_kernel_inc1by2ILb1ELi1024ELi32ELb0EfPK16rocblas_bfloat16fEviT4_llS3_lliPT5_PT3_,comdat
.Lfunc_end361:
	.size	_ZL26rocblas_dot_kernel_inc1by2ILb1ELi1024ELi32ELb0EfPK16rocblas_bfloat16fEviT4_llS3_lliPT5_PT3_, .Lfunc_end361-_ZL26rocblas_dot_kernel_inc1by2ILb1ELi1024ELi32ELb0EfPK16rocblas_bfloat16fEviT4_llS3_lliPT5_PT3_
                                        ; -- End function
	.section	.AMDGPU.csdata,"",@progbits
; Kernel info:
; codeLenInByte = 1068
; NumSgprs: 26
; NumVgprs: 11
; ScratchSize: 0
; MemoryBound: 0
; FloatMode: 240
; IeeeMode: 1
; LDSByteSize: 128 bytes/workgroup (compile time only)
; SGPRBlocks: 3
; VGPRBlocks: 1
; NumSGPRsForWavesPerEU: 26
; NumVGPRsForWavesPerEU: 11
; Occupancy: 16
; WaveLimiterHint : 0
; COMPUTE_PGM_RSRC2:SCRATCH_EN: 0
; COMPUTE_PGM_RSRC2:USER_SGPR: 14
; COMPUTE_PGM_RSRC2:TRAP_HANDLER: 0
; COMPUTE_PGM_RSRC2:TGID_X_EN: 1
; COMPUTE_PGM_RSRC2:TGID_Y_EN: 0
; COMPUTE_PGM_RSRC2:TGID_Z_EN: 1
; COMPUTE_PGM_RSRC2:TIDIG_COMP_CNT: 0
	.section	.text._ZL18rocblas_dot_kernelIlLb1ELi1024ELi32ELb0EfPK16rocblas_bfloat16fEviT5_lT_lS3_lS4_liPT6_PT4_,"axG",@progbits,_ZL18rocblas_dot_kernelIlLb1ELi1024ELi32ELb0EfPK16rocblas_bfloat16fEviT5_lT_lS3_lS4_liPT6_PT4_,comdat
	.globl	_ZL18rocblas_dot_kernelIlLb1ELi1024ELi32ELb0EfPK16rocblas_bfloat16fEviT5_lT_lS3_lS4_liPT6_PT4_ ; -- Begin function _ZL18rocblas_dot_kernelIlLb1ELi1024ELi32ELb0EfPK16rocblas_bfloat16fEviT5_lT_lS3_lS4_liPT6_PT4_
	.p2align	8
	.type	_ZL18rocblas_dot_kernelIlLb1ELi1024ELi32ELb0EfPK16rocblas_bfloat16fEviT5_lT_lS3_lS4_liPT6_PT4_,@function
_ZL18rocblas_dot_kernelIlLb1ELi1024ELi32ELb0EfPK16rocblas_bfloat16fEviT5_lT_lS3_lS4_liPT6_PT4_: ; @_ZL18rocblas_dot_kernelIlLb1ELi1024ELi32ELb0EfPK16rocblas_bfloat16fEviT5_lT_lS3_lS4_liPT6_PT4_
; %bb.0:
	s_clause 0x1
	s_load_b32 s18, s[0:1], 0x0
	s_load_b64 s[2:3], s[0:1], 0x58
	v_mov_b32_e32 v6, 0
	s_mov_b32 s16, s15
	s_mov_b32 s17, 0
	s_mov_b32 s19, exec_lo
	s_waitcnt lgkmcnt(0)
	v_cmpx_gt_i32_e64 s18, v0
	s_cbranch_execz .LBB362_4
; %bb.1:
	s_clause 0x4
	s_load_b32 s24, s[0:1], 0x60
	s_load_b256 s[4:11], s[0:1], 0x20
	s_load_b128 s[12:15], s[0:1], 0x10
	s_load_b64 s[20:21], s[0:1], 0x40
	s_load_b64 s[22:23], s[0:1], 0x8
	s_waitcnt lgkmcnt(0)
	s_lshl_b32 s1, s24, 10
	v_mad_u64_u32 v[3:4], null, s10, v0, 0
	v_mad_u64_u32 v[1:2], null, s14, v0, 0
	v_or_b32_e32 v5, s1, v0
	s_mul_i32 s0, s5, s16
	s_mul_hi_u32 s5, s4, s16
	s_mul_i32 s4, s4, s16
	s_add_i32 s5, s5, s0
	s_lshl_b64 s[12:13], s[12:13], 1
	s_delay_alu instid0(VALU_DEP_2)
	v_mad_u64_u32 v[6:7], null, s15, v0, v[2:3]
	v_mad_u64_u32 v[7:8], null, s11, v0, v[4:5]
	s_lshl_b64 s[4:5], s[4:5], 1
	s_add_u32 s12, s22, s12
	s_addc_u32 s13, s23, s13
	s_add_u32 s22, s12, s4
	s_delay_alu instid0(VALU_DEP_2)
	v_mov_b32_e32 v2, v6
	s_addc_u32 s23, s13, s5
	s_ashr_i32 s4, s1, 31
	s_mul_hi_u32 s0, s14, s1
	s_mul_i32 s5, s14, s4
	v_mov_b32_e32 v4, v7
	s_mul_i32 s21, s21, s16
	s_mul_hi_u32 s25, s20, s16
	s_mul_i32 s26, s15, s1
	s_add_i32 s0, s0, s5
	v_lshlrev_b64 v[1:2], 1, v[1:2]
	s_mul_i32 s20, s20, s16
	s_mul_i32 s24, s14, s1
	s_add_i32 s21, s25, s21
	s_add_i32 s25, s0, s26
	s_lshl_b64 s[8:9], s[8:9], 1
	v_lshlrev_b64 v[3:4], 1, v[3:4]
	s_lshl_b64 s[12:13], s[20:21], 1
	s_mul_i32 s0, s10, s4
	s_lshl_b64 s[4:5], s[24:25], 1
	s_add_u32 s6, s6, s8
	s_addc_u32 s7, s7, s9
	v_add_co_u32 v1, vcc_lo, s22, v1
	s_add_u32 s6, s6, s12
	v_add_co_ci_u32_e32 v2, vcc_lo, s23, v2, vcc_lo
	s_mul_hi_u32 s8, s10, s1
	s_addc_u32 s7, s7, s13
	v_add_co_u32 v3, vcc_lo, s6, v3
	s_add_i32 s0, s8, s0
	s_mul_i32 s8, s11, s1
	v_add_co_ci_u32_e32 v4, vcc_lo, s7, v4, vcc_lo
	v_mov_b32_e32 v6, 0
	s_add_i32 s7, s0, s8
	s_mul_i32 s6, s10, s1
	s_mov_b32 s8, s17
	s_lshl_b64 s[6:7], s[6:7], 1
	s_mov_b32 s9, s17
	.p2align	6
.LBB362_2:                              ; =>This Inner Loop Header: Depth=1
	global_load_u16 v7, v[1:2], off
	global_load_u16 v8, v[3:4], off
	v_add_co_u32 v1, s0, v1, s4
	s_delay_alu instid0(VALU_DEP_1)
	v_add_co_ci_u32_e64 v2, s0, s5, v2, s0
	s_add_i32 s10, s9, 1
	v_cmp_le_i32_e32 vcc_lo, s18, v5
	v_add_co_u32 v3, s0, v3, s6
	s_cmp_gt_u32 s9, 30
	v_add_co_ci_u32_e64 v4, s0, s7, v4, s0
	s_cselect_b32 s0, -1, 0
	s_mov_b32 s9, s10
	s_or_b32 s0, s0, vcc_lo
	s_delay_alu instid0(SALU_CYCLE_1) | instskip(NEXT) | instid1(SALU_CYCLE_1)
	s_and_b32 s0, exec_lo, s0
	s_or_b32 s8, s0, s8
	s_waitcnt vmcnt(1)
	v_lshlrev_b32_e32 v7, 16, v7
	s_waitcnt vmcnt(0)
	v_lshlrev_b32_e32 v8, 16, v8
	s_delay_alu instid0(VALU_DEP_1)
	v_dual_fmac_f32 v6, v8, v7 :: v_dual_add_nc_u32 v5, s1, v5
	s_and_not1_b32 exec_lo, exec_lo, s8
	s_cbranch_execnz .LBB362_2
; %bb.3:
	s_or_b32 exec_lo, exec_lo, s8
.LBB362_4:
	s_delay_alu instid0(SALU_CYCLE_1) | instskip(SKIP_2) | instid1(VALU_DEP_2)
	s_or_b32 exec_lo, exec_lo, s19
	v_and_b32_e32 v7, 31, v0
	v_cmp_gt_u32_e32 vcc_lo, 32, v0
	v_lshlrev_b32_e32 v1, 2, v7
	s_and_saveexec_b32 s0, vcc_lo
	s_cbranch_execz .LBB362_6
; %bb.5:
	v_mov_b32_e32 v2, 0
	ds_store_b32 v1, v2
.LBB362_6:
	s_or_b32 exec_lo, exec_lo, s0
	v_mbcnt_lo_u32_b32 v8, -1, 0
	s_mov_b32 s1, exec_lo
	s_waitcnt lgkmcnt(0)
	s_barrier
	buffer_gl0_inv
	v_cmp_gt_u32_e64 s0, 16, v8
	s_delay_alu instid0(VALU_DEP_1) | instskip(SKIP_1) | instid1(VALU_DEP_2)
	v_cndmask_b32_e64 v2, 0, 1, s0
	v_cmp_gt_u32_e64 s0, 24, v8
	v_lshlrev_b32_e32 v2, 4, v2
	s_delay_alu instid0(VALU_DEP_2) | instskip(SKIP_1) | instid1(VALU_DEP_3)
	v_cndmask_b32_e64 v3, 0, 1, s0
	v_cmp_gt_u32_e64 s0, 28, v8
	v_add_lshl_u32 v2, v2, v8, 2
	ds_bpermute_b32 v4, v2, v6
	s_waitcnt lgkmcnt(0)
	v_add_f32_e32 v5, v6, v4
	v_lshlrev_b32_e32 v3, 3, v3
	v_cndmask_b32_e64 v4, 0, 1, s0
	v_cmp_gt_u32_e64 s0, 30, v8
	s_delay_alu instid0(VALU_DEP_3) | instskip(NEXT) | instid1(VALU_DEP_3)
	v_add_lshl_u32 v3, v3, v8, 2
	v_lshlrev_b32_e32 v4, 2, v4
	ds_bpermute_b32 v6, v3, v5
	v_add_lshl_u32 v4, v4, v8, 2
	s_waitcnt lgkmcnt(0)
	v_add_f32_e32 v6, v5, v6
	v_cndmask_b32_e64 v5, 0, 1, s0
	v_cmp_ne_u32_e64 s0, 31, v8
	ds_bpermute_b32 v9, v4, v6
	v_lshlrev_b32_e32 v5, 1, v5
	v_add_co_ci_u32_e64 v10, s0, 0, v8, s0
	s_delay_alu instid0(VALU_DEP_2)
	v_add_lshl_u32 v5, v5, v8, 2
	s_waitcnt lgkmcnt(0)
	v_add_f32_e32 v6, v6, v9
	ds_bpermute_b32 v9, v5, v6
	s_waitcnt lgkmcnt(0)
	v_add_f32_e32 v8, v6, v9
	v_lshlrev_b32_e32 v6, 2, v10
	ds_bpermute_b32 v9, v6, v8
	v_cmpx_eq_u32_e32 0, v7
	s_cbranch_execz .LBB362_8
; %bb.7:
	v_lshrrev_b32_e32 v7, 3, v0
	s_waitcnt lgkmcnt(0)
	s_delay_alu instid0(VALU_DEP_1)
	v_dual_add_f32 v8, v8, v9 :: v_dual_and_b32 v7, 0x7c, v7
	ds_store_b32 v7, v8
.LBB362_8:
	s_or_b32 exec_lo, exec_lo, s1
	v_mov_b32_e32 v7, 0
	s_waitcnt lgkmcnt(0)
	s_barrier
	buffer_gl0_inv
	s_and_saveexec_b32 s0, vcc_lo
	s_cbranch_execz .LBB362_10
; %bb.9:
	ds_load_b32 v7, v1
.LBB362_10:
	s_or_b32 exec_lo, exec_lo, s0
	s_and_saveexec_b32 s0, vcc_lo
	s_cbranch_execz .LBB362_12
; %bb.11:
	s_waitcnt lgkmcnt(0)
	ds_bpermute_b32 v1, v2, v7
	s_waitcnt lgkmcnt(0)
	v_add_f32_e32 v1, v7, v1
	ds_bpermute_b32 v2, v3, v1
	s_waitcnt lgkmcnt(0)
	v_add_f32_e32 v1, v1, v2
	;; [unrolled: 3-line block ×5, first 2 shown]
.LBB362_12:
	s_or_b32 exec_lo, exec_lo, s0
	s_delay_alu instid0(SALU_CYCLE_1)
	s_mov_b32 s0, exec_lo
	v_cmpx_eq_u32_e32 0, v0
	s_cbranch_execz .LBB362_14
; %bb.13:
	s_lshl_b64 s[0:1], s[16:17], 2
	v_mov_b32_e32 v0, 0
	s_add_u32 s0, s2, s0
	s_addc_u32 s1, s3, s1
	s_waitcnt lgkmcnt(0)
	global_store_b32 v0, v7, s[0:1]
.LBB362_14:
	s_nop 0
	s_sendmsg sendmsg(MSG_DEALLOC_VGPRS)
	s_endpgm
	.section	.rodata,"a",@progbits
	.p2align	6, 0x0
	.amdhsa_kernel _ZL18rocblas_dot_kernelIlLb1ELi1024ELi32ELb0EfPK16rocblas_bfloat16fEviT5_lT_lS3_lS4_liPT6_PT4_
		.amdhsa_group_segment_fixed_size 128
		.amdhsa_private_segment_fixed_size 0
		.amdhsa_kernarg_size 352
		.amdhsa_user_sgpr_count 14
		.amdhsa_user_sgpr_dispatch_ptr 0
		.amdhsa_user_sgpr_queue_ptr 0
		.amdhsa_user_sgpr_kernarg_segment_ptr 1
		.amdhsa_user_sgpr_dispatch_id 0
		.amdhsa_user_sgpr_private_segment_size 0
		.amdhsa_wavefront_size32 1
		.amdhsa_uses_dynamic_stack 0
		.amdhsa_enable_private_segment 0
		.amdhsa_system_sgpr_workgroup_id_x 1
		.amdhsa_system_sgpr_workgroup_id_y 0
		.amdhsa_system_sgpr_workgroup_id_z 1
		.amdhsa_system_sgpr_workgroup_info 0
		.amdhsa_system_vgpr_workitem_id 0
		.amdhsa_next_free_vgpr 11
		.amdhsa_next_free_sgpr 27
		.amdhsa_reserve_vcc 1
		.amdhsa_float_round_mode_32 0
		.amdhsa_float_round_mode_16_64 0
		.amdhsa_float_denorm_mode_32 3
		.amdhsa_float_denorm_mode_16_64 3
		.amdhsa_dx10_clamp 1
		.amdhsa_ieee_mode 1
		.amdhsa_fp16_overflow 0
		.amdhsa_workgroup_processor_mode 1
		.amdhsa_memory_ordered 1
		.amdhsa_forward_progress 0
		.amdhsa_shared_vgpr_count 0
		.amdhsa_exception_fp_ieee_invalid_op 0
		.amdhsa_exception_fp_denorm_src 0
		.amdhsa_exception_fp_ieee_div_zero 0
		.amdhsa_exception_fp_ieee_overflow 0
		.amdhsa_exception_fp_ieee_underflow 0
		.amdhsa_exception_fp_ieee_inexact 0
		.amdhsa_exception_int_div_zero 0
	.end_amdhsa_kernel
	.section	.text._ZL18rocblas_dot_kernelIlLb1ELi1024ELi32ELb0EfPK16rocblas_bfloat16fEviT5_lT_lS3_lS4_liPT6_PT4_,"axG",@progbits,_ZL18rocblas_dot_kernelIlLb1ELi1024ELi32ELb0EfPK16rocblas_bfloat16fEviT5_lT_lS3_lS4_liPT6_PT4_,comdat
.Lfunc_end362:
	.size	_ZL18rocblas_dot_kernelIlLb1ELi1024ELi32ELb0EfPK16rocblas_bfloat16fEviT5_lT_lS3_lS4_liPT6_PT4_, .Lfunc_end362-_ZL18rocblas_dot_kernelIlLb1ELi1024ELi32ELb0EfPK16rocblas_bfloat16fEviT5_lT_lS3_lS4_liPT6_PT4_
                                        ; -- End function
	.section	.AMDGPU.csdata,"",@progbits
; Kernel info:
; codeLenInByte = 1004
; NumSgprs: 29
; NumVgprs: 11
; ScratchSize: 0
; MemoryBound: 0
; FloatMode: 240
; IeeeMode: 1
; LDSByteSize: 128 bytes/workgroup (compile time only)
; SGPRBlocks: 3
; VGPRBlocks: 1
; NumSGPRsForWavesPerEU: 29
; NumVGPRsForWavesPerEU: 11
; Occupancy: 16
; WaveLimiterHint : 0
; COMPUTE_PGM_RSRC2:SCRATCH_EN: 0
; COMPUTE_PGM_RSRC2:USER_SGPR: 14
; COMPUTE_PGM_RSRC2:TRAP_HANDLER: 0
; COMPUTE_PGM_RSRC2:TGID_X_EN: 1
; COMPUTE_PGM_RSRC2:TGID_Y_EN: 0
; COMPUTE_PGM_RSRC2:TGID_Z_EN: 1
; COMPUTE_PGM_RSRC2:TIDIG_COMP_CNT: 0
	.section	.text._ZL24rocblas_dot_kernel_magsqIlLb1ELi1024ELi32ELb0EfPK16rocblas_bfloat16fEviT5_lT_liPT6_PT4_,"axG",@progbits,_ZL24rocblas_dot_kernel_magsqIlLb1ELi1024ELi32ELb0EfPK16rocblas_bfloat16fEviT5_lT_liPT6_PT4_,comdat
	.globl	_ZL24rocblas_dot_kernel_magsqIlLb1ELi1024ELi32ELb0EfPK16rocblas_bfloat16fEviT5_lT_liPT6_PT4_ ; -- Begin function _ZL24rocblas_dot_kernel_magsqIlLb1ELi1024ELi32ELb0EfPK16rocblas_bfloat16fEviT5_lT_liPT6_PT4_
	.p2align	8
	.type	_ZL24rocblas_dot_kernel_magsqIlLb1ELi1024ELi32ELb0EfPK16rocblas_bfloat16fEviT5_lT_liPT6_PT4_,@function
_ZL24rocblas_dot_kernel_magsqIlLb1ELi1024ELi32ELb0EfPK16rocblas_bfloat16fEviT5_lT_liPT6_PT4_: ; @_ZL24rocblas_dot_kernel_magsqIlLb1ELi1024ELi32ELb0EfPK16rocblas_bfloat16fEviT5_lT_liPT6_PT4_
; %bb.0:
	s_clause 0x1
	s_load_b32 s8, s[0:1], 0x0
	s_load_b64 s[2:3], s[0:1], 0x38
	v_mov_b32_e32 v3, 0
	s_mov_b32 s4, s15
	s_mov_b32 s5, 0
	s_mov_b32 s9, exec_lo
	s_waitcnt lgkmcnt(0)
	v_cmpx_gt_i32_e64 s8, v0
	s_cbranch_execz .LBB363_4
; %bb.1:
	s_clause 0x3
	s_load_b128 s[12:15], s[0:1], 0x10
	s_load_b32 s16, s[0:1], 0x40
	s_load_b64 s[6:7], s[0:1], 0x20
	s_load_b64 s[10:11], s[0:1], 0x8
	s_waitcnt lgkmcnt(0)
	v_mad_u64_u32 v[1:2], null, s14, v0, 0
	s_mul_i32 s0, s7, s4
	s_mul_hi_u32 s7, s6, s4
	s_mul_i32 s6, s6, s4
	s_add_i32 s7, s7, s0
	s_lshl_b64 s[12:13], s[12:13], 1
	s_lshl_b32 s1, s16, 10
	s_delay_alu instid0(VALU_DEP_1)
	v_mad_u64_u32 v[3:4], null, s15, v0, v[2:3]
	s_lshl_b64 s[6:7], s[6:7], 1
	s_add_u32 s0, s10, s12
	s_addc_u32 s10, s11, s13
	s_add_u32 s0, s0, s6
	s_addc_u32 s10, s10, s7
	s_ashr_i32 s6, s1, 31
	s_delay_alu instid0(VALU_DEP_1) | instskip(SKIP_3) | instid1(VALU_DEP_1)
	v_dual_mov_b32 v2, v3 :: v_dual_mov_b32 v3, 0
	s_mul_hi_u32 s7, s14, s1
	s_mul_i32 s6, s14, s6
	s_mul_i32 s11, s15, s1
	v_lshlrev_b64 v[1:2], 1, v[1:2]
	s_add_i32 s7, s7, s6
	v_or_b32_e32 v4, s1, v0
	s_mul_i32 s6, s14, s1
	s_add_i32 s7, s7, s11
	s_mov_b32 s11, s5
	v_add_co_u32 v1, vcc_lo, s0, v1
	v_add_co_ci_u32_e32 v2, vcc_lo, s10, v2, vcc_lo
	s_lshl_b64 s[6:7], s[6:7], 1
	s_mov_b32 s10, s5
	.p2align	6
.LBB363_2:                              ; =>This Inner Loop Header: Depth=1
	global_load_u16 v5, v[1:2], off
	s_add_i32 s12, s11, 1
	v_cmp_le_i32_e32 vcc_lo, s8, v4
	v_add_co_u32 v1, s0, v1, s6
	s_cmp_gt_u32 s11, 30
	v_add_co_ci_u32_e64 v2, s0, s7, v2, s0
	s_cselect_b32 s0, -1, 0
	s_mov_b32 s11, s12
	s_or_b32 s0, s0, vcc_lo
	s_delay_alu instid0(SALU_CYCLE_1) | instskip(NEXT) | instid1(SALU_CYCLE_1)
	s_and_b32 s0, exec_lo, s0
	s_or_b32 s10, s0, s10
	s_waitcnt vmcnt(0)
	v_lshlrev_b32_e32 v5, 16, v5
	s_delay_alu instid0(VALU_DEP_1)
	v_dual_fmac_f32 v3, v5, v5 :: v_dual_add_nc_u32 v4, s1, v4
	s_and_not1_b32 exec_lo, exec_lo, s10
	s_cbranch_execnz .LBB363_2
; %bb.3:
	s_or_b32 exec_lo, exec_lo, s10
.LBB363_4:
	s_delay_alu instid0(SALU_CYCLE_1) | instskip(SKIP_2) | instid1(VALU_DEP_2)
	s_or_b32 exec_lo, exec_lo, s9
	v_and_b32_e32 v7, 31, v0
	v_cmp_gt_u32_e32 vcc_lo, 32, v0
	v_lshlrev_b32_e32 v1, 2, v7
	s_and_saveexec_b32 s0, vcc_lo
	s_cbranch_execz .LBB363_6
; %bb.5:
	v_mov_b32_e32 v2, 0
	ds_store_b32 v1, v2
.LBB363_6:
	s_or_b32 exec_lo, exec_lo, s0
	v_mbcnt_lo_u32_b32 v6, -1, 0
	s_mov_b32 s1, exec_lo
	s_waitcnt lgkmcnt(0)
	s_barrier
	buffer_gl0_inv
	v_cmp_gt_u32_e64 s0, 16, v6
	s_delay_alu instid0(VALU_DEP_1) | instskip(SKIP_1) | instid1(VALU_DEP_2)
	v_cndmask_b32_e64 v2, 0, 1, s0
	v_cmp_gt_u32_e64 s0, 24, v6
	v_lshlrev_b32_e32 v2, 4, v2
	s_delay_alu instid0(VALU_DEP_2) | instskip(SKIP_1) | instid1(VALU_DEP_3)
	v_cndmask_b32_e64 v4, 0, 1, s0
	v_cmp_gt_u32_e64 s0, 28, v6
	v_add_lshl_u32 v2, v2, v6, 2
	s_delay_alu instid0(VALU_DEP_3)
	v_lshlrev_b32_e32 v4, 3, v4
	ds_bpermute_b32 v5, v2, v3
	v_add_lshl_u32 v4, v4, v6, 2
	s_waitcnt lgkmcnt(0)
	v_add_f32_e32 v5, v3, v5
	v_cndmask_b32_e64 v3, 0, 1, s0
	v_cmp_gt_u32_e64 s0, 30, v6
	ds_bpermute_b32 v8, v4, v5
	s_waitcnt lgkmcnt(0)
	v_dual_add_f32 v8, v5, v8 :: v_dual_lshlrev_b32 v3, 2, v3
	s_delay_alu instid0(VALU_DEP_1) | instskip(SKIP_4) | instid1(VALU_DEP_1)
	v_add_lshl_u32 v3, v3, v6, 2
	v_cndmask_b32_e64 v5, 0, 1, s0
	v_cmp_ne_u32_e64 s0, 31, v6
	ds_bpermute_b32 v9, v3, v8
	v_lshlrev_b32_e32 v5, 1, v5
	v_add_lshl_u32 v5, v5, v6, 2
	v_add_co_ci_u32_e64 v6, s0, 0, v6, s0
	s_delay_alu instid0(VALU_DEP_1)
	v_lshlrev_b32_e32 v6, 2, v6
	s_waitcnt lgkmcnt(0)
	v_add_f32_e32 v8, v8, v9
	ds_bpermute_b32 v9, v5, v8
	s_waitcnt lgkmcnt(0)
	v_add_f32_e32 v8, v8, v9
	ds_bpermute_b32 v9, v6, v8
	v_cmpx_eq_u32_e32 0, v7
	s_cbranch_execz .LBB363_8
; %bb.7:
	v_lshrrev_b32_e32 v7, 3, v0
	s_waitcnt lgkmcnt(0)
	s_delay_alu instid0(VALU_DEP_1)
	v_dual_add_f32 v8, v8, v9 :: v_dual_and_b32 v7, 0x7c, v7
	ds_store_b32 v7, v8
.LBB363_8:
	s_or_b32 exec_lo, exec_lo, s1
	v_mov_b32_e32 v7, 0
	s_waitcnt lgkmcnt(0)
	s_barrier
	buffer_gl0_inv
	s_and_saveexec_b32 s0, vcc_lo
	s_cbranch_execz .LBB363_10
; %bb.9:
	ds_load_b32 v7, v1
.LBB363_10:
	s_or_b32 exec_lo, exec_lo, s0
	s_and_saveexec_b32 s0, vcc_lo
	s_cbranch_execz .LBB363_12
; %bb.11:
	s_waitcnt lgkmcnt(0)
	ds_bpermute_b32 v1, v2, v7
	s_waitcnt lgkmcnt(0)
	v_add_f32_e32 v1, v7, v1
	ds_bpermute_b32 v2, v4, v1
	s_waitcnt lgkmcnt(0)
	v_add_f32_e32 v1, v1, v2
	;; [unrolled: 3-line block ×5, first 2 shown]
.LBB363_12:
	s_or_b32 exec_lo, exec_lo, s0
	s_delay_alu instid0(SALU_CYCLE_1)
	s_mov_b32 s0, exec_lo
	v_cmpx_eq_u32_e32 0, v0
	s_cbranch_execz .LBB363_14
; %bb.13:
	s_lshl_b64 s[0:1], s[4:5], 2
	v_mov_b32_e32 v0, 0
	s_add_u32 s0, s2, s0
	s_addc_u32 s1, s3, s1
	s_waitcnt lgkmcnt(0)
	global_store_b32 v0, v7, s[0:1]
.LBB363_14:
	s_nop 0
	s_sendmsg sendmsg(MSG_DEALLOC_VGPRS)
	s_endpgm
	.section	.rodata,"a",@progbits
	.p2align	6, 0x0
	.amdhsa_kernel _ZL24rocblas_dot_kernel_magsqIlLb1ELi1024ELi32ELb0EfPK16rocblas_bfloat16fEviT5_lT_liPT6_PT4_
		.amdhsa_group_segment_fixed_size 128
		.amdhsa_private_segment_fixed_size 0
		.amdhsa_kernarg_size 320
		.amdhsa_user_sgpr_count 14
		.amdhsa_user_sgpr_dispatch_ptr 0
		.amdhsa_user_sgpr_queue_ptr 0
		.amdhsa_user_sgpr_kernarg_segment_ptr 1
		.amdhsa_user_sgpr_dispatch_id 0
		.amdhsa_user_sgpr_private_segment_size 0
		.amdhsa_wavefront_size32 1
		.amdhsa_uses_dynamic_stack 0
		.amdhsa_enable_private_segment 0
		.amdhsa_system_sgpr_workgroup_id_x 1
		.amdhsa_system_sgpr_workgroup_id_y 0
		.amdhsa_system_sgpr_workgroup_id_z 1
		.amdhsa_system_sgpr_workgroup_info 0
		.amdhsa_system_vgpr_workitem_id 0
		.amdhsa_next_free_vgpr 10
		.amdhsa_next_free_sgpr 17
		.amdhsa_reserve_vcc 1
		.amdhsa_float_round_mode_32 0
		.amdhsa_float_round_mode_16_64 0
		.amdhsa_float_denorm_mode_32 3
		.amdhsa_float_denorm_mode_16_64 3
		.amdhsa_dx10_clamp 1
		.amdhsa_ieee_mode 1
		.amdhsa_fp16_overflow 0
		.amdhsa_workgroup_processor_mode 1
		.amdhsa_memory_ordered 1
		.amdhsa_forward_progress 0
		.amdhsa_shared_vgpr_count 0
		.amdhsa_exception_fp_ieee_invalid_op 0
		.amdhsa_exception_fp_denorm_src 0
		.amdhsa_exception_fp_ieee_div_zero 0
		.amdhsa_exception_fp_ieee_overflow 0
		.amdhsa_exception_fp_ieee_underflow 0
		.amdhsa_exception_fp_ieee_inexact 0
		.amdhsa_exception_int_div_zero 0
	.end_amdhsa_kernel
	.section	.text._ZL24rocblas_dot_kernel_magsqIlLb1ELi1024ELi32ELb0EfPK16rocblas_bfloat16fEviT5_lT_liPT6_PT4_,"axG",@progbits,_ZL24rocblas_dot_kernel_magsqIlLb1ELi1024ELi32ELb0EfPK16rocblas_bfloat16fEviT5_lT_liPT6_PT4_,comdat
.Lfunc_end363:
	.size	_ZL24rocblas_dot_kernel_magsqIlLb1ELi1024ELi32ELb0EfPK16rocblas_bfloat16fEviT5_lT_liPT6_PT4_, .Lfunc_end363-_ZL24rocblas_dot_kernel_magsqIlLb1ELi1024ELi32ELb0EfPK16rocblas_bfloat16fEviT5_lT_liPT6_PT4_
                                        ; -- End function
	.section	.AMDGPU.csdata,"",@progbits
; Kernel info:
; codeLenInByte = 856
; NumSgprs: 19
; NumVgprs: 10
; ScratchSize: 0
; MemoryBound: 0
; FloatMode: 240
; IeeeMode: 1
; LDSByteSize: 128 bytes/workgroup (compile time only)
; SGPRBlocks: 2
; VGPRBlocks: 1
; NumSGPRsForWavesPerEU: 19
; NumVGPRsForWavesPerEU: 10
; Occupancy: 16
; WaveLimiterHint : 0
; COMPUTE_PGM_RSRC2:SCRATCH_EN: 0
; COMPUTE_PGM_RSRC2:USER_SGPR: 14
; COMPUTE_PGM_RSRC2:TRAP_HANDLER: 0
; COMPUTE_PGM_RSRC2:TGID_X_EN: 1
; COMPUTE_PGM_RSRC2:TGID_Y_EN: 0
; COMPUTE_PGM_RSRC2:TGID_Z_EN: 1
; COMPUTE_PGM_RSRC2:TIDIG_COMP_CNT: 0
	.section	.text._ZL23rocblas_dot_kernel_inc1ILb0ELi512ELi4ELb0EfPK16rocblas_bfloat16fEviT4_llS3_lliPT5_PT3_,"axG",@progbits,_ZL23rocblas_dot_kernel_inc1ILb0ELi512ELi4ELb0EfPK16rocblas_bfloat16fEviT4_llS3_lliPT5_PT3_,comdat
	.globl	_ZL23rocblas_dot_kernel_inc1ILb0ELi512ELi4ELb0EfPK16rocblas_bfloat16fEviT4_llS3_lliPT5_PT3_ ; -- Begin function _ZL23rocblas_dot_kernel_inc1ILb0ELi512ELi4ELb0EfPK16rocblas_bfloat16fEviT4_llS3_lliPT5_PT3_
	.p2align	8
	.type	_ZL23rocblas_dot_kernel_inc1ILb0ELi512ELi4ELb0EfPK16rocblas_bfloat16fEviT4_llS3_lliPT5_PT3_,@function
_ZL23rocblas_dot_kernel_inc1ILb0ELi512ELi4ELb0EfPK16rocblas_bfloat16fEviT4_llS3_lliPT5_PT3_: ; @_ZL23rocblas_dot_kernel_inc1ILb0ELi512ELi4ELb0EfPK16rocblas_bfloat16fEviT4_llS3_lliPT5_PT3_
; %bb.0:
	s_clause 0x2
	s_load_b32 s12, s[0:1], 0x50
	s_load_b32 s13, s[0:1], 0x0
	s_load_b128 s[4:7], s[0:1], 0x40
	v_lshl_or_b32 v1, s14, 9, v0
	v_mov_b32_e32 v4, 0
	s_mov_b32 s2, s15
	s_mov_b32 s3, 0
	s_mov_b32 s15, exec_lo
	s_waitcnt lgkmcnt(0)
	v_cmpx_gt_i32_e64 s13, v1
	s_cbranch_execz .LBB364_4
; %bb.1:
	s_clause 0x3
	s_load_b128 s[8:11], s[0:1], 0x10
	s_load_b128 s[20:23], s[0:1], 0x28
	s_load_b64 s[16:17], s[0:1], 0x8
	s_load_b64 s[18:19], s[0:1], 0x20
	v_ashrrev_i32_e32 v2, 31, v1
	s_delay_alu instid0(VALU_DEP_1)
	v_lshlrev_b64 v[2:3], 1, v[1:2]
	s_waitcnt lgkmcnt(0)
	s_mul_i32 s1, s2, s11
	s_mul_hi_u32 s11, s2, s10
	s_mul_i32 s0, s2, s10
	s_add_i32 s1, s11, s1
	s_mul_i32 s11, s2, s23
	s_lshl_b64 s[0:1], s[0:1], 1
	s_mul_hi_u32 s23, s2, s22
	s_add_u32 s0, s16, s0
	s_addc_u32 s16, s17, s1
	s_lshl_b64 s[8:9], s[8:9], 1
	s_mul_i32 s10, s2, s22
	s_add_u32 s1, s0, s8
	s_addc_u32 s16, s16, s9
	s_add_i32 s11, s23, s11
	s_delay_alu instid0(SALU_CYCLE_1) | instskip(NEXT) | instid1(SALU_CYCLE_1)
	s_lshl_b64 s[8:9], s[10:11], 1
	s_add_u32 s0, s18, s8
	s_addc_u32 s10, s19, s9
	s_lshl_b64 s[8:9], s[20:21], 1
	s_mov_b32 s19, s3
	s_add_u32 s17, s0, s8
	s_addc_u32 s18, s10, s9
	s_lshl_b32 s8, s12, 9
	s_delay_alu instid0(SALU_CYCLE_1) | instskip(SKIP_1) | instid1(SALU_CYCLE_1)
	v_dual_mov_b32 v4, 0 :: v_dual_add_nc_u32 v1, s8, v1
	s_ashr_i32 s9, s8, 31
	s_lshl_b64 s[10:11], s[8:9], 1
	s_mov_b32 s9, s3
	.p2align	6
.LBB364_2:                              ; =>This Inner Loop Header: Depth=1
	v_add_co_u32 v5, vcc_lo, s1, v2
	v_add_co_ci_u32_e32 v6, vcc_lo, s16, v3, vcc_lo
	v_add_co_u32 v7, vcc_lo, s17, v2
	v_add_co_ci_u32_e32 v8, vcc_lo, s18, v3, vcc_lo
	s_add_i32 s20, s19, 1
	global_load_u16 v5, v[5:6], off
	global_load_u16 v6, v[7:8], off
	v_cmp_le_i32_e32 vcc_lo, s13, v1
	v_add_co_u32 v2, s0, v2, s10
	s_cmp_gt_u32 s19, 2
	v_add_co_ci_u32_e64 v3, s0, s11, v3, s0
	s_cselect_b32 s0, -1, 0
	v_add_nc_u32_e32 v1, s8, v1
	s_or_b32 s0, s0, vcc_lo
	s_mov_b32 s19, s20
	s_and_b32 s0, exec_lo, s0
	s_delay_alu instid0(SALU_CYCLE_1) | instskip(SKIP_4) | instid1(VALU_DEP_1)
	s_or_b32 s9, s0, s9
	s_waitcnt vmcnt(1)
	v_lshlrev_b32_e32 v5, 16, v5
	s_waitcnt vmcnt(0)
	v_lshlrev_b32_e32 v6, 16, v6
	v_fmac_f32_e32 v4, v6, v5
	s_and_not1_b32 exec_lo, exec_lo, s9
	s_cbranch_execnz .LBB364_2
; %bb.3:
	s_or_b32 exec_lo, exec_lo, s9
.LBB364_4:
	s_delay_alu instid0(SALU_CYCLE_1) | instskip(SKIP_2) | instid1(VALU_DEP_2)
	s_or_b32 exec_lo, exec_lo, s15
	v_and_b32_e32 v2, 31, v0
	v_cmp_gt_u32_e32 vcc_lo, 32, v0
	v_lshlrev_b32_e32 v1, 2, v2
	s_and_saveexec_b32 s0, vcc_lo
	s_cbranch_execz .LBB364_6
; %bb.5:
	v_mov_b32_e32 v3, 0
	ds_store_b32 v1, v3
.LBB364_6:
	s_or_b32 exec_lo, exec_lo, s0
	v_mbcnt_lo_u32_b32 v6, -1, 0
	s_mov_b32 s1, exec_lo
	s_waitcnt lgkmcnt(0)
	s_barrier
	buffer_gl0_inv
	v_cmp_gt_u32_e64 s0, 16, v6
	s_delay_alu instid0(VALU_DEP_1) | instskip(SKIP_1) | instid1(VALU_DEP_2)
	v_cndmask_b32_e64 v3, 0, 1, s0
	v_cmp_gt_u32_e64 s0, 24, v6
	v_lshlrev_b32_e32 v3, 4, v3
	s_delay_alu instid0(VALU_DEP_1) | instskip(SKIP_3) | instid1(VALU_DEP_2)
	v_add_lshl_u32 v3, v3, v6, 2
	ds_bpermute_b32 v5, v3, v4
	v_cndmask_b32_e64 v3, 0, 1, s0
	v_cmp_gt_u32_e64 s0, 28, v6
	v_lshlrev_b32_e32 v3, 3, v3
	s_delay_alu instid0(VALU_DEP_1) | instskip(SKIP_4) | instid1(VALU_DEP_2)
	v_add_lshl_u32 v3, v3, v6, 2
	s_waitcnt lgkmcnt(0)
	v_add_f32_e32 v5, v4, v5
	v_cndmask_b32_e64 v4, 0, 1, s0
	v_cmp_gt_u32_e64 s0, 30, v6
	v_lshlrev_b32_e32 v4, 2, v4
	ds_bpermute_b32 v7, v3, v5
	v_add_lshl_u32 v4, v4, v6, 2
	s_waitcnt lgkmcnt(0)
	v_add_f32_e32 v7, v5, v7
	v_cndmask_b32_e64 v5, 0, 1, s0
	v_cmp_ne_u32_e64 s0, 31, v6
	s_delay_alu instid0(VALU_DEP_2) | instskip(NEXT) | instid1(VALU_DEP_1)
	v_lshlrev_b32_e32 v5, 1, v5
	v_add_lshl_u32 v5, v5, v6, 2
	s_delay_alu instid0(VALU_DEP_3) | instskip(NEXT) | instid1(VALU_DEP_1)
	v_add_co_ci_u32_e64 v6, s0, 0, v6, s0
	v_lshlrev_b32_e32 v6, 2, v6
	ds_bpermute_b32 v8, v4, v7
	s_waitcnt lgkmcnt(0)
	v_add_f32_e32 v7, v7, v8
	ds_bpermute_b32 v8, v5, v7
	s_waitcnt lgkmcnt(0)
	v_add_f32_e32 v7, v7, v8
	ds_bpermute_b32 v8, v6, v7
	v_cmpx_eq_u32_e32 0, v2
	s_cbranch_execz .LBB364_8
; %bb.7:
	v_lshrrev_b32_e32 v2, 3, v0
	s_waitcnt lgkmcnt(0)
	s_delay_alu instid0(VALU_DEP_1)
	v_dual_add_f32 v7, v7, v8 :: v_dual_and_b32 v2, 60, v2
	ds_store_b32 v2, v7
.LBB364_8:
	s_or_b32 exec_lo, exec_lo, s1
	v_mov_b32_e32 v2, 0
	s_mov_b32 s1, exec_lo
	s_waitcnt lgkmcnt(0)
	s_barrier
	buffer_gl0_inv
	v_cmpx_gt_u32_e32 16, v0
	s_cbranch_execz .LBB364_10
; %bb.9:
	ds_load_b32 v2, v1
.LBB364_10:
	s_or_b32 exec_lo, exec_lo, s1
	s_and_saveexec_b32 s0, vcc_lo
	s_cbranch_execz .LBB364_12
; %bb.11:
	s_waitcnt lgkmcnt(0)
	ds_bpermute_b32 v1, v3, v2
	s_waitcnt lgkmcnt(0)
	v_add_f32_e32 v1, v2, v1
	ds_bpermute_b32 v2, v4, v1
	s_waitcnt lgkmcnt(0)
	v_add_f32_e32 v1, v1, v2
	;; [unrolled: 3-line block ×4, first 2 shown]
.LBB364_12:
	s_or_b32 exec_lo, exec_lo, s0
	s_delay_alu instid0(SALU_CYCLE_1)
	s_mov_b32 s0, exec_lo
	v_cmpx_eq_u32_e32 0, v0
	s_cbranch_execz .LBB364_18
; %bb.13:
	s_cmp_lg_u32 s12, 1
	s_cbranch_scc0 .LBB364_15
; %bb.14:
	s_mul_hi_u32 s1, s12, s2
	s_mul_i32 s0, s12, s2
	s_mov_b32 s15, 0
	s_lshl_b64 s[0:1], s[0:1], 2
	s_delay_alu instid0(SALU_CYCLE_1) | instskip(SKIP_2) | instid1(SALU_CYCLE_1)
	s_add_u32 s4, s4, s0
	s_addc_u32 s5, s5, s1
	s_lshl_b64 s[0:1], s[14:15], 2
	s_add_u32 s0, s4, s0
	s_addc_u32 s1, s5, s1
	s_cbranch_execz .LBB364_16
	s_branch .LBB364_17
.LBB364_15:
                                        ; implicit-def: $sgpr0_sgpr1
.LBB364_16:
	s_lshl_b64 s[0:1], s[2:3], 2
	s_delay_alu instid0(SALU_CYCLE_1)
	s_add_u32 s0, s6, s0
	s_addc_u32 s1, s7, s1
.LBB364_17:
	v_mov_b32_e32 v0, 0
	s_waitcnt lgkmcnt(0)
	global_store_b32 v0, v2, s[0:1]
.LBB364_18:
	s_nop 0
	s_sendmsg sendmsg(MSG_DEALLOC_VGPRS)
	s_endpgm
	.section	.rodata,"a",@progbits
	.p2align	6, 0x0
	.amdhsa_kernel _ZL23rocblas_dot_kernel_inc1ILb0ELi512ELi4ELb0EfPK16rocblas_bfloat16fEviT4_llS3_lliPT5_PT3_
		.amdhsa_group_segment_fixed_size 128
		.amdhsa_private_segment_fixed_size 0
		.amdhsa_kernarg_size 336
		.amdhsa_user_sgpr_count 14
		.amdhsa_user_sgpr_dispatch_ptr 0
		.amdhsa_user_sgpr_queue_ptr 0
		.amdhsa_user_sgpr_kernarg_segment_ptr 1
		.amdhsa_user_sgpr_dispatch_id 0
		.amdhsa_user_sgpr_private_segment_size 0
		.amdhsa_wavefront_size32 1
		.amdhsa_uses_dynamic_stack 0
		.amdhsa_enable_private_segment 0
		.amdhsa_system_sgpr_workgroup_id_x 1
		.amdhsa_system_sgpr_workgroup_id_y 0
		.amdhsa_system_sgpr_workgroup_id_z 1
		.amdhsa_system_sgpr_workgroup_info 0
		.amdhsa_system_vgpr_workitem_id 0
		.amdhsa_next_free_vgpr 9
		.amdhsa_next_free_sgpr 24
		.amdhsa_reserve_vcc 1
		.amdhsa_float_round_mode_32 0
		.amdhsa_float_round_mode_16_64 0
		.amdhsa_float_denorm_mode_32 3
		.amdhsa_float_denorm_mode_16_64 3
		.amdhsa_dx10_clamp 1
		.amdhsa_ieee_mode 1
		.amdhsa_fp16_overflow 0
		.amdhsa_workgroup_processor_mode 1
		.amdhsa_memory_ordered 1
		.amdhsa_forward_progress 0
		.amdhsa_shared_vgpr_count 0
		.amdhsa_exception_fp_ieee_invalid_op 0
		.amdhsa_exception_fp_denorm_src 0
		.amdhsa_exception_fp_ieee_div_zero 0
		.amdhsa_exception_fp_ieee_overflow 0
		.amdhsa_exception_fp_ieee_underflow 0
		.amdhsa_exception_fp_ieee_inexact 0
		.amdhsa_exception_int_div_zero 0
	.end_amdhsa_kernel
	.section	.text._ZL23rocblas_dot_kernel_inc1ILb0ELi512ELi4ELb0EfPK16rocblas_bfloat16fEviT4_llS3_lliPT5_PT3_,"axG",@progbits,_ZL23rocblas_dot_kernel_inc1ILb0ELi512ELi4ELb0EfPK16rocblas_bfloat16fEviT4_llS3_lliPT5_PT3_,comdat
.Lfunc_end364:
	.size	_ZL23rocblas_dot_kernel_inc1ILb0ELi512ELi4ELb0EfPK16rocblas_bfloat16fEviT4_llS3_lliPT5_PT3_, .Lfunc_end364-_ZL23rocblas_dot_kernel_inc1ILb0ELi512ELi4ELb0EfPK16rocblas_bfloat16fEviT4_llS3_lliPT5_PT3_
                                        ; -- End function
	.section	.AMDGPU.csdata,"",@progbits
; Kernel info:
; codeLenInByte = 944
; NumSgprs: 26
; NumVgprs: 9
; ScratchSize: 0
; MemoryBound: 0
; FloatMode: 240
; IeeeMode: 1
; LDSByteSize: 128 bytes/workgroup (compile time only)
; SGPRBlocks: 3
; VGPRBlocks: 1
; NumSGPRsForWavesPerEU: 26
; NumVGPRsForWavesPerEU: 9
; Occupancy: 16
; WaveLimiterHint : 0
; COMPUTE_PGM_RSRC2:SCRATCH_EN: 0
; COMPUTE_PGM_RSRC2:USER_SGPR: 14
; COMPUTE_PGM_RSRC2:TRAP_HANDLER: 0
; COMPUTE_PGM_RSRC2:TGID_X_EN: 1
; COMPUTE_PGM_RSRC2:TGID_Y_EN: 0
; COMPUTE_PGM_RSRC2:TGID_Z_EN: 1
; COMPUTE_PGM_RSRC2:TIDIG_COMP_CNT: 0
	.section	.text._ZL18rocblas_dot_kernelIlLb0ELi512ELi4ELb0EfPK16rocblas_bfloat16fEviT5_lT_lS3_lS4_liPT6_PT4_,"axG",@progbits,_ZL18rocblas_dot_kernelIlLb0ELi512ELi4ELb0EfPK16rocblas_bfloat16fEviT5_lT_lS3_lS4_liPT6_PT4_,comdat
	.globl	_ZL18rocblas_dot_kernelIlLb0ELi512ELi4ELb0EfPK16rocblas_bfloat16fEviT5_lT_lS3_lS4_liPT6_PT4_ ; -- Begin function _ZL18rocblas_dot_kernelIlLb0ELi512ELi4ELb0EfPK16rocblas_bfloat16fEviT5_lT_lS3_lS4_liPT6_PT4_
	.p2align	8
	.type	_ZL18rocblas_dot_kernelIlLb0ELi512ELi4ELb0EfPK16rocblas_bfloat16fEviT5_lT_lS3_lS4_liPT6_PT4_,@function
_ZL18rocblas_dot_kernelIlLb0ELi512ELi4ELb0EfPK16rocblas_bfloat16fEviT5_lT_lS3_lS4_liPT6_PT4_: ; @_ZL18rocblas_dot_kernelIlLb0ELi512ELi4ELb0EfPK16rocblas_bfloat16fEviT5_lT_lS3_lS4_liPT6_PT4_
; %bb.0:
	s_clause 0x2
	s_load_b32 s12, s[0:1], 0x60
	s_load_b32 s13, s[0:1], 0x0
	s_load_b128 s[16:19], s[0:1], 0x50
	v_lshl_or_b32 v1, s14, 9, v0
	v_mov_b32_e32 v6, 0
	s_mov_b32 s2, s15
	s_mov_b32 s3, 0
	s_mov_b32 s15, exec_lo
	s_waitcnt lgkmcnt(0)
	v_cmpx_gt_i32_e64 s13, v1
	s_cbranch_execz .LBB365_4
; %bb.1:
	s_clause 0x2
	s_load_b128 s[20:23], s[0:1], 0x10
	s_load_b256 s[4:11], s[0:1], 0x20
	s_load_b64 s[26:27], s[0:1], 0x8
	v_ashrrev_i32_e32 v4, 31, v1
	s_load_b64 s[0:1], s[0:1], 0x40
	s_lshl_b32 s24, s12, 9
	s_delay_alu instid0(SALU_CYCLE_1)
	v_add_nc_u32_e32 v5, s24, v1
	s_waitcnt lgkmcnt(0)
	v_mul_lo_u32 v8, s23, v1
	v_mul_lo_u32 v9, s22, v4
	v_mad_u64_u32 v[2:3], null, s22, v1, 0
	s_mul_i32 s5, s5, s2
	s_mul_hi_u32 s25, s4, s2
	s_mul_i32 s4, s4, s2
	v_mul_lo_u32 v10, s11, v1
	v_mul_lo_u32 v4, s10, v4
	s_add_i32 s5, s25, s5
	s_delay_alu instid0(VALU_DEP_3)
	v_add3_u32 v3, v3, v9, v8
	v_mad_u64_u32 v[6:7], null, s10, v1, 0
	s_lshl_b64 s[20:21], s[20:21], 1
	s_lshl_b64 s[4:5], s[4:5], 1
	s_add_u32 s20, s26, s20
	s_addc_u32 s21, s27, s21
	v_lshlrev_b64 v[1:2], 1, v[2:3]
	s_add_u32 s20, s20, s4
	s_addc_u32 s21, s21, s5
	s_ashr_i32 s25, s24, 31
	s_mul_hi_u32 s4, s22, s24
	s_mul_i32 s5, s22, s25
	v_add3_u32 v7, v7, v4, v10
	s_mul_i32 s23, s23, s24
	s_add_i32 s5, s4, s5
	v_add_co_u32 v1, vcc_lo, s20, v1
	s_mul_i32 s1, s1, s2
	s_mul_hi_u32 s20, s0, s2
	s_mul_i32 s4, s22, s24
	s_add_i32 s5, s5, s23
	s_add_i32 s1, s20, s1
	s_mul_i32 s0, s0, s2
	v_lshlrev_b64 v[3:4], 1, v[6:7]
	v_mov_b32_e32 v6, 0
	s_lshl_b64 s[8:9], s[8:9], 1
	s_lshl_b64 s[4:5], s[4:5], 1
	;; [unrolled: 1-line block ×3, first 2 shown]
	s_add_u32 s6, s6, s8
	s_addc_u32 s7, s7, s9
	s_add_u32 s0, s6, s0
	v_add_co_ci_u32_e32 v2, vcc_lo, s21, v2, vcc_lo
	s_mul_i32 s6, s10, s25
	s_mul_hi_u32 s8, s10, s24
	s_addc_u32 s1, s7, s1
	v_add_co_u32 v3, vcc_lo, s0, v3
	s_add_i32 s6, s8, s6
	s_mul_i32 s7, s11, s24
	v_add_co_ci_u32_e32 v4, vcc_lo, s1, v4, vcc_lo
	s_add_i32 s1, s6, s7
	s_mul_i32 s0, s10, s24
	s_mov_b32 s8, s3
	s_lshl_b64 s[6:7], s[0:1], 1
	s_mov_b32 s1, s3
	.p2align	6
.LBB365_2:                              ; =>This Inner Loop Header: Depth=1
	global_load_u16 v7, v[1:2], off
	global_load_u16 v8, v[3:4], off
	v_add_co_u32 v1, s0, v1, s4
	s_delay_alu instid0(VALU_DEP_1)
	v_add_co_ci_u32_e64 v2, s0, s5, v2, s0
	s_add_i32 s9, s8, 1
	v_cmp_le_i32_e32 vcc_lo, s13, v5
	v_add_co_u32 v3, s0, v3, s6
	s_cmp_gt_u32 s8, 2
	v_add_co_ci_u32_e64 v4, s0, s7, v4, s0
	s_cselect_b32 s0, -1, 0
	s_mov_b32 s8, s9
	s_or_b32 s0, s0, vcc_lo
	s_delay_alu instid0(SALU_CYCLE_1) | instskip(NEXT) | instid1(SALU_CYCLE_1)
	s_and_b32 s0, exec_lo, s0
	s_or_b32 s1, s0, s1
	s_waitcnt vmcnt(1)
	v_lshlrev_b32_e32 v7, 16, v7
	s_waitcnt vmcnt(0)
	v_lshlrev_b32_e32 v8, 16, v8
	s_delay_alu instid0(VALU_DEP_1)
	v_dual_fmac_f32 v6, v8, v7 :: v_dual_add_nc_u32 v5, s24, v5
	s_and_not1_b32 exec_lo, exec_lo, s1
	s_cbranch_execnz .LBB365_2
; %bb.3:
	s_or_b32 exec_lo, exec_lo, s1
.LBB365_4:
	s_delay_alu instid0(SALU_CYCLE_1) | instskip(SKIP_2) | instid1(VALU_DEP_2)
	s_or_b32 exec_lo, exec_lo, s15
	v_and_b32_e32 v2, 31, v0
	v_cmp_gt_u32_e32 vcc_lo, 32, v0
	v_lshlrev_b32_e32 v1, 2, v2
	s_and_saveexec_b32 s0, vcc_lo
	s_cbranch_execz .LBB365_6
; %bb.5:
	v_mov_b32_e32 v3, 0
	ds_store_b32 v1, v3
.LBB365_6:
	s_or_b32 exec_lo, exec_lo, s0
	v_mbcnt_lo_u32_b32 v7, -1, 0
	s_mov_b32 s1, exec_lo
	s_waitcnt lgkmcnt(0)
	s_barrier
	buffer_gl0_inv
	v_cmp_gt_u32_e64 s0, 16, v7
	s_delay_alu instid0(VALU_DEP_1) | instskip(SKIP_1) | instid1(VALU_DEP_2)
	v_cndmask_b32_e64 v3, 0, 1, s0
	v_cmp_gt_u32_e64 s0, 24, v7
	v_lshlrev_b32_e32 v3, 4, v3
	s_delay_alu instid0(VALU_DEP_1) | instskip(SKIP_3) | instid1(VALU_DEP_2)
	v_add_lshl_u32 v3, v3, v7, 2
	ds_bpermute_b32 v4, v3, v6
	v_cndmask_b32_e64 v3, 0, 1, s0
	v_cmp_gt_u32_e64 s0, 28, v7
	v_lshlrev_b32_e32 v3, 3, v3
	s_delay_alu instid0(VALU_DEP_1)
	v_add_lshl_u32 v3, v3, v7, 2
	s_waitcnt lgkmcnt(0)
	v_add_f32_e32 v5, v6, v4
	v_cndmask_b32_e64 v4, 0, 1, s0
	v_cmp_gt_u32_e64 s0, 30, v7
	ds_bpermute_b32 v6, v3, v5
	v_lshlrev_b32_e32 v4, 2, v4
	s_delay_alu instid0(VALU_DEP_1)
	v_add_lshl_u32 v4, v4, v7, 2
	s_waitcnt lgkmcnt(0)
	v_add_f32_e32 v6, v5, v6
	v_cndmask_b32_e64 v5, 0, 1, s0
	v_cmp_ne_u32_e64 s0, 31, v7
	ds_bpermute_b32 v8, v4, v6
	v_lshlrev_b32_e32 v5, 1, v5
	v_add_co_ci_u32_e64 v9, s0, 0, v7, s0
	s_delay_alu instid0(VALU_DEP_2)
	v_add_lshl_u32 v5, v5, v7, 2
	s_waitcnt lgkmcnt(0)
	v_add_f32_e32 v6, v6, v8
	ds_bpermute_b32 v8, v5, v6
	s_waitcnt lgkmcnt(0)
	v_dual_add_f32 v7, v6, v8 :: v_dual_lshlrev_b32 v6, 2, v9
	ds_bpermute_b32 v8, v6, v7
	v_cmpx_eq_u32_e32 0, v2
	s_cbranch_execz .LBB365_8
; %bb.7:
	v_lshrrev_b32_e32 v2, 3, v0
	s_waitcnt lgkmcnt(0)
	s_delay_alu instid0(VALU_DEP_1)
	v_dual_add_f32 v7, v7, v8 :: v_dual_and_b32 v2, 60, v2
	ds_store_b32 v2, v7
.LBB365_8:
	s_or_b32 exec_lo, exec_lo, s1
	v_mov_b32_e32 v2, 0
	s_mov_b32 s1, exec_lo
	s_waitcnt lgkmcnt(0)
	s_barrier
	buffer_gl0_inv
	v_cmpx_gt_u32_e32 16, v0
	s_cbranch_execz .LBB365_10
; %bb.9:
	ds_load_b32 v2, v1
.LBB365_10:
	s_or_b32 exec_lo, exec_lo, s1
	s_and_saveexec_b32 s0, vcc_lo
	s_cbranch_execz .LBB365_12
; %bb.11:
	s_waitcnt lgkmcnt(0)
	ds_bpermute_b32 v1, v3, v2
	s_waitcnt lgkmcnt(0)
	v_add_f32_e32 v1, v2, v1
	ds_bpermute_b32 v2, v4, v1
	s_waitcnt lgkmcnt(0)
	v_add_f32_e32 v1, v1, v2
	ds_bpermute_b32 v2, v5, v1
	s_waitcnt lgkmcnt(0)
	v_add_f32_e32 v1, v1, v2
	ds_bpermute_b32 v2, v6, v1
	s_waitcnt lgkmcnt(0)
	v_add_f32_e32 v2, v1, v2
.LBB365_12:
	s_or_b32 exec_lo, exec_lo, s0
	s_delay_alu instid0(SALU_CYCLE_1)
	s_mov_b32 s0, exec_lo
	v_cmpx_eq_u32_e32 0, v0
	s_cbranch_execz .LBB365_18
; %bb.13:
	s_cmp_lg_u32 s12, 1
	s_cbranch_scc0 .LBB365_15
; %bb.14:
	s_mul_hi_u32 s1, s12, s2
	s_mul_i32 s0, s12, s2
	s_mov_b32 s15, 0
	s_lshl_b64 s[0:1], s[0:1], 2
	s_delay_alu instid0(SALU_CYCLE_1) | instskip(SKIP_2) | instid1(SALU_CYCLE_1)
	s_add_u32 s4, s16, s0
	s_addc_u32 s5, s17, s1
	s_lshl_b64 s[0:1], s[14:15], 2
	s_add_u32 s0, s4, s0
	s_addc_u32 s1, s5, s1
	s_cbranch_execz .LBB365_16
	s_branch .LBB365_17
.LBB365_15:
                                        ; implicit-def: $sgpr0_sgpr1
.LBB365_16:
	s_lshl_b64 s[0:1], s[2:3], 2
	s_delay_alu instid0(SALU_CYCLE_1)
	s_add_u32 s0, s18, s0
	s_addc_u32 s1, s19, s1
.LBB365_17:
	v_mov_b32_e32 v0, 0
	s_waitcnt lgkmcnt(0)
	global_store_b32 v0, v2, s[0:1]
.LBB365_18:
	s_nop 0
	s_sendmsg sendmsg(MSG_DEALLOC_VGPRS)
	s_endpgm
	.section	.rodata,"a",@progbits
	.p2align	6, 0x0
	.amdhsa_kernel _ZL18rocblas_dot_kernelIlLb0ELi512ELi4ELb0EfPK16rocblas_bfloat16fEviT5_lT_lS3_lS4_liPT6_PT4_
		.amdhsa_group_segment_fixed_size 128
		.amdhsa_private_segment_fixed_size 0
		.amdhsa_kernarg_size 352
		.amdhsa_user_sgpr_count 14
		.amdhsa_user_sgpr_dispatch_ptr 0
		.amdhsa_user_sgpr_queue_ptr 0
		.amdhsa_user_sgpr_kernarg_segment_ptr 1
		.amdhsa_user_sgpr_dispatch_id 0
		.amdhsa_user_sgpr_private_segment_size 0
		.amdhsa_wavefront_size32 1
		.amdhsa_uses_dynamic_stack 0
		.amdhsa_enable_private_segment 0
		.amdhsa_system_sgpr_workgroup_id_x 1
		.amdhsa_system_sgpr_workgroup_id_y 0
		.amdhsa_system_sgpr_workgroup_id_z 1
		.amdhsa_system_sgpr_workgroup_info 0
		.amdhsa_system_vgpr_workitem_id 0
		.amdhsa_next_free_vgpr 11
		.amdhsa_next_free_sgpr 28
		.amdhsa_reserve_vcc 1
		.amdhsa_float_round_mode_32 0
		.amdhsa_float_round_mode_16_64 0
		.amdhsa_float_denorm_mode_32 3
		.amdhsa_float_denorm_mode_16_64 3
		.amdhsa_dx10_clamp 1
		.amdhsa_ieee_mode 1
		.amdhsa_fp16_overflow 0
		.amdhsa_workgroup_processor_mode 1
		.amdhsa_memory_ordered 1
		.amdhsa_forward_progress 0
		.amdhsa_shared_vgpr_count 0
		.amdhsa_exception_fp_ieee_invalid_op 0
		.amdhsa_exception_fp_denorm_src 0
		.amdhsa_exception_fp_ieee_div_zero 0
		.amdhsa_exception_fp_ieee_overflow 0
		.amdhsa_exception_fp_ieee_underflow 0
		.amdhsa_exception_fp_ieee_inexact 0
		.amdhsa_exception_int_div_zero 0
	.end_amdhsa_kernel
	.section	.text._ZL18rocblas_dot_kernelIlLb0ELi512ELi4ELb0EfPK16rocblas_bfloat16fEviT5_lT_lS3_lS4_liPT6_PT4_,"axG",@progbits,_ZL18rocblas_dot_kernelIlLb0ELi512ELi4ELb0EfPK16rocblas_bfloat16fEviT5_lT_lS3_lS4_liPT6_PT4_,comdat
.Lfunc_end365:
	.size	_ZL18rocblas_dot_kernelIlLb0ELi512ELi4ELb0EfPK16rocblas_bfloat16fEviT5_lT_lS3_lS4_liPT6_PT4_, .Lfunc_end365-_ZL18rocblas_dot_kernelIlLb0ELi512ELi4ELb0EfPK16rocblas_bfloat16fEviT5_lT_lS3_lS4_liPT6_PT4_
                                        ; -- End function
	.section	.AMDGPU.csdata,"",@progbits
; Kernel info:
; codeLenInByte = 1088
; NumSgprs: 30
; NumVgprs: 11
; ScratchSize: 0
; MemoryBound: 0
; FloatMode: 240
; IeeeMode: 1
; LDSByteSize: 128 bytes/workgroup (compile time only)
; SGPRBlocks: 3
; VGPRBlocks: 1
; NumSGPRsForWavesPerEU: 30
; NumVGPRsForWavesPerEU: 11
; Occupancy: 16
; WaveLimiterHint : 0
; COMPUTE_PGM_RSRC2:SCRATCH_EN: 0
; COMPUTE_PGM_RSRC2:USER_SGPR: 14
; COMPUTE_PGM_RSRC2:TRAP_HANDLER: 0
; COMPUTE_PGM_RSRC2:TGID_X_EN: 1
; COMPUTE_PGM_RSRC2:TGID_Y_EN: 0
; COMPUTE_PGM_RSRC2:TGID_Z_EN: 1
; COMPUTE_PGM_RSRC2:TIDIG_COMP_CNT: 0
	.section	.text._ZL24rocblas_dot_kernel_magsqIlLb0ELi512ELi4ELb0EfPK16rocblas_bfloat16fEviT5_lT_liPT6_PT4_,"axG",@progbits,_ZL24rocblas_dot_kernel_magsqIlLb0ELi512ELi4ELb0EfPK16rocblas_bfloat16fEviT5_lT_liPT6_PT4_,comdat
	.globl	_ZL24rocblas_dot_kernel_magsqIlLb0ELi512ELi4ELb0EfPK16rocblas_bfloat16fEviT5_lT_liPT6_PT4_ ; -- Begin function _ZL24rocblas_dot_kernel_magsqIlLb0ELi512ELi4ELb0EfPK16rocblas_bfloat16fEviT5_lT_liPT6_PT4_
	.p2align	8
	.type	_ZL24rocblas_dot_kernel_magsqIlLb0ELi512ELi4ELb0EfPK16rocblas_bfloat16fEviT5_lT_liPT6_PT4_,@function
_ZL24rocblas_dot_kernel_magsqIlLb0ELi512ELi4ELb0EfPK16rocblas_bfloat16fEviT5_lT_liPT6_PT4_: ; @_ZL24rocblas_dot_kernel_magsqIlLb0ELi512ELi4ELb0EfPK16rocblas_bfloat16fEviT5_lT_liPT6_PT4_
; %bb.0:
	s_clause 0x2
	s_load_b32 s11, s[0:1], 0x0
	s_load_b128 s[4:7], s[0:1], 0x30
	s_load_b32 s10, s[0:1], 0x40
	v_lshl_or_b32 v1, s14, 9, v0
	v_mov_b32_e32 v3, 0
	s_mov_b32 s2, s15
	s_mov_b32 s3, 0
	s_mov_b32 s12, exec_lo
	s_waitcnt lgkmcnt(0)
	v_cmpx_gt_i32_e64 s11, v1
	s_cbranch_execz .LBB366_4
; %bb.1:
	s_clause 0x2
	s_load_b128 s[16:19], s[0:1], 0x10
	s_load_b64 s[8:9], s[0:1], 0x20
	s_load_b64 s[20:21], s[0:1], 0x8
	v_ashrrev_i32_e32 v2, 31, v1
	s_lshl_b32 s1, s10, 9
	s_delay_alu instid0(SALU_CYCLE_1)
	v_add_nc_u32_e32 v4, s1, v1
	s_waitcnt lgkmcnt(0)
	v_mul_lo_u32 v5, s19, v1
	v_mul_lo_u32 v6, s18, v2
	v_mad_u64_u32 v[2:3], null, s18, v1, 0
	s_mul_i32 s0, s9, s2
	s_mul_hi_u32 s9, s8, s2
	s_mul_i32 s8, s8, s2
	s_add_i32 s9, s9, s0
	s_lshl_b64 s[16:17], s[16:17], 1
	s_lshl_b64 s[8:9], s[8:9], 1
	s_delay_alu instid0(VALU_DEP_1)
	v_add3_u32 v3, v3, v6, v5
	s_add_u32 s0, s20, s16
	s_addc_u32 s13, s21, s17
	s_add_u32 s0, s0, s8
	s_addc_u32 s13, s13, s9
	v_lshlrev_b64 v[1:2], 1, v[2:3]
	v_mov_b32_e32 v3, 0
	s_ashr_i32 s8, s1, 31
	s_mul_hi_u32 s9, s18, s1
	s_mul_i32 s8, s18, s8
	s_mul_i32 s15, s19, s1
	v_add_co_u32 v1, vcc_lo, s0, v1
	s_add_i32 s9, s9, s8
	v_add_co_ci_u32_e32 v2, vcc_lo, s13, v2, vcc_lo
	s_mul_i32 s8, s18, s1
	s_add_i32 s9, s9, s15
	s_mov_b32 s13, s3
	s_lshl_b64 s[8:9], s[8:9], 1
	s_mov_b32 s15, s3
	.p2align	6
.LBB366_2:                              ; =>This Inner Loop Header: Depth=1
	global_load_u16 v5, v[1:2], off
	s_add_i32 s16, s15, 1
	v_cmp_le_i32_e32 vcc_lo, s11, v4
	v_add_co_u32 v1, s0, v1, s8
	s_cmp_gt_u32 s15, 2
	v_add_co_ci_u32_e64 v2, s0, s9, v2, s0
	s_cselect_b32 s0, -1, 0
	s_mov_b32 s15, s16
	s_or_b32 s0, s0, vcc_lo
	s_delay_alu instid0(SALU_CYCLE_1) | instskip(NEXT) | instid1(SALU_CYCLE_1)
	s_and_b32 s0, exec_lo, s0
	s_or_b32 s13, s0, s13
	s_waitcnt vmcnt(0)
	v_lshlrev_b32_e32 v5, 16, v5
	s_delay_alu instid0(VALU_DEP_1)
	v_dual_fmac_f32 v3, v5, v5 :: v_dual_add_nc_u32 v4, s1, v4
	s_and_not1_b32 exec_lo, exec_lo, s13
	s_cbranch_execnz .LBB366_2
; %bb.3:
	s_or_b32 exec_lo, exec_lo, s13
.LBB366_4:
	s_delay_alu instid0(SALU_CYCLE_1) | instskip(SKIP_2) | instid1(VALU_DEP_2)
	s_or_b32 exec_lo, exec_lo, s12
	v_and_b32_e32 v2, 31, v0
	v_cmp_gt_u32_e32 vcc_lo, 32, v0
	v_lshlrev_b32_e32 v1, 2, v2
	s_and_saveexec_b32 s0, vcc_lo
	s_cbranch_execz .LBB366_6
; %bb.5:
	v_mov_b32_e32 v4, 0
	ds_store_b32 v1, v4
.LBB366_6:
	s_or_b32 exec_lo, exec_lo, s0
	v_mbcnt_lo_u32_b32 v6, -1, 0
	s_mov_b32 s1, exec_lo
	s_waitcnt lgkmcnt(0)
	s_barrier
	buffer_gl0_inv
	v_cmp_gt_u32_e64 s0, 16, v6
	s_delay_alu instid0(VALU_DEP_1) | instskip(SKIP_1) | instid1(VALU_DEP_2)
	v_cndmask_b32_e64 v4, 0, 1, s0
	v_cmp_gt_u32_e64 s0, 24, v6
	v_lshlrev_b32_e32 v4, 4, v4
	s_delay_alu instid0(VALU_DEP_1) | instskip(SKIP_4) | instid1(VALU_DEP_2)
	v_add_lshl_u32 v4, v4, v6, 2
	ds_bpermute_b32 v5, v4, v3
	v_cndmask_b32_e64 v4, 0, 1, s0
	v_cmp_gt_u32_e64 s0, 28, v6
	s_waitcnt lgkmcnt(0)
	v_dual_add_f32 v5, v3, v5 :: v_dual_lshlrev_b32 v4, 3, v4
	s_delay_alu instid0(VALU_DEP_2) | instskip(SKIP_1) | instid1(VALU_DEP_3)
	v_cndmask_b32_e64 v3, 0, 1, s0
	v_cmp_gt_u32_e64 s0, 30, v6
	v_add_lshl_u32 v4, v4, v6, 2
	s_delay_alu instid0(VALU_DEP_3)
	v_lshlrev_b32_e32 v3, 2, v3
	ds_bpermute_b32 v7, v4, v5
	v_add_lshl_u32 v3, v3, v6, 2
	s_waitcnt lgkmcnt(0)
	v_add_f32_e32 v7, v5, v7
	v_cndmask_b32_e64 v5, 0, 1, s0
	v_cmp_ne_u32_e64 s0, 31, v6
	ds_bpermute_b32 v8, v3, v7
	v_lshlrev_b32_e32 v5, 1, v5
	s_delay_alu instid0(VALU_DEP_1) | instskip(SKIP_2) | instid1(VALU_DEP_1)
	v_add_lshl_u32 v5, v5, v6, 2
	v_add_co_ci_u32_e64 v6, s0, 0, v6, s0
	s_waitcnt lgkmcnt(0)
	v_dual_add_f32 v7, v7, v8 :: v_dual_lshlrev_b32 v6, 2, v6
	ds_bpermute_b32 v8, v5, v7
	s_waitcnt lgkmcnt(0)
	v_add_f32_e32 v7, v7, v8
	ds_bpermute_b32 v8, v6, v7
	v_cmpx_eq_u32_e32 0, v2
	s_cbranch_execz .LBB366_8
; %bb.7:
	v_lshrrev_b32_e32 v2, 3, v0
	s_waitcnt lgkmcnt(0)
	s_delay_alu instid0(VALU_DEP_1)
	v_dual_add_f32 v7, v7, v8 :: v_dual_and_b32 v2, 60, v2
	ds_store_b32 v2, v7
.LBB366_8:
	s_or_b32 exec_lo, exec_lo, s1
	v_mov_b32_e32 v2, 0
	s_mov_b32 s1, exec_lo
	s_waitcnt lgkmcnt(0)
	s_barrier
	buffer_gl0_inv
	v_cmpx_gt_u32_e32 16, v0
	s_cbranch_execz .LBB366_10
; %bb.9:
	ds_load_b32 v2, v1
.LBB366_10:
	s_or_b32 exec_lo, exec_lo, s1
	s_and_saveexec_b32 s0, vcc_lo
	s_cbranch_execz .LBB366_12
; %bb.11:
	s_waitcnt lgkmcnt(0)
	ds_bpermute_b32 v1, v4, v2
	s_waitcnt lgkmcnt(0)
	v_add_f32_e32 v1, v2, v1
	ds_bpermute_b32 v2, v3, v1
	s_waitcnt lgkmcnt(0)
	v_add_f32_e32 v1, v1, v2
	;; [unrolled: 3-line block ×4, first 2 shown]
.LBB366_12:
	s_or_b32 exec_lo, exec_lo, s0
	s_delay_alu instid0(SALU_CYCLE_1)
	s_mov_b32 s0, exec_lo
	v_cmpx_eq_u32_e32 0, v0
	s_cbranch_execz .LBB366_18
; %bb.13:
	s_cmp_lg_u32 s10, 1
	s_cbranch_scc0 .LBB366_15
; %bb.14:
	s_mul_hi_u32 s1, s10, s2
	s_mul_i32 s0, s10, s2
	s_mov_b32 s15, 0
	s_lshl_b64 s[0:1], s[0:1], 2
	s_delay_alu instid0(SALU_CYCLE_1) | instskip(SKIP_2) | instid1(SALU_CYCLE_1)
	s_add_u32 s4, s4, s0
	s_addc_u32 s5, s5, s1
	s_lshl_b64 s[0:1], s[14:15], 2
	s_add_u32 s0, s4, s0
	s_addc_u32 s1, s5, s1
	s_cbranch_execz .LBB366_16
	s_branch .LBB366_17
.LBB366_15:
                                        ; implicit-def: $sgpr0_sgpr1
.LBB366_16:
	s_lshl_b64 s[0:1], s[2:3], 2
	s_delay_alu instid0(SALU_CYCLE_1)
	s_add_u32 s0, s6, s0
	s_addc_u32 s1, s7, s1
.LBB366_17:
	v_mov_b32_e32 v0, 0
	s_waitcnt lgkmcnt(0)
	global_store_b32 v0, v2, s[0:1]
.LBB366_18:
	s_nop 0
	s_sendmsg sendmsg(MSG_DEALLOC_VGPRS)
	s_endpgm
	.section	.rodata,"a",@progbits
	.p2align	6, 0x0
	.amdhsa_kernel _ZL24rocblas_dot_kernel_magsqIlLb0ELi512ELi4ELb0EfPK16rocblas_bfloat16fEviT5_lT_liPT6_PT4_
		.amdhsa_group_segment_fixed_size 128
		.amdhsa_private_segment_fixed_size 0
		.amdhsa_kernarg_size 320
		.amdhsa_user_sgpr_count 14
		.amdhsa_user_sgpr_dispatch_ptr 0
		.amdhsa_user_sgpr_queue_ptr 0
		.amdhsa_user_sgpr_kernarg_segment_ptr 1
		.amdhsa_user_sgpr_dispatch_id 0
		.amdhsa_user_sgpr_private_segment_size 0
		.amdhsa_wavefront_size32 1
		.amdhsa_uses_dynamic_stack 0
		.amdhsa_enable_private_segment 0
		.amdhsa_system_sgpr_workgroup_id_x 1
		.amdhsa_system_sgpr_workgroup_id_y 0
		.amdhsa_system_sgpr_workgroup_id_z 1
		.amdhsa_system_sgpr_workgroup_info 0
		.amdhsa_system_vgpr_workitem_id 0
		.amdhsa_next_free_vgpr 9
		.amdhsa_next_free_sgpr 22
		.amdhsa_reserve_vcc 1
		.amdhsa_float_round_mode_32 0
		.amdhsa_float_round_mode_16_64 0
		.amdhsa_float_denorm_mode_32 3
		.amdhsa_float_denorm_mode_16_64 3
		.amdhsa_dx10_clamp 1
		.amdhsa_ieee_mode 1
		.amdhsa_fp16_overflow 0
		.amdhsa_workgroup_processor_mode 1
		.amdhsa_memory_ordered 1
		.amdhsa_forward_progress 0
		.amdhsa_shared_vgpr_count 0
		.amdhsa_exception_fp_ieee_invalid_op 0
		.amdhsa_exception_fp_denorm_src 0
		.amdhsa_exception_fp_ieee_div_zero 0
		.amdhsa_exception_fp_ieee_overflow 0
		.amdhsa_exception_fp_ieee_underflow 0
		.amdhsa_exception_fp_ieee_inexact 0
		.amdhsa_exception_int_div_zero 0
	.end_amdhsa_kernel
	.section	.text._ZL24rocblas_dot_kernel_magsqIlLb0ELi512ELi4ELb0EfPK16rocblas_bfloat16fEviT5_lT_liPT6_PT4_,"axG",@progbits,_ZL24rocblas_dot_kernel_magsqIlLb0ELi512ELi4ELb0EfPK16rocblas_bfloat16fEviT5_lT_liPT6_PT4_,comdat
.Lfunc_end366:
	.size	_ZL24rocblas_dot_kernel_magsqIlLb0ELi512ELi4ELb0EfPK16rocblas_bfloat16fEviT5_lT_liPT6_PT4_, .Lfunc_end366-_ZL24rocblas_dot_kernel_magsqIlLb0ELi512ELi4ELb0EfPK16rocblas_bfloat16fEviT5_lT_liPT6_PT4_
                                        ; -- End function
	.section	.AMDGPU.csdata,"",@progbits
; Kernel info:
; codeLenInByte = 924
; NumSgprs: 24
; NumVgprs: 9
; ScratchSize: 0
; MemoryBound: 0
; FloatMode: 240
; IeeeMode: 1
; LDSByteSize: 128 bytes/workgroup (compile time only)
; SGPRBlocks: 2
; VGPRBlocks: 1
; NumSGPRsForWavesPerEU: 24
; NumVGPRsForWavesPerEU: 9
; Occupancy: 16
; WaveLimiterHint : 0
; COMPUTE_PGM_RSRC2:SCRATCH_EN: 0
; COMPUTE_PGM_RSRC2:USER_SGPR: 14
; COMPUTE_PGM_RSRC2:TRAP_HANDLER: 0
; COMPUTE_PGM_RSRC2:TGID_X_EN: 1
; COMPUTE_PGM_RSRC2:TGID_Y_EN: 0
; COMPUTE_PGM_RSRC2:TGID_Z_EN: 1
; COMPUTE_PGM_RSRC2:TIDIG_COMP_CNT: 0
	.section	.text._ZL28rocblas_dot_batched_4_kernelIlLi32ELi4ELb0EffPKPK16rocblas_bfloat16EviT5_lT_lS5_lS6_liPT4_,"axG",@progbits,_ZL28rocblas_dot_batched_4_kernelIlLi32ELi4ELb0EffPKPK16rocblas_bfloat16EviT5_lT_lS5_lS6_liPT4_,comdat
	.globl	_ZL28rocblas_dot_batched_4_kernelIlLi32ELi4ELb0EffPKPK16rocblas_bfloat16EviT5_lT_lS5_lS6_liPT4_ ; -- Begin function _ZL28rocblas_dot_batched_4_kernelIlLi32ELi4ELb0EffPKPK16rocblas_bfloat16EviT5_lT_lS5_lS6_liPT4_
	.p2align	8
	.type	_ZL28rocblas_dot_batched_4_kernelIlLi32ELi4ELb0EffPKPK16rocblas_bfloat16EviT5_lT_lS5_lS6_liPT4_,@function
_ZL28rocblas_dot_batched_4_kernelIlLi32ELi4ELb0EffPKPK16rocblas_bfloat16EviT5_lT_lS5_lS6_liPT4_: ; @_ZL28rocblas_dot_batched_4_kernelIlLi32ELi4ELb0EffPKPK16rocblas_bfloat16EviT5_lT_lS5_lS6_liPT4_
; %bb.0:
	s_load_b32 s2, s[0:1], 0x48
	v_bfe_u32 v1, v0, 10, 10
	s_delay_alu instid0(VALU_DEP_1) | instskip(SKIP_1) | instid1(VALU_DEP_1)
	v_lshl_add_u32 v1, s15, 2, v1
	s_waitcnt lgkmcnt(0)
	v_cmp_gt_u32_e32 vcc_lo, s2, v1
	s_and_saveexec_b32 s2, vcc_lo
	s_cbranch_execz .LBB367_7
; %bb.1:
	s_clause 0x1
	s_load_b32 s10, s[0:1], 0x0
	s_load_b64 s[8:9], s[0:1], 0x50
	v_mov_b32_e32 v2, 0
	v_and_b32_e32 v0, 0x3ff, v0
	s_mov_b32 s11, exec_lo
	s_delay_alu instid0(VALU_DEP_2) | instskip(SKIP_1) | instid1(VALU_DEP_2)
	v_mov_b32_e32 v7, v2
	s_waitcnt lgkmcnt(0)
	v_cmpx_gt_i32_e64 s10, v0
	s_cbranch_execz .LBB367_5
; %bb.2:
	s_clause 0x1
	s_load_b64 s[12:13], s[0:1], 0x8
	s_load_b64 s[14:15], s[0:1], 0x28
	v_lshlrev_b64 v[3:4], 3, v[1:2]
	s_clause 0x1
	s_load_b128 s[4:7], s[0:1], 0x10
	s_load_b128 s[0:3], s[0:1], 0x30
	s_waitcnt lgkmcnt(0)
	s_delay_alu instid0(VALU_DEP_1)
	v_add_co_u32 v5, vcc_lo, s12, v3
	v_add_co_ci_u32_e32 v6, vcc_lo, s13, v4, vcc_lo
	v_add_co_u32 v3, vcc_lo, s14, v3
	v_add_co_ci_u32_e32 v4, vcc_lo, s15, v4, vcc_lo
	v_mad_u64_u32 v[10:11], null, s2, v0, 0
	global_load_b64 v[5:6], v[5:6], off
	global_load_b64 v[8:9], v[3:4], off
	v_mad_u64_u32 v[3:4], null, s6, v0, 0
	s_lshl_b64 s[4:5], s[4:5], 1
	s_lshl_b64 s[0:1], s[0:1], 1
	v_mov_b32_e32 v7, v11
	s_waitcnt vmcnt(1)
	s_delay_alu instid0(VALU_DEP_2) | instskip(SKIP_1) | instid1(VALU_DEP_2)
	v_mad_u64_u32 v[11:12], null, s7, v0, v[4:5]
	s_waitcnt vmcnt(0)
	v_mad_u64_u32 v[12:13], null, s3, v0, v[7:8]
	v_mov_b32_e32 v7, 0
	s_lshl_b64 s[2:3], s[2:3], 6
	s_delay_alu instid0(VALU_DEP_2) | instskip(NEXT) | instid1(VALU_DEP_1)
	v_dual_mov_b32 v4, v11 :: v_dual_mov_b32 v11, v12
	v_lshlrev_b64 v[3:4], 1, v[3:4]
	s_delay_alu instid0(VALU_DEP_2) | instskip(NEXT) | instid1(VALU_DEP_2)
	v_lshlrev_b64 v[10:11], 1, v[10:11]
	v_add_co_u32 v3, vcc_lo, v3, s4
	s_delay_alu instid0(VALU_DEP_3) | instskip(NEXT) | instid1(VALU_DEP_3)
	v_add_co_ci_u32_e32 v4, vcc_lo, s5, v4, vcc_lo
	v_add_co_u32 v10, vcc_lo, v10, s0
	s_delay_alu instid0(VALU_DEP_4) | instskip(NEXT) | instid1(VALU_DEP_4)
	v_add_co_ci_u32_e32 v11, vcc_lo, s1, v11, vcc_lo
	v_add_co_u32 v3, vcc_lo, v5, v3
	s_delay_alu instid0(VALU_DEP_4) | instskip(NEXT) | instid1(VALU_DEP_4)
	v_add_co_ci_u32_e32 v4, vcc_lo, v6, v4, vcc_lo
	v_add_co_u32 v5, vcc_lo, v8, v10
	s_delay_alu instid0(VALU_DEP_4)
	v_add_co_ci_u32_e32 v6, vcc_lo, v9, v11, vcc_lo
	v_mov_b32_e32 v8, v0
	s_lshl_b64 s[4:5], s[6:7], 6
	s_mov_b32 s1, 0
	.p2align	6
.LBB367_3:                              ; =>This Inner Loop Header: Depth=1
	global_load_u16 v9, v[5:6], off
	global_load_u16 v10, v[3:4], off
	v_add_co_u32 v3, vcc_lo, v3, s4
	v_add_co_ci_u32_e32 v4, vcc_lo, s5, v4, vcc_lo
	v_add_co_u32 v5, vcc_lo, v5, s2
	v_add_co_ci_u32_e32 v6, vcc_lo, s3, v6, vcc_lo
	s_waitcnt vmcnt(1)
	v_lshlrev_b32_e32 v9, 16, v9
	s_waitcnt vmcnt(0)
	v_lshlrev_b32_e32 v10, 16, v10
	s_delay_alu instid0(VALU_DEP_1) | instskip(NEXT) | instid1(VALU_DEP_1)
	v_dual_fmac_f32 v7, v10, v9 :: v_dual_add_nc_u32 v8, 32, v8
	v_cmp_le_i32_e64 s0, s10, v8
	s_delay_alu instid0(VALU_DEP_1) | instskip(NEXT) | instid1(SALU_CYCLE_1)
	s_or_b32 s1, s0, s1
	s_and_not1_b32 exec_lo, exec_lo, s1
	s_cbranch_execnz .LBB367_3
; %bb.4:
	s_or_b32 exec_lo, exec_lo, s1
.LBB367_5:
	s_delay_alu instid0(SALU_CYCLE_1)
	s_or_b32 exec_lo, exec_lo, s11
	v_mbcnt_lo_u32_b32 v3, -1, 0
	s_barrier
	buffer_gl0_inv
	v_cmp_gt_u32_e32 vcc_lo, 16, v3
	v_cndmask_b32_e64 v4, 0, 1, vcc_lo
	v_cmp_gt_u32_e32 vcc_lo, 24, v3
	s_delay_alu instid0(VALU_DEP_2) | instskip(SKIP_2) | instid1(VALU_DEP_3)
	v_lshlrev_b32_e32 v4, 4, v4
	v_cndmask_b32_e64 v5, 0, 1, vcc_lo
	v_cmp_gt_u32_e32 vcc_lo, 28, v3
	v_add_lshl_u32 v4, v4, v3, 2
	v_cndmask_b32_e64 v6, 0, 1, vcc_lo
	v_cmp_gt_u32_e32 vcc_lo, 30, v3
	ds_bpermute_b32 v4, v4, v7
	v_lshlrev_b32_e32 v5, 3, v5
	v_lshlrev_b32_e32 v6, 2, v6
	s_delay_alu instid0(VALU_DEP_1)
	v_add_lshl_u32 v6, v6, v3, 2
	s_waitcnt lgkmcnt(0)
	v_add_f32_e32 v4, v7, v4
	v_add_lshl_u32 v5, v5, v3, 2
	ds_bpermute_b32 v5, v5, v4
	s_waitcnt lgkmcnt(0)
	v_add_f32_e32 v4, v4, v5
	ds_bpermute_b32 v5, v6, v4
	v_cndmask_b32_e64 v6, 0, 1, vcc_lo
	v_cmp_ne_u32_e32 vcc_lo, 31, v3
	s_delay_alu instid0(VALU_DEP_2) | instskip(NEXT) | instid1(VALU_DEP_1)
	v_lshlrev_b32_e32 v6, 1, v6
	v_add_lshl_u32 v6, v6, v3, 2
	s_waitcnt lgkmcnt(0)
	v_add_f32_e32 v4, v4, v5
	ds_bpermute_b32 v5, v6, v4
	v_add_co_ci_u32_e32 v6, vcc_lo, 0, v3, vcc_lo
	v_cmp_eq_u32_e32 vcc_lo, 0, v0
	s_waitcnt lgkmcnt(0)
	s_delay_alu instid0(VALU_DEP_2)
	v_dual_add_f32 v3, v4, v5 :: v_dual_lshlrev_b32 v4, 2, v6
	ds_bpermute_b32 v4, v4, v3
	s_and_b32 exec_lo, exec_lo, vcc_lo
	s_cbranch_execz .LBB367_7
; %bb.6:
	v_lshlrev_b64 v[0:1], 2, v[1:2]
	s_waitcnt lgkmcnt(0)
	v_add_f32_e32 v2, v3, v4
	s_delay_alu instid0(VALU_DEP_2) | instskip(NEXT) | instid1(VALU_DEP_3)
	v_add_co_u32 v0, vcc_lo, s8, v0
	v_add_co_ci_u32_e32 v1, vcc_lo, s9, v1, vcc_lo
	global_store_b32 v[0:1], v2, off
.LBB367_7:
	s_nop 0
	s_sendmsg sendmsg(MSG_DEALLOC_VGPRS)
	s_endpgm
	.section	.rodata,"a",@progbits
	.p2align	6, 0x0
	.amdhsa_kernel _ZL28rocblas_dot_batched_4_kernelIlLi32ELi4ELb0EffPKPK16rocblas_bfloat16EviT5_lT_lS5_lS6_liPT4_
		.amdhsa_group_segment_fixed_size 0
		.amdhsa_private_segment_fixed_size 0
		.amdhsa_kernarg_size 88
		.amdhsa_user_sgpr_count 15
		.amdhsa_user_sgpr_dispatch_ptr 0
		.amdhsa_user_sgpr_queue_ptr 0
		.amdhsa_user_sgpr_kernarg_segment_ptr 1
		.amdhsa_user_sgpr_dispatch_id 0
		.amdhsa_user_sgpr_private_segment_size 0
		.amdhsa_wavefront_size32 1
		.amdhsa_uses_dynamic_stack 0
		.amdhsa_enable_private_segment 0
		.amdhsa_system_sgpr_workgroup_id_x 1
		.amdhsa_system_sgpr_workgroup_id_y 0
		.amdhsa_system_sgpr_workgroup_id_z 0
		.amdhsa_system_sgpr_workgroup_info 0
		.amdhsa_system_vgpr_workitem_id 1
		.amdhsa_next_free_vgpr 14
		.amdhsa_next_free_sgpr 16
		.amdhsa_reserve_vcc 1
		.amdhsa_float_round_mode_32 0
		.amdhsa_float_round_mode_16_64 0
		.amdhsa_float_denorm_mode_32 3
		.amdhsa_float_denorm_mode_16_64 3
		.amdhsa_dx10_clamp 1
		.amdhsa_ieee_mode 1
		.amdhsa_fp16_overflow 0
		.amdhsa_workgroup_processor_mode 1
		.amdhsa_memory_ordered 1
		.amdhsa_forward_progress 0
		.amdhsa_shared_vgpr_count 0
		.amdhsa_exception_fp_ieee_invalid_op 0
		.amdhsa_exception_fp_denorm_src 0
		.amdhsa_exception_fp_ieee_div_zero 0
		.amdhsa_exception_fp_ieee_overflow 0
		.amdhsa_exception_fp_ieee_underflow 0
		.amdhsa_exception_fp_ieee_inexact 0
		.amdhsa_exception_int_div_zero 0
	.end_amdhsa_kernel
	.section	.text._ZL28rocblas_dot_batched_4_kernelIlLi32ELi4ELb0EffPKPK16rocblas_bfloat16EviT5_lT_lS5_lS6_liPT4_,"axG",@progbits,_ZL28rocblas_dot_batched_4_kernelIlLi32ELi4ELb0EffPKPK16rocblas_bfloat16EviT5_lT_lS5_lS6_liPT4_,comdat
.Lfunc_end367:
	.size	_ZL28rocblas_dot_batched_4_kernelIlLi32ELi4ELb0EffPKPK16rocblas_bfloat16EviT5_lT_lS5_lS6_liPT4_, .Lfunc_end367-_ZL28rocblas_dot_batched_4_kernelIlLi32ELi4ELb0EffPKPK16rocblas_bfloat16EviT5_lT_lS5_lS6_liPT4_
                                        ; -- End function
	.section	.AMDGPU.csdata,"",@progbits
; Kernel info:
; codeLenInByte = 756
; NumSgprs: 18
; NumVgprs: 14
; ScratchSize: 0
; MemoryBound: 0
; FloatMode: 240
; IeeeMode: 1
; LDSByteSize: 0 bytes/workgroup (compile time only)
; SGPRBlocks: 2
; VGPRBlocks: 1
; NumSGPRsForWavesPerEU: 18
; NumVGPRsForWavesPerEU: 14
; Occupancy: 16
; WaveLimiterHint : 0
; COMPUTE_PGM_RSRC2:SCRATCH_EN: 0
; COMPUTE_PGM_RSRC2:USER_SGPR: 15
; COMPUTE_PGM_RSRC2:TRAP_HANDLER: 0
; COMPUTE_PGM_RSRC2:TGID_X_EN: 1
; COMPUTE_PGM_RSRC2:TGID_Y_EN: 0
; COMPUTE_PGM_RSRC2:TGID_Z_EN: 0
; COMPUTE_PGM_RSRC2:TIDIG_COMP_CNT: 1
	.section	.text._ZL28rocblas_dot_batched_4_kernelIlLi64ELi4ELb0EffPKPK16rocblas_bfloat16EviT5_lT_lS5_lS6_liPT4_,"axG",@progbits,_ZL28rocblas_dot_batched_4_kernelIlLi64ELi4ELb0EffPKPK16rocblas_bfloat16EviT5_lT_lS5_lS6_liPT4_,comdat
	.globl	_ZL28rocblas_dot_batched_4_kernelIlLi64ELi4ELb0EffPKPK16rocblas_bfloat16EviT5_lT_lS5_lS6_liPT4_ ; -- Begin function _ZL28rocblas_dot_batched_4_kernelIlLi64ELi4ELb0EffPKPK16rocblas_bfloat16EviT5_lT_lS5_lS6_liPT4_
	.p2align	8
	.type	_ZL28rocblas_dot_batched_4_kernelIlLi64ELi4ELb0EffPKPK16rocblas_bfloat16EviT5_lT_lS5_lS6_liPT4_,@function
_ZL28rocblas_dot_batched_4_kernelIlLi64ELi4ELb0EffPKPK16rocblas_bfloat16EviT5_lT_lS5_lS6_liPT4_: ; @_ZL28rocblas_dot_batched_4_kernelIlLi64ELi4ELb0EffPKPK16rocblas_bfloat16EviT5_lT_lS5_lS6_liPT4_
; %bb.0:
	s_load_b32 s2, s[0:1], 0x48
	v_bfe_u32 v1, v0, 10, 10
	s_delay_alu instid0(VALU_DEP_1) | instskip(SKIP_1) | instid1(VALU_DEP_1)
	v_lshl_add_u32 v1, s15, 2, v1
	s_waitcnt lgkmcnt(0)
	v_cmp_gt_u32_e32 vcc_lo, s2, v1
	s_and_saveexec_b32 s2, vcc_lo
	s_cbranch_execz .LBB368_7
; %bb.1:
	s_clause 0x1
	s_load_b32 s10, s[0:1], 0x0
	s_load_b64 s[8:9], s[0:1], 0x50
	v_mov_b32_e32 v2, 0
	v_and_b32_e32 v0, 0x3ff, v0
	s_mov_b32 s11, exec_lo
	s_delay_alu instid0(VALU_DEP_2) | instskip(SKIP_1) | instid1(VALU_DEP_2)
	v_mov_b32_e32 v7, v2
	s_waitcnt lgkmcnt(0)
	v_cmpx_gt_i32_e64 s10, v0
	s_cbranch_execz .LBB368_5
; %bb.2:
	s_clause 0x1
	s_load_b64 s[12:13], s[0:1], 0x8
	s_load_b64 s[14:15], s[0:1], 0x28
	v_lshlrev_b64 v[3:4], 3, v[1:2]
	s_clause 0x1
	s_load_b128 s[4:7], s[0:1], 0x10
	s_load_b128 s[0:3], s[0:1], 0x30
	s_waitcnt lgkmcnt(0)
	s_delay_alu instid0(VALU_DEP_1)
	v_add_co_u32 v5, vcc_lo, s12, v3
	v_add_co_ci_u32_e32 v6, vcc_lo, s13, v4, vcc_lo
	v_add_co_u32 v3, vcc_lo, s14, v3
	v_add_co_ci_u32_e32 v4, vcc_lo, s15, v4, vcc_lo
	v_mad_u64_u32 v[10:11], null, s2, v0, 0
	global_load_b64 v[5:6], v[5:6], off
	global_load_b64 v[8:9], v[3:4], off
	v_mad_u64_u32 v[3:4], null, s6, v0, 0
	s_lshl_b64 s[4:5], s[4:5], 1
	s_lshl_b64 s[0:1], s[0:1], 1
	v_mov_b32_e32 v7, v11
	s_waitcnt vmcnt(1)
	s_delay_alu instid0(VALU_DEP_2) | instskip(SKIP_1) | instid1(VALU_DEP_2)
	v_mad_u64_u32 v[11:12], null, s7, v0, v[4:5]
	s_waitcnt vmcnt(0)
	v_mad_u64_u32 v[12:13], null, s3, v0, v[7:8]
	v_mov_b32_e32 v7, 0
	s_lshl_b64 s[2:3], s[2:3], 7
	s_delay_alu instid0(VALU_DEP_2) | instskip(NEXT) | instid1(VALU_DEP_1)
	v_dual_mov_b32 v4, v11 :: v_dual_mov_b32 v11, v12
	v_lshlrev_b64 v[3:4], 1, v[3:4]
	s_delay_alu instid0(VALU_DEP_2) | instskip(NEXT) | instid1(VALU_DEP_2)
	v_lshlrev_b64 v[10:11], 1, v[10:11]
	v_add_co_u32 v3, vcc_lo, v3, s4
	s_delay_alu instid0(VALU_DEP_3) | instskip(NEXT) | instid1(VALU_DEP_3)
	v_add_co_ci_u32_e32 v4, vcc_lo, s5, v4, vcc_lo
	v_add_co_u32 v10, vcc_lo, v10, s0
	s_delay_alu instid0(VALU_DEP_4) | instskip(NEXT) | instid1(VALU_DEP_4)
	v_add_co_ci_u32_e32 v11, vcc_lo, s1, v11, vcc_lo
	v_add_co_u32 v3, vcc_lo, v5, v3
	s_delay_alu instid0(VALU_DEP_4) | instskip(NEXT) | instid1(VALU_DEP_4)
	v_add_co_ci_u32_e32 v4, vcc_lo, v6, v4, vcc_lo
	v_add_co_u32 v5, vcc_lo, v8, v10
	s_delay_alu instid0(VALU_DEP_4)
	v_add_co_ci_u32_e32 v6, vcc_lo, v9, v11, vcc_lo
	v_mov_b32_e32 v8, v0
	s_lshl_b64 s[4:5], s[6:7], 7
	s_mov_b32 s1, 0
	.p2align	6
.LBB368_3:                              ; =>This Inner Loop Header: Depth=1
	global_load_u16 v9, v[5:6], off
	global_load_u16 v10, v[3:4], off
	v_add_co_u32 v3, vcc_lo, v3, s4
	v_add_co_ci_u32_e32 v4, vcc_lo, s5, v4, vcc_lo
	v_add_co_u32 v5, vcc_lo, v5, s2
	v_add_co_ci_u32_e32 v6, vcc_lo, s3, v6, vcc_lo
	s_waitcnt vmcnt(1)
	v_lshlrev_b32_e32 v9, 16, v9
	s_waitcnt vmcnt(0)
	v_lshlrev_b32_e32 v10, 16, v10
	s_delay_alu instid0(VALU_DEP_1) | instskip(NEXT) | instid1(VALU_DEP_1)
	v_dual_fmac_f32 v7, v10, v9 :: v_dual_add_nc_u32 v8, 64, v8
	v_cmp_le_i32_e64 s0, s10, v8
	s_delay_alu instid0(VALU_DEP_1) | instskip(NEXT) | instid1(SALU_CYCLE_1)
	s_or_b32 s1, s0, s1
	s_and_not1_b32 exec_lo, exec_lo, s1
	s_cbranch_execnz .LBB368_3
; %bb.4:
	s_or_b32 exec_lo, exec_lo, s1
.LBB368_5:
	s_delay_alu instid0(SALU_CYCLE_1)
	s_or_b32 exec_lo, exec_lo, s11
	v_mbcnt_lo_u32_b32 v3, -1, 0
	s_barrier
	buffer_gl0_inv
	v_lshlrev_b32_e32 v4, 2, v3
	v_cmp_gt_u32_e32 vcc_lo, 16, v3
	ds_bpermute_b32 v4, v4, v7
	v_cndmask_b32_e64 v5, 0, 1, vcc_lo
	v_cmp_gt_u32_e32 vcc_lo, 24, v3
	s_delay_alu instid0(VALU_DEP_2) | instskip(SKIP_2) | instid1(VALU_DEP_2)
	v_lshlrev_b32_e32 v5, 4, v5
	v_cndmask_b32_e64 v6, 0, 1, vcc_lo
	v_cmp_gt_u32_e32 vcc_lo, 28, v3
	v_lshlrev_b32_e32 v6, 3, v6
	s_delay_alu instid0(VALU_DEP_1)
	v_add_lshl_u32 v6, v6, v3, 2
	s_waitcnt lgkmcnt(0)
	v_add_f32_e32 v4, v7, v4
	v_add_lshl_u32 v5, v5, v3, 2
	ds_bpermute_b32 v5, v5, v4
	s_waitcnt lgkmcnt(0)
	v_add_f32_e32 v4, v4, v5
	ds_bpermute_b32 v5, v6, v4
	v_cndmask_b32_e64 v6, 0, 1, vcc_lo
	v_cmp_gt_u32_e32 vcc_lo, 30, v3
	s_delay_alu instid0(VALU_DEP_2) | instskip(NEXT) | instid1(VALU_DEP_1)
	v_lshlrev_b32_e32 v6, 2, v6
	v_add_lshl_u32 v6, v6, v3, 2
	s_waitcnt lgkmcnt(0)
	v_add_f32_e32 v4, v4, v5
	ds_bpermute_b32 v5, v6, v4
	v_cndmask_b32_e64 v6, 0, 1, vcc_lo
	v_cmp_ne_u32_e32 vcc_lo, 31, v3
	s_delay_alu instid0(VALU_DEP_2) | instskip(NEXT) | instid1(VALU_DEP_1)
	v_lshlrev_b32_e32 v6, 1, v6
	v_add_lshl_u32 v6, v6, v3, 2
	s_waitcnt lgkmcnt(0)
	v_add_f32_e32 v4, v4, v5
	ds_bpermute_b32 v5, v6, v4
	v_add_co_ci_u32_e32 v6, vcc_lo, 0, v3, vcc_lo
	v_cmp_eq_u32_e32 vcc_lo, 0, v0
	s_waitcnt lgkmcnt(0)
	s_delay_alu instid0(VALU_DEP_2)
	v_dual_add_f32 v3, v4, v5 :: v_dual_lshlrev_b32 v4, 2, v6
	ds_bpermute_b32 v4, v4, v3
	s_and_b32 exec_lo, exec_lo, vcc_lo
	s_cbranch_execz .LBB368_7
; %bb.6:
	v_lshlrev_b64 v[0:1], 2, v[1:2]
	s_waitcnt lgkmcnt(0)
	v_add_f32_e32 v2, v3, v4
	s_delay_alu instid0(VALU_DEP_2) | instskip(NEXT) | instid1(VALU_DEP_3)
	v_add_co_u32 v0, vcc_lo, s8, v0
	v_add_co_ci_u32_e32 v1, vcc_lo, s9, v1, vcc_lo
	global_store_b32 v[0:1], v2, off
.LBB368_7:
	s_nop 0
	s_sendmsg sendmsg(MSG_DEALLOC_VGPRS)
	s_endpgm
	.section	.rodata,"a",@progbits
	.p2align	6, 0x0
	.amdhsa_kernel _ZL28rocblas_dot_batched_4_kernelIlLi64ELi4ELb0EffPKPK16rocblas_bfloat16EviT5_lT_lS5_lS6_liPT4_
		.amdhsa_group_segment_fixed_size 0
		.amdhsa_private_segment_fixed_size 0
		.amdhsa_kernarg_size 88
		.amdhsa_user_sgpr_count 15
		.amdhsa_user_sgpr_dispatch_ptr 0
		.amdhsa_user_sgpr_queue_ptr 0
		.amdhsa_user_sgpr_kernarg_segment_ptr 1
		.amdhsa_user_sgpr_dispatch_id 0
		.amdhsa_user_sgpr_private_segment_size 0
		.amdhsa_wavefront_size32 1
		.amdhsa_uses_dynamic_stack 0
		.amdhsa_enable_private_segment 0
		.amdhsa_system_sgpr_workgroup_id_x 1
		.amdhsa_system_sgpr_workgroup_id_y 0
		.amdhsa_system_sgpr_workgroup_id_z 0
		.amdhsa_system_sgpr_workgroup_info 0
		.amdhsa_system_vgpr_workitem_id 1
		.amdhsa_next_free_vgpr 14
		.amdhsa_next_free_sgpr 16
		.amdhsa_reserve_vcc 1
		.amdhsa_float_round_mode_32 0
		.amdhsa_float_round_mode_16_64 0
		.amdhsa_float_denorm_mode_32 3
		.amdhsa_float_denorm_mode_16_64 3
		.amdhsa_dx10_clamp 1
		.amdhsa_ieee_mode 1
		.amdhsa_fp16_overflow 0
		.amdhsa_workgroup_processor_mode 1
		.amdhsa_memory_ordered 1
		.amdhsa_forward_progress 0
		.amdhsa_shared_vgpr_count 0
		.amdhsa_exception_fp_ieee_invalid_op 0
		.amdhsa_exception_fp_denorm_src 0
		.amdhsa_exception_fp_ieee_div_zero 0
		.amdhsa_exception_fp_ieee_overflow 0
		.amdhsa_exception_fp_ieee_underflow 0
		.amdhsa_exception_fp_ieee_inexact 0
		.amdhsa_exception_int_div_zero 0
	.end_amdhsa_kernel
	.section	.text._ZL28rocblas_dot_batched_4_kernelIlLi64ELi4ELb0EffPKPK16rocblas_bfloat16EviT5_lT_lS5_lS6_liPT4_,"axG",@progbits,_ZL28rocblas_dot_batched_4_kernelIlLi64ELi4ELb0EffPKPK16rocblas_bfloat16EviT5_lT_lS5_lS6_liPT4_,comdat
.Lfunc_end368:
	.size	_ZL28rocblas_dot_batched_4_kernelIlLi64ELi4ELb0EffPKPK16rocblas_bfloat16EviT5_lT_lS5_lS6_liPT4_, .Lfunc_end368-_ZL28rocblas_dot_batched_4_kernelIlLi64ELi4ELb0EffPKPK16rocblas_bfloat16EviT5_lT_lS5_lS6_liPT4_
                                        ; -- End function
	.section	.AMDGPU.csdata,"",@progbits
; Kernel info:
; codeLenInByte = 780
; NumSgprs: 18
; NumVgprs: 14
; ScratchSize: 0
; MemoryBound: 0
; FloatMode: 240
; IeeeMode: 1
; LDSByteSize: 0 bytes/workgroup (compile time only)
; SGPRBlocks: 2
; VGPRBlocks: 1
; NumSGPRsForWavesPerEU: 18
; NumVGPRsForWavesPerEU: 14
; Occupancy: 16
; WaveLimiterHint : 0
; COMPUTE_PGM_RSRC2:SCRATCH_EN: 0
; COMPUTE_PGM_RSRC2:USER_SGPR: 15
; COMPUTE_PGM_RSRC2:TRAP_HANDLER: 0
; COMPUTE_PGM_RSRC2:TGID_X_EN: 1
; COMPUTE_PGM_RSRC2:TGID_Y_EN: 0
; COMPUTE_PGM_RSRC2:TGID_Z_EN: 0
; COMPUTE_PGM_RSRC2:TIDIG_COMP_CNT: 1
	.section	.text._ZL26rocblas_dot_kernel_inc1by2ILb1ELi1024ELi32ELb0EfPKPK16rocblas_bfloat16fEviT4_llS5_lliPT5_PT3_,"axG",@progbits,_ZL26rocblas_dot_kernel_inc1by2ILb1ELi1024ELi32ELb0EfPKPK16rocblas_bfloat16fEviT4_llS5_lliPT5_PT3_,comdat
	.globl	_ZL26rocblas_dot_kernel_inc1by2ILb1ELi1024ELi32ELb0EfPKPK16rocblas_bfloat16fEviT4_llS5_lliPT5_PT3_ ; -- Begin function _ZL26rocblas_dot_kernel_inc1by2ILb1ELi1024ELi32ELb0EfPKPK16rocblas_bfloat16fEviT4_llS5_lliPT5_PT3_
	.p2align	8
	.type	_ZL26rocblas_dot_kernel_inc1by2ILb1ELi1024ELi32ELb0EfPKPK16rocblas_bfloat16fEviT4_llS5_lliPT5_PT3_,@function
_ZL26rocblas_dot_kernel_inc1by2ILb1ELi1024ELi32ELb0EfPKPK16rocblas_bfloat16fEviT4_llS5_lliPT5_PT3_: ; @_ZL26rocblas_dot_kernel_inc1by2ILb1ELi1024ELi32ELb0EfPKPK16rocblas_bfloat16fEviT4_llS5_lliPT5_PT3_
; %bb.0:
	s_clause 0x1
	s_load_b128 s[8:11], s[0:1], 0x8
	s_load_b128 s[4:7], s[0:1], 0x20
	s_mov_b32 s2, s15
	s_mov_b32 s3, 0
	s_clause 0x1
	s_load_b32 s14, s[0:1], 0x0
	s_load_b64 s[12:13], s[0:1], 0x48
	s_lshl_b64 s[16:17], s[2:3], 3
	v_dual_mov_b32 v5, 0 :: v_dual_lshlrev_b32 v6, 1, v0
	s_waitcnt lgkmcnt(0)
	s_add_u32 s0, s8, s16
	s_addc_u32 s1, s9, s17
	s_add_u32 s4, s4, s16
	s_addc_u32 s5, s5, s17
	s_load_b64 s[8:9], s[0:1], 0x0
	s_load_b64 s[4:5], s[4:5], 0x0
	s_add_i32 s0, s14, -1
	s_mov_b32 s1, exec_lo
	v_cmpx_gt_i32_e64 s0, v6
	s_cbranch_execz .LBB369_4
; %bb.1:
	v_lshlrev_b32_e32 v3, 2, v0
	s_lshl_b64 s[16:17], s[6:7], 1
	v_mov_b32_e32 v5, 0
	s_waitcnt lgkmcnt(0)
	s_add_u32 s15, s4, s16
	s_addc_u32 s18, s5, s17
	s_lshl_b64 s[16:17], s[10:11], 1
	v_add_co_u32 v1, s15, s15, v3
	s_delay_alu instid0(VALU_DEP_1) | instskip(SKIP_3) | instid1(VALU_DEP_1)
	v_add_co_ci_u32_e64 v2, null, s18, 0, s15
	s_add_u32 s15, s8, s16
	s_addc_u32 s16, s9, s17
	v_add_co_u32 v3, s15, s15, v3
	v_add_co_ci_u32_e64 v4, null, s16, 0, s15
	s_mov_b32 s15, s3
	s_mov_b32 s16, s3
	.p2align	6
.LBB369_2:                              ; =>This Inner Loop Header: Depth=1
	global_load_b32 v7, v[1:2], off
	global_load_b32 v8, v[3:4], off
	v_add_co_u32 v1, vcc_lo, 0x1000, v1
	v_add_co_ci_u32_e32 v2, vcc_lo, 0, v2, vcc_lo
	v_add_co_u32 v3, vcc_lo, 0x1000, v3
	v_add_co_ci_u32_e32 v4, vcc_lo, 0, v4, vcc_lo
	s_add_i32 s17, s16, 1
	s_cmp_gt_u32 s16, 30
	s_cselect_b32 s16, -1, 0
	s_waitcnt vmcnt(1)
	v_lshlrev_b32_e32 v9, 16, v7
	s_waitcnt vmcnt(0)
	v_lshlrev_b32_e32 v10, 16, v8
	v_and_b32_e32 v7, 0xffff0000, v7
	s_delay_alu instid0(VALU_DEP_2) | instskip(NEXT) | instid1(VALU_DEP_1)
	v_dual_fmac_f32 v5, v9, v10 :: v_dual_and_b32 v8, 0xffff0000, v8
	v_dual_fmac_f32 v5, v7, v8 :: v_dual_add_nc_u32 v6, 0x800, v6
	s_delay_alu instid0(VALU_DEP_1) | instskip(SKIP_1) | instid1(SALU_CYCLE_1)
	v_cmp_le_i32_e32 vcc_lo, s0, v6
	s_or_b32 s16, s16, vcc_lo
	s_and_b32 s16, exec_lo, s16
	s_delay_alu instid0(SALU_CYCLE_1)
	s_or_b32 s15, s16, s15
	s_mov_b32 s16, s17
	s_and_not1_b32 exec_lo, exec_lo, s15
	s_cbranch_execnz .LBB369_2
; %bb.3:
	s_or_b32 exec_lo, exec_lo, s15
.LBB369_4:
	s_delay_alu instid0(SALU_CYCLE_1) | instskip(SKIP_3) | instid1(SALU_CYCLE_1)
	s_or_b32 exec_lo, exec_lo, s1
	v_cmp_eq_u32_e32 vcc_lo, s0, v6
	s_bitcmp1_b32 s14, 0
	s_cselect_b32 s1, -1, 0
	s_and_b32 s1, s1, vcc_lo
	s_delay_alu instid0(SALU_CYCLE_1)
	s_and_saveexec_b32 s14, s1
	s_cbranch_execz .LBB369_6
; %bb.5:
	s_lshl_b64 s[10:11], s[10:11], 1
	s_mov_b32 s1, 0
	s_waitcnt lgkmcnt(0)
	s_add_u32 s8, s8, s10
	s_addc_u32 s9, s9, s11
	s_lshl_b64 s[6:7], s[6:7], 1
	v_mov_b32_e32 v1, 0
	s_add_u32 s4, s4, s6
	s_addc_u32 s5, s5, s7
	s_lshl_b64 s[0:1], s[0:1], 1
	s_delay_alu instid0(SALU_CYCLE_1)
	s_add_u32 s4, s4, s0
	s_addc_u32 s5, s5, s1
	s_add_u32 s0, s8, s0
	s_addc_u32 s1, s9, s1
	s_clause 0x1
	global_load_u16 v2, v1, s[0:1]
	global_load_u16 v1, v1, s[4:5]
	s_waitcnt vmcnt(1)
	v_lshlrev_b32_e32 v2, 16, v2
	s_waitcnt vmcnt(0)
	v_lshlrev_b32_e32 v1, 16, v1
	s_delay_alu instid0(VALU_DEP_1)
	v_fmac_f32_e32 v5, v1, v2
.LBB369_6:
	s_or_b32 exec_lo, exec_lo, s14
	v_and_b32_e32 v7, 31, v0
	v_cmp_gt_u32_e32 vcc_lo, 32, v0
	s_delay_alu instid0(VALU_DEP_2)
	v_lshlrev_b32_e32 v1, 2, v7
	s_and_saveexec_b32 s0, vcc_lo
	s_cbranch_execz .LBB369_8
; %bb.7:
	v_mov_b32_e32 v2, 0
	ds_store_b32 v1, v2
.LBB369_8:
	s_or_b32 exec_lo, exec_lo, s0
	v_mbcnt_lo_u32_b32 v6, -1, 0
	s_mov_b32 s1, exec_lo
	s_waitcnt lgkmcnt(0)
	s_barrier
	buffer_gl0_inv
	v_cmp_gt_u32_e64 s0, 16, v6
	s_delay_alu instid0(VALU_DEP_1) | instskip(SKIP_1) | instid1(VALU_DEP_2)
	v_cndmask_b32_e64 v2, 0, 1, s0
	v_cmp_gt_u32_e64 s0, 24, v6
	v_lshlrev_b32_e32 v2, 4, v2
	s_delay_alu instid0(VALU_DEP_2) | instskip(SKIP_1) | instid1(VALU_DEP_3)
	v_cndmask_b32_e64 v3, 0, 1, s0
	v_cmp_gt_u32_e64 s0, 28, v6
	v_add_lshl_u32 v2, v2, v6, 2
	ds_bpermute_b32 v4, v2, v5
	s_waitcnt lgkmcnt(0)
	v_add_f32_e32 v5, v5, v4
	v_lshlrev_b32_e32 v3, 3, v3
	v_cndmask_b32_e64 v4, 0, 1, s0
	v_cmp_gt_u32_e64 s0, 30, v6
	s_delay_alu instid0(VALU_DEP_3) | instskip(NEXT) | instid1(VALU_DEP_3)
	v_add_lshl_u32 v3, v3, v6, 2
	v_lshlrev_b32_e32 v4, 2, v4
	ds_bpermute_b32 v8, v3, v5
	v_add_lshl_u32 v4, v4, v6, 2
	s_waitcnt lgkmcnt(0)
	v_add_f32_e32 v8, v5, v8
	v_cndmask_b32_e64 v5, 0, 1, s0
	v_cmp_ne_u32_e64 s0, 31, v6
	ds_bpermute_b32 v9, v4, v8
	v_lshlrev_b32_e32 v5, 1, v5
	s_delay_alu instid0(VALU_DEP_1) | instskip(SKIP_1) | instid1(VALU_DEP_1)
	v_add_lshl_u32 v5, v5, v6, 2
	v_add_co_ci_u32_e64 v6, s0, 0, v6, s0
	v_lshlrev_b32_e32 v6, 2, v6
	s_waitcnt lgkmcnt(0)
	v_add_f32_e32 v8, v8, v9
	ds_bpermute_b32 v9, v5, v8
	s_waitcnt lgkmcnt(0)
	v_add_f32_e32 v8, v8, v9
	ds_bpermute_b32 v9, v6, v8
	v_cmpx_eq_u32_e32 0, v7
	s_cbranch_execz .LBB369_10
; %bb.9:
	v_lshrrev_b32_e32 v7, 3, v0
	s_waitcnt lgkmcnt(0)
	s_delay_alu instid0(VALU_DEP_1)
	v_dual_add_f32 v8, v8, v9 :: v_dual_and_b32 v7, 0x7c, v7
	ds_store_b32 v7, v8
.LBB369_10:
	s_or_b32 exec_lo, exec_lo, s1
	v_mov_b32_e32 v7, 0
	s_waitcnt lgkmcnt(0)
	s_barrier
	buffer_gl0_inv
	s_and_saveexec_b32 s0, vcc_lo
	s_cbranch_execz .LBB369_12
; %bb.11:
	ds_load_b32 v7, v1
.LBB369_12:
	s_or_b32 exec_lo, exec_lo, s0
	s_and_saveexec_b32 s0, vcc_lo
	s_cbranch_execz .LBB369_14
; %bb.13:
	s_waitcnt lgkmcnt(0)
	ds_bpermute_b32 v1, v2, v7
	s_waitcnt lgkmcnt(0)
	v_add_f32_e32 v1, v7, v1
	ds_bpermute_b32 v2, v3, v1
	s_waitcnt lgkmcnt(0)
	v_add_f32_e32 v1, v1, v2
	;; [unrolled: 3-line block ×5, first 2 shown]
.LBB369_14:
	s_or_b32 exec_lo, exec_lo, s0
	s_delay_alu instid0(SALU_CYCLE_1)
	s_mov_b32 s0, exec_lo
	v_cmpx_eq_u32_e32 0, v0
	s_cbranch_execz .LBB369_16
; %bb.15:
	s_lshl_b64 s[0:1], s[2:3], 2
	v_mov_b32_e32 v0, 0
	s_add_u32 s0, s12, s0
	s_addc_u32 s1, s13, s1
	s_waitcnt lgkmcnt(0)
	global_store_b32 v0, v7, s[0:1]
.LBB369_16:
	s_nop 0
	s_sendmsg sendmsg(MSG_DEALLOC_VGPRS)
	s_endpgm
	.section	.rodata,"a",@progbits
	.p2align	6, 0x0
	.amdhsa_kernel _ZL26rocblas_dot_kernel_inc1by2ILb1ELi1024ELi32ELb0EfPKPK16rocblas_bfloat16fEviT4_llS5_lliPT5_PT3_
		.amdhsa_group_segment_fixed_size 128
		.amdhsa_private_segment_fixed_size 0
		.amdhsa_kernarg_size 80
		.amdhsa_user_sgpr_count 14
		.amdhsa_user_sgpr_dispatch_ptr 0
		.amdhsa_user_sgpr_queue_ptr 0
		.amdhsa_user_sgpr_kernarg_segment_ptr 1
		.amdhsa_user_sgpr_dispatch_id 0
		.amdhsa_user_sgpr_private_segment_size 0
		.amdhsa_wavefront_size32 1
		.amdhsa_uses_dynamic_stack 0
		.amdhsa_enable_private_segment 0
		.amdhsa_system_sgpr_workgroup_id_x 1
		.amdhsa_system_sgpr_workgroup_id_y 0
		.amdhsa_system_sgpr_workgroup_id_z 1
		.amdhsa_system_sgpr_workgroup_info 0
		.amdhsa_system_vgpr_workitem_id 0
		.amdhsa_next_free_vgpr 11
		.amdhsa_next_free_sgpr 19
		.amdhsa_reserve_vcc 1
		.amdhsa_float_round_mode_32 0
		.amdhsa_float_round_mode_16_64 0
		.amdhsa_float_denorm_mode_32 3
		.amdhsa_float_denorm_mode_16_64 3
		.amdhsa_dx10_clamp 1
		.amdhsa_ieee_mode 1
		.amdhsa_fp16_overflow 0
		.amdhsa_workgroup_processor_mode 1
		.amdhsa_memory_ordered 1
		.amdhsa_forward_progress 0
		.amdhsa_shared_vgpr_count 0
		.amdhsa_exception_fp_ieee_invalid_op 0
		.amdhsa_exception_fp_denorm_src 0
		.amdhsa_exception_fp_ieee_div_zero 0
		.amdhsa_exception_fp_ieee_overflow 0
		.amdhsa_exception_fp_ieee_underflow 0
		.amdhsa_exception_fp_ieee_inexact 0
		.amdhsa_exception_int_div_zero 0
	.end_amdhsa_kernel
	.section	.text._ZL26rocblas_dot_kernel_inc1by2ILb1ELi1024ELi32ELb0EfPKPK16rocblas_bfloat16fEviT4_llS5_lliPT5_PT3_,"axG",@progbits,_ZL26rocblas_dot_kernel_inc1by2ILb1ELi1024ELi32ELb0EfPKPK16rocblas_bfloat16fEviT4_llS5_lliPT5_PT3_,comdat
.Lfunc_end369:
	.size	_ZL26rocblas_dot_kernel_inc1by2ILb1ELi1024ELi32ELb0EfPKPK16rocblas_bfloat16fEviT4_llS5_lliPT5_PT3_, .Lfunc_end369-_ZL26rocblas_dot_kernel_inc1by2ILb1ELi1024ELi32ELb0EfPKPK16rocblas_bfloat16fEviT4_llS5_lliPT5_PT3_
                                        ; -- End function
	.section	.AMDGPU.csdata,"",@progbits
; Kernel info:
; codeLenInByte = 1016
; NumSgprs: 21
; NumVgprs: 11
; ScratchSize: 0
; MemoryBound: 0
; FloatMode: 240
; IeeeMode: 1
; LDSByteSize: 128 bytes/workgroup (compile time only)
; SGPRBlocks: 2
; VGPRBlocks: 1
; NumSGPRsForWavesPerEU: 21
; NumVGPRsForWavesPerEU: 11
; Occupancy: 16
; WaveLimiterHint : 1
; COMPUTE_PGM_RSRC2:SCRATCH_EN: 0
; COMPUTE_PGM_RSRC2:USER_SGPR: 14
; COMPUTE_PGM_RSRC2:TRAP_HANDLER: 0
; COMPUTE_PGM_RSRC2:TGID_X_EN: 1
; COMPUTE_PGM_RSRC2:TGID_Y_EN: 0
; COMPUTE_PGM_RSRC2:TGID_Z_EN: 1
; COMPUTE_PGM_RSRC2:TIDIG_COMP_CNT: 0
	.section	.text._ZL18rocblas_dot_kernelIlLb1ELi1024ELi32ELb0EfPKPK16rocblas_bfloat16fEviT5_lT_lS5_lS6_liPT6_PT4_,"axG",@progbits,_ZL18rocblas_dot_kernelIlLb1ELi1024ELi32ELb0EfPKPK16rocblas_bfloat16fEviT5_lT_lS5_lS6_liPT6_PT4_,comdat
	.globl	_ZL18rocblas_dot_kernelIlLb1ELi1024ELi32ELb0EfPKPK16rocblas_bfloat16fEviT5_lT_lS5_lS6_liPT6_PT4_ ; -- Begin function _ZL18rocblas_dot_kernelIlLb1ELi1024ELi32ELb0EfPKPK16rocblas_bfloat16fEviT5_lT_lS5_lS6_liPT6_PT4_
	.p2align	8
	.type	_ZL18rocblas_dot_kernelIlLb1ELi1024ELi32ELb0EfPKPK16rocblas_bfloat16fEviT5_lT_lS5_lS6_liPT6_PT4_,@function
_ZL18rocblas_dot_kernelIlLb1ELi1024ELi32ELb0EfPKPK16rocblas_bfloat16fEviT5_lT_lS5_lS6_liPT6_PT4_: ; @_ZL18rocblas_dot_kernelIlLb1ELi1024ELi32ELb0EfPKPK16rocblas_bfloat16fEviT5_lT_lS5_lS6_liPT6_PT4_
; %bb.0:
	s_clause 0x1
	s_load_b32 s14, s[0:1], 0x0
	s_load_b64 s[2:3], s[0:1], 0x58
	v_mov_b32_e32 v5, 0
	s_mov_b32 s12, s15
	s_mov_b32 s13, 0
	s_mov_b32 s15, exec_lo
	s_waitcnt lgkmcnt(0)
	v_cmpx_gt_i32_e64 s14, v0
	s_cbranch_execz .LBB370_4
; %bb.1:
	s_clause 0x4
	s_load_b64 s[16:17], s[0:1], 0x8
	s_load_b128 s[8:11], s[0:1], 0x10
	s_load_b128 s[4:7], s[0:1], 0x30
	s_load_b64 s[18:19], s[0:1], 0x28
	s_load_b32 s20, s[0:1], 0x60
	s_lshl_b64 s[0:1], s[12:13], 3
	s_waitcnt lgkmcnt(0)
	s_add_u32 s16, s16, s0
	v_mad_u64_u32 v[1:2], null, s10, v0, 0
	v_mad_u64_u32 v[3:4], null, s6, v0, 0
	s_addc_u32 s17, s17, s1
	s_add_u32 s18, s18, s0
	s_load_b64 s[16:17], s[16:17], 0x0
	s_addc_u32 s19, s19, s1
	s_lshl_b64 s[8:9], s[8:9], 1
	s_load_b64 s[18:19], s[18:19], 0x0
	s_delay_alu instid0(VALU_DEP_1) | instskip(SKIP_2) | instid1(SALU_CYCLE_1)
	v_mad_u64_u32 v[7:8], null, s11, v0, v[2:3]
	v_mov_b32_e32 v5, 0
	s_lshl_b32 s1, s20, 10
	s_mul_hi_u32 s0, s10, s1
	s_mul_i32 s11, s11, s1
	s_mul_i32 s20, s10, s1
	s_delay_alu instid0(VALU_DEP_2) | instskip(SKIP_3) | instid1(VALU_DEP_2)
	v_mov_b32_e32 v2, v7
	v_mad_u64_u32 v[8:9], null, s7, v0, v[4:5]
	s_mul_hi_u32 s23, s6, s1
	s_mul_i32 s22, s6, s1
	v_lshlrev_b64 v[1:2], 1, v[1:2]
	s_mul_i32 s7, s7, s1
	v_or_b32_e32 v6, s1, v0
	s_waitcnt lgkmcnt(0)
	s_add_u32 s16, s16, s8
	v_mov_b32_e32 v4, v8
	s_addc_u32 s17, s17, s9
	s_ashr_i32 s24, s1, 31
	s_lshl_b64 s[8:9], s[4:5], 1
	s_mul_i32 s4, s10, s24
	v_lshlrev_b64 v[3:4], 1, v[3:4]
	s_add_i32 s0, s0, s4
	v_add_co_u32 v1, vcc_lo, s16, v1
	s_add_i32 s21, s0, s11
	s_mul_i32 s0, s6, s24
	s_lshl_b64 s[4:5], s[20:21], 1
	s_add_u32 s6, s18, s8
	v_add_co_ci_u32_e32 v2, vcc_lo, s17, v2, vcc_lo
	s_addc_u32 s8, s19, s9
	v_add_co_u32 v3, vcc_lo, s6, v3
	s_add_i32 s0, s23, s0
	v_add_co_ci_u32_e32 v4, vcc_lo, s8, v4, vcc_lo
	s_add_i32 s23, s0, s7
	s_mov_b32 s8, s13
	s_lshl_b64 s[6:7], s[22:23], 1
	s_mov_b32 s9, s13
	.p2align	6
.LBB370_2:                              ; =>This Inner Loop Header: Depth=1
	global_load_u16 v7, v[1:2], off
	global_load_u16 v8, v[3:4], off
	v_add_co_u32 v1, s0, v1, s4
	s_delay_alu instid0(VALU_DEP_1)
	v_add_co_ci_u32_e64 v2, s0, s5, v2, s0
	s_add_i32 s10, s9, 1
	v_cmp_le_i32_e32 vcc_lo, s14, v6
	v_add_co_u32 v3, s0, v3, s6
	s_cmp_gt_u32 s9, 30
	v_add_co_ci_u32_e64 v4, s0, s7, v4, s0
	s_cselect_b32 s0, -1, 0
	s_mov_b32 s9, s10
	s_or_b32 s0, s0, vcc_lo
	s_delay_alu instid0(SALU_CYCLE_1) | instskip(NEXT) | instid1(SALU_CYCLE_1)
	s_and_b32 s0, exec_lo, s0
	s_or_b32 s8, s0, s8
	s_waitcnt vmcnt(1)
	v_lshlrev_b32_e32 v7, 16, v7
	s_waitcnt vmcnt(0)
	v_lshlrev_b32_e32 v8, 16, v8
	s_delay_alu instid0(VALU_DEP_1)
	v_dual_fmac_f32 v5, v8, v7 :: v_dual_add_nc_u32 v6, s1, v6
	s_and_not1_b32 exec_lo, exec_lo, s8
	s_cbranch_execnz .LBB370_2
; %bb.3:
	s_or_b32 exec_lo, exec_lo, s8
.LBB370_4:
	s_delay_alu instid0(SALU_CYCLE_1) | instskip(SKIP_2) | instid1(VALU_DEP_2)
	s_or_b32 exec_lo, exec_lo, s15
	v_and_b32_e32 v7, 31, v0
	v_cmp_gt_u32_e32 vcc_lo, 32, v0
	v_lshlrev_b32_e32 v1, 2, v7
	s_and_saveexec_b32 s0, vcc_lo
	s_cbranch_execz .LBB370_6
; %bb.5:
	v_mov_b32_e32 v2, 0
	ds_store_b32 v1, v2
.LBB370_6:
	s_or_b32 exec_lo, exec_lo, s0
	v_mbcnt_lo_u32_b32 v6, -1, 0
	s_mov_b32 s1, exec_lo
	s_waitcnt lgkmcnt(0)
	s_barrier
	buffer_gl0_inv
	v_cmp_gt_u32_e64 s0, 16, v6
	s_delay_alu instid0(VALU_DEP_1) | instskip(SKIP_1) | instid1(VALU_DEP_2)
	v_cndmask_b32_e64 v2, 0, 1, s0
	v_cmp_gt_u32_e64 s0, 24, v6
	v_lshlrev_b32_e32 v2, 4, v2
	s_delay_alu instid0(VALU_DEP_2) | instskip(SKIP_1) | instid1(VALU_DEP_3)
	v_cndmask_b32_e64 v3, 0, 1, s0
	v_cmp_gt_u32_e64 s0, 28, v6
	v_add_lshl_u32 v2, v2, v6, 2
	ds_bpermute_b32 v4, v2, v5
	s_waitcnt lgkmcnt(0)
	v_add_f32_e32 v5, v5, v4
	v_lshlrev_b32_e32 v3, 3, v3
	v_cndmask_b32_e64 v4, 0, 1, s0
	v_cmp_gt_u32_e64 s0, 30, v6
	s_delay_alu instid0(VALU_DEP_3) | instskip(NEXT) | instid1(VALU_DEP_3)
	v_add_lshl_u32 v3, v3, v6, 2
	v_lshlrev_b32_e32 v4, 2, v4
	ds_bpermute_b32 v8, v3, v5
	v_add_lshl_u32 v4, v4, v6, 2
	s_waitcnt lgkmcnt(0)
	v_add_f32_e32 v8, v5, v8
	v_cndmask_b32_e64 v5, 0, 1, s0
	v_cmp_ne_u32_e64 s0, 31, v6
	ds_bpermute_b32 v9, v4, v8
	v_lshlrev_b32_e32 v5, 1, v5
	s_delay_alu instid0(VALU_DEP_1) | instskip(SKIP_1) | instid1(VALU_DEP_1)
	v_add_lshl_u32 v5, v5, v6, 2
	v_add_co_ci_u32_e64 v6, s0, 0, v6, s0
	v_lshlrev_b32_e32 v6, 2, v6
	s_waitcnt lgkmcnt(0)
	v_add_f32_e32 v8, v8, v9
	ds_bpermute_b32 v9, v5, v8
	s_waitcnt lgkmcnt(0)
	v_add_f32_e32 v8, v8, v9
	ds_bpermute_b32 v9, v6, v8
	v_cmpx_eq_u32_e32 0, v7
	s_cbranch_execz .LBB370_8
; %bb.7:
	v_lshrrev_b32_e32 v7, 3, v0
	s_waitcnt lgkmcnt(0)
	s_delay_alu instid0(VALU_DEP_1)
	v_dual_add_f32 v8, v8, v9 :: v_dual_and_b32 v7, 0x7c, v7
	ds_store_b32 v7, v8
.LBB370_8:
	s_or_b32 exec_lo, exec_lo, s1
	v_mov_b32_e32 v7, 0
	s_waitcnt lgkmcnt(0)
	s_barrier
	buffer_gl0_inv
	s_and_saveexec_b32 s0, vcc_lo
	s_cbranch_execz .LBB370_10
; %bb.9:
	ds_load_b32 v7, v1
.LBB370_10:
	s_or_b32 exec_lo, exec_lo, s0
	s_and_saveexec_b32 s0, vcc_lo
	s_cbranch_execz .LBB370_12
; %bb.11:
	s_waitcnt lgkmcnt(0)
	ds_bpermute_b32 v1, v2, v7
	s_waitcnt lgkmcnt(0)
	v_add_f32_e32 v1, v7, v1
	ds_bpermute_b32 v2, v3, v1
	s_waitcnt lgkmcnt(0)
	v_add_f32_e32 v1, v1, v2
	;; [unrolled: 3-line block ×5, first 2 shown]
.LBB370_12:
	s_or_b32 exec_lo, exec_lo, s0
	s_delay_alu instid0(SALU_CYCLE_1)
	s_mov_b32 s0, exec_lo
	v_cmpx_eq_u32_e32 0, v0
	s_cbranch_execz .LBB370_14
; %bb.13:
	s_lshl_b64 s[0:1], s[12:13], 2
	v_mov_b32_e32 v0, 0
	s_add_u32 s0, s2, s0
	s_addc_u32 s1, s3, s1
	s_waitcnt lgkmcnt(0)
	global_store_b32 v0, v7, s[0:1]
.LBB370_14:
	s_nop 0
	s_sendmsg sendmsg(MSG_DEALLOC_VGPRS)
	s_endpgm
	.section	.rodata,"a",@progbits
	.p2align	6, 0x0
	.amdhsa_kernel _ZL18rocblas_dot_kernelIlLb1ELi1024ELi32ELb0EfPKPK16rocblas_bfloat16fEviT5_lT_lS5_lS6_liPT6_PT4_
		.amdhsa_group_segment_fixed_size 128
		.amdhsa_private_segment_fixed_size 0
		.amdhsa_kernarg_size 352
		.amdhsa_user_sgpr_count 14
		.amdhsa_user_sgpr_dispatch_ptr 0
		.amdhsa_user_sgpr_queue_ptr 0
		.amdhsa_user_sgpr_kernarg_segment_ptr 1
		.amdhsa_user_sgpr_dispatch_id 0
		.amdhsa_user_sgpr_private_segment_size 0
		.amdhsa_wavefront_size32 1
		.amdhsa_uses_dynamic_stack 0
		.amdhsa_enable_private_segment 0
		.amdhsa_system_sgpr_workgroup_id_x 1
		.amdhsa_system_sgpr_workgroup_id_y 0
		.amdhsa_system_sgpr_workgroup_id_z 1
		.amdhsa_system_sgpr_workgroup_info 0
		.amdhsa_system_vgpr_workitem_id 0
		.amdhsa_next_free_vgpr 10
		.amdhsa_next_free_sgpr 25
		.amdhsa_reserve_vcc 1
		.amdhsa_float_round_mode_32 0
		.amdhsa_float_round_mode_16_64 0
		.amdhsa_float_denorm_mode_32 3
		.amdhsa_float_denorm_mode_16_64 3
		.amdhsa_dx10_clamp 1
		.amdhsa_ieee_mode 1
		.amdhsa_fp16_overflow 0
		.amdhsa_workgroup_processor_mode 1
		.amdhsa_memory_ordered 1
		.amdhsa_forward_progress 0
		.amdhsa_shared_vgpr_count 0
		.amdhsa_exception_fp_ieee_invalid_op 0
		.amdhsa_exception_fp_denorm_src 0
		.amdhsa_exception_fp_ieee_div_zero 0
		.amdhsa_exception_fp_ieee_overflow 0
		.amdhsa_exception_fp_ieee_underflow 0
		.amdhsa_exception_fp_ieee_inexact 0
		.amdhsa_exception_int_div_zero 0
	.end_amdhsa_kernel
	.section	.text._ZL18rocblas_dot_kernelIlLb1ELi1024ELi32ELb0EfPKPK16rocblas_bfloat16fEviT5_lT_lS5_lS6_liPT6_PT4_,"axG",@progbits,_ZL18rocblas_dot_kernelIlLb1ELi1024ELi32ELb0EfPKPK16rocblas_bfloat16fEviT5_lT_lS5_lS6_liPT6_PT4_,comdat
.Lfunc_end370:
	.size	_ZL18rocblas_dot_kernelIlLb1ELi1024ELi32ELb0EfPKPK16rocblas_bfloat16fEviT5_lT_lS5_lS6_liPT6_PT4_, .Lfunc_end370-_ZL18rocblas_dot_kernelIlLb1ELi1024ELi32ELb0EfPKPK16rocblas_bfloat16fEviT5_lT_lS5_lS6_liPT6_PT4_
                                        ; -- End function
	.section	.AMDGPU.csdata,"",@progbits
; Kernel info:
; codeLenInByte = 988
; NumSgprs: 27
; NumVgprs: 10
; ScratchSize: 0
; MemoryBound: 0
; FloatMode: 240
; IeeeMode: 1
; LDSByteSize: 128 bytes/workgroup (compile time only)
; SGPRBlocks: 3
; VGPRBlocks: 1
; NumSGPRsForWavesPerEU: 27
; NumVGPRsForWavesPerEU: 10
; Occupancy: 16
; WaveLimiterHint : 0
; COMPUTE_PGM_RSRC2:SCRATCH_EN: 0
; COMPUTE_PGM_RSRC2:USER_SGPR: 14
; COMPUTE_PGM_RSRC2:TRAP_HANDLER: 0
; COMPUTE_PGM_RSRC2:TGID_X_EN: 1
; COMPUTE_PGM_RSRC2:TGID_Y_EN: 0
; COMPUTE_PGM_RSRC2:TGID_Z_EN: 1
; COMPUTE_PGM_RSRC2:TIDIG_COMP_CNT: 0
	.section	.text._ZL24rocblas_dot_kernel_magsqIlLb1ELi1024ELi32ELb0EfPKPK16rocblas_bfloat16fEviT5_lT_liPT6_PT4_,"axG",@progbits,_ZL24rocblas_dot_kernel_magsqIlLb1ELi1024ELi32ELb0EfPKPK16rocblas_bfloat16fEviT5_lT_liPT6_PT4_,comdat
	.globl	_ZL24rocblas_dot_kernel_magsqIlLb1ELi1024ELi32ELb0EfPKPK16rocblas_bfloat16fEviT5_lT_liPT6_PT4_ ; -- Begin function _ZL24rocblas_dot_kernel_magsqIlLb1ELi1024ELi32ELb0EfPKPK16rocblas_bfloat16fEviT5_lT_liPT6_PT4_
	.p2align	8
	.type	_ZL24rocblas_dot_kernel_magsqIlLb1ELi1024ELi32ELb0EfPKPK16rocblas_bfloat16fEviT5_lT_liPT6_PT4_,@function
_ZL24rocblas_dot_kernel_magsqIlLb1ELi1024ELi32ELb0EfPKPK16rocblas_bfloat16fEviT5_lT_liPT6_PT4_: ; @_ZL24rocblas_dot_kernel_magsqIlLb1ELi1024ELi32ELb0EfPKPK16rocblas_bfloat16fEviT5_lT_liPT6_PT4_
; %bb.0:
	s_clause 0x1
	s_load_b32 s8, s[0:1], 0x0
	s_load_b64 s[2:3], s[0:1], 0x38
	v_mov_b32_e32 v3, 0
	s_mov_b32 s4, s15
	s_mov_b32 s5, 0
	s_mov_b32 s9, exec_lo
	s_waitcnt lgkmcnt(0)
	v_cmpx_gt_i32_e64 s8, v0
	s_cbranch_execz .LBB371_4
; %bb.1:
	s_clause 0x1
	s_load_b64 s[6:7], s[0:1], 0x8
	s_load_b128 s[12:15], s[0:1], 0x10
	s_lshl_b64 s[10:11], s[4:5], 3
	s_load_b32 s16, s[0:1], 0x40
	s_waitcnt lgkmcnt(0)
	s_add_u32 s0, s6, s10
	v_mad_u64_u32 v[1:2], null, s14, v0, 0
	s_addc_u32 s1, s7, s11
	s_lshl_b64 s[10:11], s[12:13], 1
	s_load_b64 s[6:7], s[0:1], 0x0
	s_lshl_b32 s1, s16, 10
	s_delay_alu instid0(SALU_CYCLE_1) | instskip(NEXT) | instid1(VALU_DEP_1)
	s_mul_hi_u32 s0, s14, s1
	v_mad_u64_u32 v[3:4], null, s15, v0, v[2:3]
	v_or_b32_e32 v4, s1, v0
	s_delay_alu instid0(VALU_DEP_2) | instskip(NEXT) | instid1(VALU_DEP_1)
	v_dual_mov_b32 v2, v3 :: v_dual_mov_b32 v3, 0
	v_lshlrev_b64 v[1:2], 1, v[1:2]
	s_waitcnt lgkmcnt(0)
	s_add_u32 s10, s6, s10
	s_addc_u32 s11, s7, s11
	s_ashr_i32 s6, s1, 31
	s_delay_alu instid0(VALU_DEP_1)
	v_add_co_u32 v1, vcc_lo, s10, v1
	s_mul_i32 s6, s14, s6
	s_mul_i32 s7, s15, s1
	s_add_i32 s0, s0, s6
	v_add_co_ci_u32_e32 v2, vcc_lo, s11, v2, vcc_lo
	s_mul_i32 s6, s14, s1
	s_add_i32 s7, s0, s7
	s_mov_b32 s10, s5
	s_lshl_b64 s[6:7], s[6:7], 1
	s_mov_b32 s11, s5
	.p2align	6
.LBB371_2:                              ; =>This Inner Loop Header: Depth=1
	global_load_u16 v5, v[1:2], off
	s_add_i32 s12, s11, 1
	v_cmp_le_i32_e32 vcc_lo, s8, v4
	v_add_co_u32 v1, s0, v1, s6
	s_cmp_gt_u32 s11, 30
	v_add_co_ci_u32_e64 v2, s0, s7, v2, s0
	s_cselect_b32 s0, -1, 0
	s_mov_b32 s11, s12
	s_or_b32 s0, s0, vcc_lo
	s_delay_alu instid0(SALU_CYCLE_1) | instskip(NEXT) | instid1(SALU_CYCLE_1)
	s_and_b32 s0, exec_lo, s0
	s_or_b32 s10, s0, s10
	s_waitcnt vmcnt(0)
	v_lshlrev_b32_e32 v5, 16, v5
	s_delay_alu instid0(VALU_DEP_1)
	v_dual_fmac_f32 v3, v5, v5 :: v_dual_add_nc_u32 v4, s1, v4
	s_and_not1_b32 exec_lo, exec_lo, s10
	s_cbranch_execnz .LBB371_2
; %bb.3:
	s_or_b32 exec_lo, exec_lo, s10
.LBB371_4:
	s_delay_alu instid0(SALU_CYCLE_1) | instskip(SKIP_2) | instid1(VALU_DEP_2)
	s_or_b32 exec_lo, exec_lo, s9
	v_and_b32_e32 v7, 31, v0
	v_cmp_gt_u32_e32 vcc_lo, 32, v0
	v_lshlrev_b32_e32 v1, 2, v7
	s_and_saveexec_b32 s0, vcc_lo
	s_cbranch_execz .LBB371_6
; %bb.5:
	v_mov_b32_e32 v2, 0
	ds_store_b32 v1, v2
.LBB371_6:
	s_or_b32 exec_lo, exec_lo, s0
	v_mbcnt_lo_u32_b32 v6, -1, 0
	s_mov_b32 s1, exec_lo
	s_waitcnt lgkmcnt(0)
	s_barrier
	buffer_gl0_inv
	v_cmp_gt_u32_e64 s0, 16, v6
	s_delay_alu instid0(VALU_DEP_1) | instskip(SKIP_1) | instid1(VALU_DEP_2)
	v_cndmask_b32_e64 v2, 0, 1, s0
	v_cmp_gt_u32_e64 s0, 24, v6
	v_lshlrev_b32_e32 v2, 4, v2
	s_delay_alu instid0(VALU_DEP_2) | instskip(SKIP_1) | instid1(VALU_DEP_3)
	v_cndmask_b32_e64 v4, 0, 1, s0
	v_cmp_gt_u32_e64 s0, 28, v6
	v_add_lshl_u32 v2, v2, v6, 2
	s_delay_alu instid0(VALU_DEP_3)
	v_lshlrev_b32_e32 v4, 3, v4
	ds_bpermute_b32 v5, v2, v3
	v_add_lshl_u32 v4, v4, v6, 2
	s_waitcnt lgkmcnt(0)
	v_add_f32_e32 v5, v3, v5
	v_cndmask_b32_e64 v3, 0, 1, s0
	v_cmp_gt_u32_e64 s0, 30, v6
	ds_bpermute_b32 v8, v4, v5
	s_waitcnt lgkmcnt(0)
	v_dual_add_f32 v8, v5, v8 :: v_dual_lshlrev_b32 v3, 2, v3
	s_delay_alu instid0(VALU_DEP_1) | instskip(SKIP_4) | instid1(VALU_DEP_1)
	v_add_lshl_u32 v3, v3, v6, 2
	v_cndmask_b32_e64 v5, 0, 1, s0
	v_cmp_ne_u32_e64 s0, 31, v6
	ds_bpermute_b32 v9, v3, v8
	v_lshlrev_b32_e32 v5, 1, v5
	v_add_lshl_u32 v5, v5, v6, 2
	v_add_co_ci_u32_e64 v6, s0, 0, v6, s0
	s_delay_alu instid0(VALU_DEP_1)
	v_lshlrev_b32_e32 v6, 2, v6
	s_waitcnt lgkmcnt(0)
	v_add_f32_e32 v8, v8, v9
	ds_bpermute_b32 v9, v5, v8
	s_waitcnt lgkmcnt(0)
	v_add_f32_e32 v8, v8, v9
	ds_bpermute_b32 v9, v6, v8
	v_cmpx_eq_u32_e32 0, v7
	s_cbranch_execz .LBB371_8
; %bb.7:
	v_lshrrev_b32_e32 v7, 3, v0
	s_waitcnt lgkmcnt(0)
	s_delay_alu instid0(VALU_DEP_1)
	v_dual_add_f32 v8, v8, v9 :: v_dual_and_b32 v7, 0x7c, v7
	ds_store_b32 v7, v8
.LBB371_8:
	s_or_b32 exec_lo, exec_lo, s1
	v_mov_b32_e32 v7, 0
	s_waitcnt lgkmcnt(0)
	s_barrier
	buffer_gl0_inv
	s_and_saveexec_b32 s0, vcc_lo
	s_cbranch_execz .LBB371_10
; %bb.9:
	ds_load_b32 v7, v1
.LBB371_10:
	s_or_b32 exec_lo, exec_lo, s0
	s_and_saveexec_b32 s0, vcc_lo
	s_cbranch_execz .LBB371_12
; %bb.11:
	s_waitcnt lgkmcnt(0)
	ds_bpermute_b32 v1, v2, v7
	s_waitcnt lgkmcnt(0)
	v_add_f32_e32 v1, v7, v1
	ds_bpermute_b32 v2, v4, v1
	s_waitcnt lgkmcnt(0)
	v_add_f32_e32 v1, v1, v2
	;; [unrolled: 3-line block ×5, first 2 shown]
.LBB371_12:
	s_or_b32 exec_lo, exec_lo, s0
	s_delay_alu instid0(SALU_CYCLE_1)
	s_mov_b32 s0, exec_lo
	v_cmpx_eq_u32_e32 0, v0
	s_cbranch_execz .LBB371_14
; %bb.13:
	s_lshl_b64 s[0:1], s[4:5], 2
	v_mov_b32_e32 v0, 0
	s_add_u32 s0, s2, s0
	s_addc_u32 s1, s3, s1
	s_waitcnt lgkmcnt(0)
	global_store_b32 v0, v7, s[0:1]
.LBB371_14:
	s_nop 0
	s_sendmsg sendmsg(MSG_DEALLOC_VGPRS)
	s_endpgm
	.section	.rodata,"a",@progbits
	.p2align	6, 0x0
	.amdhsa_kernel _ZL24rocblas_dot_kernel_magsqIlLb1ELi1024ELi32ELb0EfPKPK16rocblas_bfloat16fEviT5_lT_liPT6_PT4_
		.amdhsa_group_segment_fixed_size 128
		.amdhsa_private_segment_fixed_size 0
		.amdhsa_kernarg_size 320
		.amdhsa_user_sgpr_count 14
		.amdhsa_user_sgpr_dispatch_ptr 0
		.amdhsa_user_sgpr_queue_ptr 0
		.amdhsa_user_sgpr_kernarg_segment_ptr 1
		.amdhsa_user_sgpr_dispatch_id 0
		.amdhsa_user_sgpr_private_segment_size 0
		.amdhsa_wavefront_size32 1
		.amdhsa_uses_dynamic_stack 0
		.amdhsa_enable_private_segment 0
		.amdhsa_system_sgpr_workgroup_id_x 1
		.amdhsa_system_sgpr_workgroup_id_y 0
		.amdhsa_system_sgpr_workgroup_id_z 1
		.amdhsa_system_sgpr_workgroup_info 0
		.amdhsa_system_vgpr_workitem_id 0
		.amdhsa_next_free_vgpr 10
		.amdhsa_next_free_sgpr 17
		.amdhsa_reserve_vcc 1
		.amdhsa_float_round_mode_32 0
		.amdhsa_float_round_mode_16_64 0
		.amdhsa_float_denorm_mode_32 3
		.amdhsa_float_denorm_mode_16_64 3
		.amdhsa_dx10_clamp 1
		.amdhsa_ieee_mode 1
		.amdhsa_fp16_overflow 0
		.amdhsa_workgroup_processor_mode 1
		.amdhsa_memory_ordered 1
		.amdhsa_forward_progress 0
		.amdhsa_shared_vgpr_count 0
		.amdhsa_exception_fp_ieee_invalid_op 0
		.amdhsa_exception_fp_denorm_src 0
		.amdhsa_exception_fp_ieee_div_zero 0
		.amdhsa_exception_fp_ieee_overflow 0
		.amdhsa_exception_fp_ieee_underflow 0
		.amdhsa_exception_fp_ieee_inexact 0
		.amdhsa_exception_int_div_zero 0
	.end_amdhsa_kernel
	.section	.text._ZL24rocblas_dot_kernel_magsqIlLb1ELi1024ELi32ELb0EfPKPK16rocblas_bfloat16fEviT5_lT_liPT6_PT4_,"axG",@progbits,_ZL24rocblas_dot_kernel_magsqIlLb1ELi1024ELi32ELb0EfPKPK16rocblas_bfloat16fEviT5_lT_liPT6_PT4_,comdat
.Lfunc_end371:
	.size	_ZL24rocblas_dot_kernel_magsqIlLb1ELi1024ELi32ELb0EfPKPK16rocblas_bfloat16fEviT5_lT_liPT6_PT4_, .Lfunc_end371-_ZL24rocblas_dot_kernel_magsqIlLb1ELi1024ELi32ELb0EfPKPK16rocblas_bfloat16fEviT5_lT_liPT6_PT4_
                                        ; -- End function
	.section	.AMDGPU.csdata,"",@progbits
; Kernel info:
; codeLenInByte = 848
; NumSgprs: 19
; NumVgprs: 10
; ScratchSize: 0
; MemoryBound: 0
; FloatMode: 240
; IeeeMode: 1
; LDSByteSize: 128 bytes/workgroup (compile time only)
; SGPRBlocks: 2
; VGPRBlocks: 1
; NumSGPRsForWavesPerEU: 19
; NumVGPRsForWavesPerEU: 10
; Occupancy: 16
; WaveLimiterHint : 0
; COMPUTE_PGM_RSRC2:SCRATCH_EN: 0
; COMPUTE_PGM_RSRC2:USER_SGPR: 14
; COMPUTE_PGM_RSRC2:TRAP_HANDLER: 0
; COMPUTE_PGM_RSRC2:TGID_X_EN: 1
; COMPUTE_PGM_RSRC2:TGID_Y_EN: 0
; COMPUTE_PGM_RSRC2:TGID_Z_EN: 1
; COMPUTE_PGM_RSRC2:TIDIG_COMP_CNT: 0
	.section	.text._ZL23rocblas_dot_kernel_inc1ILb0ELi512ELi4ELb0EfPKPK16rocblas_bfloat16fEviT4_llS5_lliPT5_PT3_,"axG",@progbits,_ZL23rocblas_dot_kernel_inc1ILb0ELi512ELi4ELb0EfPKPK16rocblas_bfloat16fEviT4_llS5_lliPT5_PT3_,comdat
	.globl	_ZL23rocblas_dot_kernel_inc1ILb0ELi512ELi4ELb0EfPKPK16rocblas_bfloat16fEviT4_llS5_lliPT5_PT3_ ; -- Begin function _ZL23rocblas_dot_kernel_inc1ILb0ELi512ELi4ELb0EfPKPK16rocblas_bfloat16fEviT4_llS5_lliPT5_PT3_
	.p2align	8
	.type	_ZL23rocblas_dot_kernel_inc1ILb0ELi512ELi4ELb0EfPKPK16rocblas_bfloat16fEviT4_llS5_lliPT5_PT3_,@function
_ZL23rocblas_dot_kernel_inc1ILb0ELi512ELi4ELb0EfPKPK16rocblas_bfloat16fEviT4_llS5_lliPT5_PT3_: ; @_ZL23rocblas_dot_kernel_inc1ILb0ELi512ELi4ELb0EfPKPK16rocblas_bfloat16fEviT4_llS5_lliPT5_PT3_
; %bb.0:
	s_clause 0x2
	s_load_b32 s12, s[0:1], 0x50
	s_load_b32 s13, s[0:1], 0x0
	s_load_b128 s[4:7], s[0:1], 0x40
	v_lshl_or_b32 v3, s14, 9, v0
	v_mov_b32_e32 v5, 0
	s_mov_b32 s2, s15
	s_mov_b32 s3, 0
	s_mov_b32 s15, exec_lo
	s_waitcnt lgkmcnt(0)
	v_cmpx_gt_i32_e64 s13, v3
	s_cbranch_execz .LBB372_4
; %bb.1:
	s_clause 0x1
	s_load_b128 s[8:11], s[0:1], 0x8
	s_load_b128 s[20:23], s[0:1], 0x20
	s_lshl_b64 s[18:19], s[2:3], 3
	v_ashrrev_i32_e32 v4, 31, v3
	v_mov_b32_e32 v5, 0
	s_delay_alu instid0(VALU_DEP_2)
	v_lshlrev_b64 v[1:2], 1, v[3:4]
	s_waitcnt lgkmcnt(0)
	s_add_u32 s0, s8, s18
	s_addc_u32 s1, s9, s19
	s_lshl_b64 s[10:11], s[10:11], 1
	s_load_b64 s[8:9], s[0:1], 0x0
	s_waitcnt lgkmcnt(0)
	s_add_u32 s1, s8, s10
	s_addc_u32 s16, s9, s11
	s_add_u32 s8, s20, s18
	s_addc_u32 s9, s21, s19
	s_lshl_b64 s[10:11], s[22:23], 1
	s_load_b64 s[8:9], s[8:9], 0x0
	s_mov_b32 s19, s3
	s_waitcnt lgkmcnt(0)
	s_add_u32 s17, s8, s10
	s_addc_u32 s18, s9, s11
	s_lshl_b32 s8, s12, 9
	s_delay_alu instid0(SALU_CYCLE_1) | instskip(SKIP_1) | instid1(SALU_CYCLE_1)
	v_add_nc_u32_e32 v3, s8, v3
	s_ashr_i32 s9, s8, 31
	s_lshl_b64 s[10:11], s[8:9], 1
	s_mov_b32 s9, s3
	.p2align	6
.LBB372_2:                              ; =>This Inner Loop Header: Depth=1
	v_add_co_u32 v6, vcc_lo, s1, v1
	v_add_co_ci_u32_e32 v7, vcc_lo, s16, v2, vcc_lo
	v_add_co_u32 v8, vcc_lo, s17, v1
	v_add_co_ci_u32_e32 v9, vcc_lo, s18, v2, vcc_lo
	s_add_i32 s20, s19, 1
	global_load_u16 v4, v[6:7], off
	global_load_u16 v6, v[8:9], off
	v_cmp_le_i32_e32 vcc_lo, s13, v3
	v_add_co_u32 v1, s0, v1, s10
	s_cmp_gt_u32 s19, 2
	v_add_co_ci_u32_e64 v2, s0, s11, v2, s0
	s_cselect_b32 s0, -1, 0
	v_add_nc_u32_e32 v3, s8, v3
	s_or_b32 s0, s0, vcc_lo
	s_mov_b32 s19, s20
	s_and_b32 s0, exec_lo, s0
	s_delay_alu instid0(SALU_CYCLE_1) | instskip(SKIP_4) | instid1(VALU_DEP_1)
	s_or_b32 s9, s0, s9
	s_waitcnt vmcnt(1)
	v_lshlrev_b32_e32 v4, 16, v4
	s_waitcnt vmcnt(0)
	v_lshlrev_b32_e32 v6, 16, v6
	v_fmac_f32_e32 v5, v6, v4
	s_and_not1_b32 exec_lo, exec_lo, s9
	s_cbranch_execnz .LBB372_2
; %bb.3:
	s_or_b32 exec_lo, exec_lo, s9
.LBB372_4:
	s_delay_alu instid0(SALU_CYCLE_1) | instskip(SKIP_2) | instid1(VALU_DEP_2)
	s_or_b32 exec_lo, exec_lo, s15
	v_and_b32_e32 v2, 31, v0
	v_cmp_gt_u32_e32 vcc_lo, 32, v0
	v_lshlrev_b32_e32 v1, 2, v2
	s_and_saveexec_b32 s0, vcc_lo
	s_cbranch_execz .LBB372_6
; %bb.5:
	v_mov_b32_e32 v3, 0
	ds_store_b32 v1, v3
.LBB372_6:
	s_or_b32 exec_lo, exec_lo, s0
	v_mbcnt_lo_u32_b32 v6, -1, 0
	s_mov_b32 s1, exec_lo
	s_waitcnt lgkmcnt(0)
	s_barrier
	buffer_gl0_inv
	v_cmp_gt_u32_e64 s0, 16, v6
	s_delay_alu instid0(VALU_DEP_1) | instskip(SKIP_1) | instid1(VALU_DEP_2)
	v_cndmask_b32_e64 v3, 0, 1, s0
	v_cmp_gt_u32_e64 s0, 24, v6
	v_lshlrev_b32_e32 v3, 4, v3
	s_delay_alu instid0(VALU_DEP_1) | instskip(SKIP_3) | instid1(VALU_DEP_2)
	v_add_lshl_u32 v3, v3, v6, 2
	ds_bpermute_b32 v4, v3, v5
	v_cndmask_b32_e64 v3, 0, 1, s0
	v_cmp_gt_u32_e64 s0, 28, v6
	v_lshlrev_b32_e32 v3, 3, v3
	s_delay_alu instid0(VALU_DEP_1)
	v_add_lshl_u32 v3, v3, v6, 2
	s_waitcnt lgkmcnt(0)
	v_add_f32_e32 v5, v5, v4
	v_cndmask_b32_e64 v4, 0, 1, s0
	v_cmp_gt_u32_e64 s0, 30, v6
	ds_bpermute_b32 v7, v3, v5
	s_waitcnt lgkmcnt(0)
	v_dual_add_f32 v7, v5, v7 :: v_dual_lshlrev_b32 v4, 2, v4
	s_delay_alu instid0(VALU_DEP_1) | instskip(SKIP_4) | instid1(VALU_DEP_1)
	v_add_lshl_u32 v4, v4, v6, 2
	v_cndmask_b32_e64 v5, 0, 1, s0
	v_cmp_ne_u32_e64 s0, 31, v6
	ds_bpermute_b32 v8, v4, v7
	v_lshlrev_b32_e32 v5, 1, v5
	v_add_lshl_u32 v5, v5, v6, 2
	v_add_co_ci_u32_e64 v6, s0, 0, v6, s0
	s_waitcnt lgkmcnt(0)
	s_delay_alu instid0(VALU_DEP_1)
	v_dual_add_f32 v7, v7, v8 :: v_dual_lshlrev_b32 v6, 2, v6
	ds_bpermute_b32 v8, v5, v7
	s_waitcnt lgkmcnt(0)
	v_add_f32_e32 v7, v7, v8
	ds_bpermute_b32 v8, v6, v7
	v_cmpx_eq_u32_e32 0, v2
	s_cbranch_execz .LBB372_8
; %bb.7:
	v_lshrrev_b32_e32 v2, 3, v0
	s_waitcnt lgkmcnt(0)
	s_delay_alu instid0(VALU_DEP_1)
	v_dual_add_f32 v7, v7, v8 :: v_dual_and_b32 v2, 60, v2
	ds_store_b32 v2, v7
.LBB372_8:
	s_or_b32 exec_lo, exec_lo, s1
	v_mov_b32_e32 v2, 0
	s_mov_b32 s1, exec_lo
	s_waitcnt lgkmcnt(0)
	s_barrier
	buffer_gl0_inv
	v_cmpx_gt_u32_e32 16, v0
	s_cbranch_execz .LBB372_10
; %bb.9:
	ds_load_b32 v2, v1
.LBB372_10:
	s_or_b32 exec_lo, exec_lo, s1
	s_and_saveexec_b32 s0, vcc_lo
	s_cbranch_execz .LBB372_12
; %bb.11:
	s_waitcnt lgkmcnt(0)
	ds_bpermute_b32 v1, v3, v2
	s_waitcnt lgkmcnt(0)
	v_add_f32_e32 v1, v2, v1
	ds_bpermute_b32 v2, v4, v1
	s_waitcnt lgkmcnt(0)
	v_add_f32_e32 v1, v1, v2
	;; [unrolled: 3-line block ×4, first 2 shown]
.LBB372_12:
	s_or_b32 exec_lo, exec_lo, s0
	s_delay_alu instid0(SALU_CYCLE_1)
	s_mov_b32 s0, exec_lo
	v_cmpx_eq_u32_e32 0, v0
	s_cbranch_execz .LBB372_18
; %bb.13:
	s_cmp_lg_u32 s12, 1
	s_cbranch_scc0 .LBB372_15
; %bb.14:
	s_mul_hi_u32 s1, s12, s2
	s_mul_i32 s0, s12, s2
	s_mov_b32 s15, 0
	s_lshl_b64 s[0:1], s[0:1], 2
	s_delay_alu instid0(SALU_CYCLE_1) | instskip(SKIP_2) | instid1(SALU_CYCLE_1)
	s_add_u32 s4, s4, s0
	s_addc_u32 s5, s5, s1
	s_lshl_b64 s[0:1], s[14:15], 2
	s_add_u32 s0, s4, s0
	s_addc_u32 s1, s5, s1
	s_cbranch_execz .LBB372_16
	s_branch .LBB372_17
.LBB372_15:
                                        ; implicit-def: $sgpr0_sgpr1
.LBB372_16:
	s_lshl_b64 s[0:1], s[2:3], 2
	s_delay_alu instid0(SALU_CYCLE_1)
	s_add_u32 s0, s6, s0
	s_addc_u32 s1, s7, s1
.LBB372_17:
	v_mov_b32_e32 v0, 0
	s_waitcnt lgkmcnt(0)
	global_store_b32 v0, v2, s[0:1]
.LBB372_18:
	s_nop 0
	s_sendmsg sendmsg(MSG_DEALLOC_VGPRS)
	s_endpgm
	.section	.rodata,"a",@progbits
	.p2align	6, 0x0
	.amdhsa_kernel _ZL23rocblas_dot_kernel_inc1ILb0ELi512ELi4ELb0EfPKPK16rocblas_bfloat16fEviT4_llS5_lliPT5_PT3_
		.amdhsa_group_segment_fixed_size 128
		.amdhsa_private_segment_fixed_size 0
		.amdhsa_kernarg_size 336
		.amdhsa_user_sgpr_count 14
		.amdhsa_user_sgpr_dispatch_ptr 0
		.amdhsa_user_sgpr_queue_ptr 0
		.amdhsa_user_sgpr_kernarg_segment_ptr 1
		.amdhsa_user_sgpr_dispatch_id 0
		.amdhsa_user_sgpr_private_segment_size 0
		.amdhsa_wavefront_size32 1
		.amdhsa_uses_dynamic_stack 0
		.amdhsa_enable_private_segment 0
		.amdhsa_system_sgpr_workgroup_id_x 1
		.amdhsa_system_sgpr_workgroup_id_y 0
		.amdhsa_system_sgpr_workgroup_id_z 1
		.amdhsa_system_sgpr_workgroup_info 0
		.amdhsa_system_vgpr_workitem_id 0
		.amdhsa_next_free_vgpr 10
		.amdhsa_next_free_sgpr 24
		.amdhsa_reserve_vcc 1
		.amdhsa_float_round_mode_32 0
		.amdhsa_float_round_mode_16_64 0
		.amdhsa_float_denorm_mode_32 3
		.amdhsa_float_denorm_mode_16_64 3
		.amdhsa_dx10_clamp 1
		.amdhsa_ieee_mode 1
		.amdhsa_fp16_overflow 0
		.amdhsa_workgroup_processor_mode 1
		.amdhsa_memory_ordered 1
		.amdhsa_forward_progress 0
		.amdhsa_shared_vgpr_count 0
		.amdhsa_exception_fp_ieee_invalid_op 0
		.amdhsa_exception_fp_denorm_src 0
		.amdhsa_exception_fp_ieee_div_zero 0
		.amdhsa_exception_fp_ieee_overflow 0
		.amdhsa_exception_fp_ieee_underflow 0
		.amdhsa_exception_fp_ieee_inexact 0
		.amdhsa_exception_int_div_zero 0
	.end_amdhsa_kernel
	.section	.text._ZL23rocblas_dot_kernel_inc1ILb0ELi512ELi4ELb0EfPKPK16rocblas_bfloat16fEviT4_llS5_lliPT5_PT3_,"axG",@progbits,_ZL23rocblas_dot_kernel_inc1ILb0ELi512ELi4ELb0EfPKPK16rocblas_bfloat16fEviT4_llS5_lliPT5_PT3_,comdat
.Lfunc_end372:
	.size	_ZL23rocblas_dot_kernel_inc1ILb0ELi512ELi4ELb0EfPKPK16rocblas_bfloat16fEviT4_llS5_lliPT5_PT3_, .Lfunc_end372-_ZL23rocblas_dot_kernel_inc1ILb0ELi512ELi4ELb0EfPKPK16rocblas_bfloat16fEviT4_llS5_lliPT5_PT3_
                                        ; -- End function
	.section	.AMDGPU.csdata,"",@progbits
; Kernel info:
; codeLenInByte = 912
; NumSgprs: 26
; NumVgprs: 10
; ScratchSize: 0
; MemoryBound: 0
; FloatMode: 240
; IeeeMode: 1
; LDSByteSize: 128 bytes/workgroup (compile time only)
; SGPRBlocks: 3
; VGPRBlocks: 1
; NumSGPRsForWavesPerEU: 26
; NumVGPRsForWavesPerEU: 10
; Occupancy: 16
; WaveLimiterHint : 1
; COMPUTE_PGM_RSRC2:SCRATCH_EN: 0
; COMPUTE_PGM_RSRC2:USER_SGPR: 14
; COMPUTE_PGM_RSRC2:TRAP_HANDLER: 0
; COMPUTE_PGM_RSRC2:TGID_X_EN: 1
; COMPUTE_PGM_RSRC2:TGID_Y_EN: 0
; COMPUTE_PGM_RSRC2:TGID_Z_EN: 1
; COMPUTE_PGM_RSRC2:TIDIG_COMP_CNT: 0
	.section	.text._ZL18rocblas_dot_kernelIlLb0ELi512ELi4ELb0EfPKPK16rocblas_bfloat16fEviT5_lT_lS5_lS6_liPT6_PT4_,"axG",@progbits,_ZL18rocblas_dot_kernelIlLb0ELi512ELi4ELb0EfPKPK16rocblas_bfloat16fEviT5_lT_lS5_lS6_liPT6_PT4_,comdat
	.globl	_ZL18rocblas_dot_kernelIlLb0ELi512ELi4ELb0EfPKPK16rocblas_bfloat16fEviT5_lT_lS5_lS6_liPT6_PT4_ ; -- Begin function _ZL18rocblas_dot_kernelIlLb0ELi512ELi4ELb0EfPKPK16rocblas_bfloat16fEviT5_lT_lS5_lS6_liPT6_PT4_
	.p2align	8
	.type	_ZL18rocblas_dot_kernelIlLb0ELi512ELi4ELb0EfPKPK16rocblas_bfloat16fEviT5_lT_lS5_lS6_liPT6_PT4_,@function
_ZL18rocblas_dot_kernelIlLb0ELi512ELi4ELb0EfPKPK16rocblas_bfloat16fEviT5_lT_lS5_lS6_liPT6_PT4_: ; @_ZL18rocblas_dot_kernelIlLb0ELi512ELi4ELb0EfPKPK16rocblas_bfloat16fEviT5_lT_lS5_lS6_liPT6_PT4_
; %bb.0:
	s_clause 0x2
	s_load_b32 s12, s[0:1], 0x60
	s_load_b32 s13, s[0:1], 0x0
	s_load_b128 s[4:7], s[0:1], 0x50
	v_lshl_or_b32 v1, s14, 9, v0
	v_mov_b32_e32 v5, 0
	s_mov_b32 s2, s15
	s_mov_b32 s3, 0
	s_mov_b32 s15, exec_lo
	s_waitcnt lgkmcnt(0)
	v_cmpx_gt_i32_e64 s13, v1
	s_cbranch_execz .LBB373_4
; %bb.1:
	s_clause 0x3
	s_load_b64 s[20:21], s[0:1], 0x8
	s_load_b128 s[16:19], s[0:1], 0x10
	s_load_b128 s[8:11], s[0:1], 0x30
	s_load_b64 s[0:1], s[0:1], 0x28
	s_lshl_b64 s[22:23], s[2:3], 3
	v_ashrrev_i32_e32 v4, 31, v1
	s_waitcnt lgkmcnt(0)
	s_add_u32 s20, s20, s22
	s_addc_u32 s21, s21, s23
	v_mul_lo_u32 v9, s19, v1
	s_load_b64 s[20:21], s[20:21], 0x0
	s_add_u32 s22, s0, s22
	s_addc_u32 s23, s1, s23
	v_mul_lo_u32 v10, s18, v4
	v_mad_u64_u32 v[2:3], null, s18, v1, 0
	s_load_b64 s[22:23], s[22:23], 0x0
	v_mul_lo_u32 v11, s11, v1
	v_mul_lo_u32 v4, s10, v4
	v_mad_u64_u32 v[7:8], null, s10, v1, 0
	s_lshl_b64 s[16:17], s[16:17], 1
	s_delay_alu instid0(VALU_DEP_4) | instskip(SKIP_1) | instid1(SALU_CYCLE_1)
	v_add3_u32 v3, v3, v10, v9
	s_lshl_b32 s1, s12, 9
	v_dual_mov_b32 v5, 0 :: v_dual_add_nc_u32 v6, s1, v1
	s_mul_hi_u32 s0, s18, s1
	s_delay_alu instid0(VALU_DEP_3)
	v_add3_u32 v8, v8, v4, v11
	v_lshlrev_b64 v[1:2], 1, v[2:3]
	s_mul_i32 s19, s19, s1
	s_waitcnt lgkmcnt(0)
	s_add_u32 s20, s20, s16
	s_addc_u32 s21, s21, s17
	s_ashr_i32 s28, s1, 31
	v_lshlrev_b64 v[3:4], 1, v[7:8]
	s_mul_i32 s16, s18, s28
	s_mul_i32 s24, s18, s1
	s_add_i32 s0, s0, s16
	s_lshl_b64 s[16:17], s[8:9], 1
	s_add_i32 s25, s0, s19
	v_add_co_u32 v1, vcc_lo, s20, v1
	s_lshl_b64 s[8:9], s[24:25], 1
	s_mul_hi_u32 s27, s10, s1
	s_mul_i32 s26, s10, s1
	s_mul_i32 s0, s10, s28
	s_add_u32 s10, s22, s16
	v_add_co_ci_u32_e32 v2, vcc_lo, s21, v2, vcc_lo
	s_addc_u32 s16, s23, s17
	v_add_co_u32 v3, vcc_lo, s10, v3
	s_mul_i32 s11, s11, s1
	s_add_i32 s0, s27, s0
	v_add_co_ci_u32_e32 v4, vcc_lo, s16, v4, vcc_lo
	s_add_i32 s27, s0, s11
	s_mov_b32 s16, s3
	s_lshl_b64 s[10:11], s[26:27], 1
	s_mov_b32 s17, s3
	.p2align	6
.LBB373_2:                              ; =>This Inner Loop Header: Depth=1
	global_load_u16 v7, v[1:2], off
	global_load_u16 v8, v[3:4], off
	v_add_co_u32 v1, s0, v1, s8
	s_delay_alu instid0(VALU_DEP_1)
	v_add_co_ci_u32_e64 v2, s0, s9, v2, s0
	s_add_i32 s18, s17, 1
	v_cmp_le_i32_e32 vcc_lo, s13, v6
	v_add_co_u32 v3, s0, v3, s10
	s_cmp_gt_u32 s17, 2
	v_add_co_ci_u32_e64 v4, s0, s11, v4, s0
	s_cselect_b32 s0, -1, 0
	s_mov_b32 s17, s18
	s_or_b32 s0, s0, vcc_lo
	s_delay_alu instid0(SALU_CYCLE_1) | instskip(NEXT) | instid1(SALU_CYCLE_1)
	s_and_b32 s0, exec_lo, s0
	s_or_b32 s16, s0, s16
	s_waitcnt vmcnt(1)
	v_lshlrev_b32_e32 v7, 16, v7
	s_waitcnt vmcnt(0)
	v_lshlrev_b32_e32 v8, 16, v8
	s_delay_alu instid0(VALU_DEP_1)
	v_dual_fmac_f32 v5, v8, v7 :: v_dual_add_nc_u32 v6, s1, v6
	s_and_not1_b32 exec_lo, exec_lo, s16
	s_cbranch_execnz .LBB373_2
; %bb.3:
	s_or_b32 exec_lo, exec_lo, s16
.LBB373_4:
	s_delay_alu instid0(SALU_CYCLE_1) | instskip(SKIP_2) | instid1(VALU_DEP_2)
	s_or_b32 exec_lo, exec_lo, s15
	v_and_b32_e32 v2, 31, v0
	v_cmp_gt_u32_e32 vcc_lo, 32, v0
	v_lshlrev_b32_e32 v1, 2, v2
	s_and_saveexec_b32 s0, vcc_lo
	s_cbranch_execz .LBB373_6
; %bb.5:
	v_mov_b32_e32 v3, 0
	ds_store_b32 v1, v3
.LBB373_6:
	s_or_b32 exec_lo, exec_lo, s0
	v_mbcnt_lo_u32_b32 v6, -1, 0
	s_mov_b32 s1, exec_lo
	s_waitcnt lgkmcnt(0)
	s_barrier
	buffer_gl0_inv
	v_cmp_gt_u32_e64 s0, 16, v6
	s_delay_alu instid0(VALU_DEP_1) | instskip(SKIP_1) | instid1(VALU_DEP_2)
	v_cndmask_b32_e64 v3, 0, 1, s0
	v_cmp_gt_u32_e64 s0, 24, v6
	v_lshlrev_b32_e32 v3, 4, v3
	s_delay_alu instid0(VALU_DEP_1) | instskip(SKIP_3) | instid1(VALU_DEP_2)
	v_add_lshl_u32 v3, v3, v6, 2
	ds_bpermute_b32 v4, v3, v5
	v_cndmask_b32_e64 v3, 0, 1, s0
	v_cmp_gt_u32_e64 s0, 28, v6
	v_lshlrev_b32_e32 v3, 3, v3
	s_delay_alu instid0(VALU_DEP_1)
	v_add_lshl_u32 v3, v3, v6, 2
	s_waitcnt lgkmcnt(0)
	v_add_f32_e32 v5, v5, v4
	v_cndmask_b32_e64 v4, 0, 1, s0
	v_cmp_gt_u32_e64 s0, 30, v6
	ds_bpermute_b32 v7, v3, v5
	s_waitcnt lgkmcnt(0)
	v_dual_add_f32 v7, v5, v7 :: v_dual_lshlrev_b32 v4, 2, v4
	s_delay_alu instid0(VALU_DEP_1) | instskip(SKIP_4) | instid1(VALU_DEP_1)
	v_add_lshl_u32 v4, v4, v6, 2
	v_cndmask_b32_e64 v5, 0, 1, s0
	v_cmp_ne_u32_e64 s0, 31, v6
	ds_bpermute_b32 v8, v4, v7
	v_lshlrev_b32_e32 v5, 1, v5
	v_add_lshl_u32 v5, v5, v6, 2
	v_add_co_ci_u32_e64 v6, s0, 0, v6, s0
	s_waitcnt lgkmcnt(0)
	s_delay_alu instid0(VALU_DEP_1)
	v_dual_add_f32 v7, v7, v8 :: v_dual_lshlrev_b32 v6, 2, v6
	ds_bpermute_b32 v8, v5, v7
	s_waitcnt lgkmcnt(0)
	v_add_f32_e32 v7, v7, v8
	ds_bpermute_b32 v8, v6, v7
	v_cmpx_eq_u32_e32 0, v2
	s_cbranch_execz .LBB373_8
; %bb.7:
	v_lshrrev_b32_e32 v2, 3, v0
	s_waitcnt lgkmcnt(0)
	s_delay_alu instid0(VALU_DEP_1)
	v_dual_add_f32 v7, v7, v8 :: v_dual_and_b32 v2, 60, v2
	ds_store_b32 v2, v7
.LBB373_8:
	s_or_b32 exec_lo, exec_lo, s1
	v_mov_b32_e32 v2, 0
	s_mov_b32 s1, exec_lo
	s_waitcnt lgkmcnt(0)
	s_barrier
	buffer_gl0_inv
	v_cmpx_gt_u32_e32 16, v0
	s_cbranch_execz .LBB373_10
; %bb.9:
	ds_load_b32 v2, v1
.LBB373_10:
	s_or_b32 exec_lo, exec_lo, s1
	s_and_saveexec_b32 s0, vcc_lo
	s_cbranch_execz .LBB373_12
; %bb.11:
	s_waitcnt lgkmcnt(0)
	ds_bpermute_b32 v1, v3, v2
	s_waitcnt lgkmcnt(0)
	v_add_f32_e32 v1, v2, v1
	ds_bpermute_b32 v2, v4, v1
	s_waitcnt lgkmcnt(0)
	v_add_f32_e32 v1, v1, v2
	;; [unrolled: 3-line block ×4, first 2 shown]
.LBB373_12:
	s_or_b32 exec_lo, exec_lo, s0
	s_delay_alu instid0(SALU_CYCLE_1)
	s_mov_b32 s0, exec_lo
	v_cmpx_eq_u32_e32 0, v0
	s_cbranch_execz .LBB373_18
; %bb.13:
	s_cmp_lg_u32 s12, 1
	s_cbranch_scc0 .LBB373_15
; %bb.14:
	s_mul_hi_u32 s1, s12, s2
	s_mul_i32 s0, s12, s2
	s_mov_b32 s15, 0
	s_lshl_b64 s[0:1], s[0:1], 2
	s_delay_alu instid0(SALU_CYCLE_1) | instskip(SKIP_2) | instid1(SALU_CYCLE_1)
	s_add_u32 s4, s4, s0
	s_addc_u32 s5, s5, s1
	s_lshl_b64 s[0:1], s[14:15], 2
	s_add_u32 s0, s4, s0
	s_addc_u32 s1, s5, s1
	s_cbranch_execz .LBB373_16
	s_branch .LBB373_17
.LBB373_15:
                                        ; implicit-def: $sgpr0_sgpr1
.LBB373_16:
	s_lshl_b64 s[0:1], s[2:3], 2
	s_delay_alu instid0(SALU_CYCLE_1)
	s_add_u32 s0, s6, s0
	s_addc_u32 s1, s7, s1
.LBB373_17:
	v_mov_b32_e32 v0, 0
	s_waitcnt lgkmcnt(0)
	global_store_b32 v0, v2, s[0:1]
.LBB373_18:
	s_nop 0
	s_sendmsg sendmsg(MSG_DEALLOC_VGPRS)
	s_endpgm
	.section	.rodata,"a",@progbits
	.p2align	6, 0x0
	.amdhsa_kernel _ZL18rocblas_dot_kernelIlLb0ELi512ELi4ELb0EfPKPK16rocblas_bfloat16fEviT5_lT_lS5_lS6_liPT6_PT4_
		.amdhsa_group_segment_fixed_size 128
		.amdhsa_private_segment_fixed_size 0
		.amdhsa_kernarg_size 352
		.amdhsa_user_sgpr_count 14
		.amdhsa_user_sgpr_dispatch_ptr 0
		.amdhsa_user_sgpr_queue_ptr 0
		.amdhsa_user_sgpr_kernarg_segment_ptr 1
		.amdhsa_user_sgpr_dispatch_id 0
		.amdhsa_user_sgpr_private_segment_size 0
		.amdhsa_wavefront_size32 1
		.amdhsa_uses_dynamic_stack 0
		.amdhsa_enable_private_segment 0
		.amdhsa_system_sgpr_workgroup_id_x 1
		.amdhsa_system_sgpr_workgroup_id_y 0
		.amdhsa_system_sgpr_workgroup_id_z 1
		.amdhsa_system_sgpr_workgroup_info 0
		.amdhsa_system_vgpr_workitem_id 0
		.amdhsa_next_free_vgpr 12
		.amdhsa_next_free_sgpr 29
		.amdhsa_reserve_vcc 1
		.amdhsa_float_round_mode_32 0
		.amdhsa_float_round_mode_16_64 0
		.amdhsa_float_denorm_mode_32 3
		.amdhsa_float_denorm_mode_16_64 3
		.amdhsa_dx10_clamp 1
		.amdhsa_ieee_mode 1
		.amdhsa_fp16_overflow 0
		.amdhsa_workgroup_processor_mode 1
		.amdhsa_memory_ordered 1
		.amdhsa_forward_progress 0
		.amdhsa_shared_vgpr_count 0
		.amdhsa_exception_fp_ieee_invalid_op 0
		.amdhsa_exception_fp_denorm_src 0
		.amdhsa_exception_fp_ieee_div_zero 0
		.amdhsa_exception_fp_ieee_overflow 0
		.amdhsa_exception_fp_ieee_underflow 0
		.amdhsa_exception_fp_ieee_inexact 0
		.amdhsa_exception_int_div_zero 0
	.end_amdhsa_kernel
	.section	.text._ZL18rocblas_dot_kernelIlLb0ELi512ELi4ELb0EfPKPK16rocblas_bfloat16fEviT5_lT_lS5_lS6_liPT6_PT4_,"axG",@progbits,_ZL18rocblas_dot_kernelIlLb0ELi512ELi4ELb0EfPKPK16rocblas_bfloat16fEviT5_lT_lS5_lS6_liPT6_PT4_,comdat
.Lfunc_end373:
	.size	_ZL18rocblas_dot_kernelIlLb0ELi512ELi4ELb0EfPKPK16rocblas_bfloat16fEviT5_lT_lS5_lS6_liPT6_PT4_, .Lfunc_end373-_ZL18rocblas_dot_kernelIlLb0ELi512ELi4ELb0EfPKPK16rocblas_bfloat16fEviT5_lT_lS5_lS6_liPT6_PT4_
                                        ; -- End function
	.section	.AMDGPU.csdata,"",@progbits
; Kernel info:
; codeLenInByte = 1072
; NumSgprs: 31
; NumVgprs: 12
; ScratchSize: 0
; MemoryBound: 0
; FloatMode: 240
; IeeeMode: 1
; LDSByteSize: 128 bytes/workgroup (compile time only)
; SGPRBlocks: 3
; VGPRBlocks: 1
; NumSGPRsForWavesPerEU: 31
; NumVGPRsForWavesPerEU: 12
; Occupancy: 16
; WaveLimiterHint : 0
; COMPUTE_PGM_RSRC2:SCRATCH_EN: 0
; COMPUTE_PGM_RSRC2:USER_SGPR: 14
; COMPUTE_PGM_RSRC2:TRAP_HANDLER: 0
; COMPUTE_PGM_RSRC2:TGID_X_EN: 1
; COMPUTE_PGM_RSRC2:TGID_Y_EN: 0
; COMPUTE_PGM_RSRC2:TGID_Z_EN: 1
; COMPUTE_PGM_RSRC2:TIDIG_COMP_CNT: 0
	.section	.text._ZL24rocblas_dot_kernel_magsqIlLb0ELi512ELi4ELb0EfPKPK16rocblas_bfloat16fEviT5_lT_liPT6_PT4_,"axG",@progbits,_ZL24rocblas_dot_kernel_magsqIlLb0ELi512ELi4ELb0EfPKPK16rocblas_bfloat16fEviT5_lT_liPT6_PT4_,comdat
	.globl	_ZL24rocblas_dot_kernel_magsqIlLb0ELi512ELi4ELb0EfPKPK16rocblas_bfloat16fEviT5_lT_liPT6_PT4_ ; -- Begin function _ZL24rocblas_dot_kernel_magsqIlLb0ELi512ELi4ELb0EfPKPK16rocblas_bfloat16fEviT5_lT_liPT6_PT4_
	.p2align	8
	.type	_ZL24rocblas_dot_kernel_magsqIlLb0ELi512ELi4ELb0EfPKPK16rocblas_bfloat16fEviT5_lT_liPT6_PT4_,@function
_ZL24rocblas_dot_kernel_magsqIlLb0ELi512ELi4ELb0EfPKPK16rocblas_bfloat16fEviT5_lT_liPT6_PT4_: ; @_ZL24rocblas_dot_kernel_magsqIlLb0ELi512ELi4ELb0EfPKPK16rocblas_bfloat16fEviT5_lT_liPT6_PT4_
; %bb.0:
	s_clause 0x2
	s_load_b32 s11, s[0:1], 0x0
	s_load_b128 s[4:7], s[0:1], 0x30
	s_load_b32 s10, s[0:1], 0x40
	v_lshl_or_b32 v1, s14, 9, v0
	v_mov_b32_e32 v3, 0
	s_mov_b32 s8, s15
	s_mov_b32 s9, 0
	s_mov_b32 s12, exec_lo
	s_waitcnt lgkmcnt(0)
	v_cmpx_gt_i32_e64 s11, v1
	s_cbranch_execz .LBB374_4
; %bb.1:
	s_clause 0x1
	s_load_b64 s[16:17], s[0:1], 0x8
	s_load_b128 s[0:3], s[0:1], 0x10
	s_lshl_b64 s[18:19], s[8:9], 3
	v_ashrrev_i32_e32 v2, 31, v1
	s_waitcnt lgkmcnt(0)
	s_add_u32 s16, s16, s18
	s_addc_u32 s17, s17, s19
	v_mul_lo_u32 v4, s3, v1
	s_load_b64 s[16:17], s[16:17], 0x0
	v_mul_lo_u32 v2, s2, v2
	v_mad_u64_u32 v[5:6], null, s2, v1, 0
	s_lshl_b32 s13, s10, 9
	v_mov_b32_e32 v3, 0
	s_lshl_b64 s[0:1], s[0:1], 1
	s_mul_hi_u32 s15, s2, s13
	s_mul_i32 s3, s3, s13
	s_delay_alu instid0(VALU_DEP_2) | instskip(SKIP_1) | instid1(VALU_DEP_2)
	v_add3_u32 v6, v6, v2, v4
	v_add_nc_u32_e32 v4, s13, v1
	v_lshlrev_b64 v[1:2], 1, v[5:6]
	s_waitcnt lgkmcnt(0)
	s_add_u32 s0, s16, s0
	s_addc_u32 s1, s17, s1
	s_ashr_i32 s16, s13, 31
	s_delay_alu instid0(VALU_DEP_1)
	v_add_co_u32 v1, vcc_lo, s0, v1
	s_mul_i32 s16, s2, s16
	v_add_co_ci_u32_e32 v2, vcc_lo, s1, v2, vcc_lo
	s_add_i32 s15, s15, s16
	s_mul_i32 s2, s2, s13
	s_add_i32 s3, s15, s3
	s_mov_b32 s1, s9
	s_lshl_b64 s[2:3], s[2:3], 1
	s_mov_b32 s15, s9
	.p2align	6
.LBB374_2:                              ; =>This Inner Loop Header: Depth=1
	global_load_u16 v5, v[1:2], off
	s_add_i32 s16, s15, 1
	v_cmp_le_i32_e32 vcc_lo, s11, v4
	v_add_co_u32 v1, s0, v1, s2
	s_cmp_gt_u32 s15, 2
	v_add_co_ci_u32_e64 v2, s0, s3, v2, s0
	s_cselect_b32 s0, -1, 0
	s_mov_b32 s15, s16
	s_or_b32 s0, s0, vcc_lo
	s_delay_alu instid0(SALU_CYCLE_1) | instskip(NEXT) | instid1(SALU_CYCLE_1)
	s_and_b32 s0, exec_lo, s0
	s_or_b32 s1, s0, s1
	s_waitcnt vmcnt(0)
	v_lshlrev_b32_e32 v5, 16, v5
	s_delay_alu instid0(VALU_DEP_1)
	v_dual_fmac_f32 v3, v5, v5 :: v_dual_add_nc_u32 v4, s13, v4
	s_and_not1_b32 exec_lo, exec_lo, s1
	s_cbranch_execnz .LBB374_2
; %bb.3:
	s_or_b32 exec_lo, exec_lo, s1
.LBB374_4:
	s_delay_alu instid0(SALU_CYCLE_1) | instskip(SKIP_2) | instid1(VALU_DEP_2)
	s_or_b32 exec_lo, exec_lo, s12
	v_and_b32_e32 v2, 31, v0
	v_cmp_gt_u32_e32 vcc_lo, 32, v0
	v_lshlrev_b32_e32 v1, 2, v2
	s_and_saveexec_b32 s0, vcc_lo
	s_cbranch_execz .LBB374_6
; %bb.5:
	v_mov_b32_e32 v4, 0
	ds_store_b32 v1, v4
.LBB374_6:
	s_or_b32 exec_lo, exec_lo, s0
	v_mbcnt_lo_u32_b32 v6, -1, 0
	s_mov_b32 s1, exec_lo
	s_waitcnt lgkmcnt(0)
	s_barrier
	buffer_gl0_inv
	v_cmp_gt_u32_e64 s0, 16, v6
	s_delay_alu instid0(VALU_DEP_1) | instskip(SKIP_1) | instid1(VALU_DEP_2)
	v_cndmask_b32_e64 v4, 0, 1, s0
	v_cmp_gt_u32_e64 s0, 24, v6
	v_lshlrev_b32_e32 v4, 4, v4
	s_delay_alu instid0(VALU_DEP_1) | instskip(SKIP_4) | instid1(VALU_DEP_2)
	v_add_lshl_u32 v4, v4, v6, 2
	ds_bpermute_b32 v5, v4, v3
	v_cndmask_b32_e64 v4, 0, 1, s0
	v_cmp_gt_u32_e64 s0, 28, v6
	s_waitcnt lgkmcnt(0)
	v_dual_add_f32 v5, v3, v5 :: v_dual_lshlrev_b32 v4, 3, v4
	s_delay_alu instid0(VALU_DEP_2) | instskip(SKIP_1) | instid1(VALU_DEP_3)
	v_cndmask_b32_e64 v3, 0, 1, s0
	v_cmp_gt_u32_e64 s0, 30, v6
	v_add_lshl_u32 v4, v4, v6, 2
	s_delay_alu instid0(VALU_DEP_3)
	v_lshlrev_b32_e32 v3, 2, v3
	ds_bpermute_b32 v7, v4, v5
	v_add_lshl_u32 v3, v3, v6, 2
	s_waitcnt lgkmcnt(0)
	v_add_f32_e32 v7, v5, v7
	v_cndmask_b32_e64 v5, 0, 1, s0
	v_cmp_ne_u32_e64 s0, 31, v6
	ds_bpermute_b32 v8, v3, v7
	v_lshlrev_b32_e32 v5, 1, v5
	s_delay_alu instid0(VALU_DEP_1) | instskip(SKIP_2) | instid1(VALU_DEP_1)
	v_add_lshl_u32 v5, v5, v6, 2
	v_add_co_ci_u32_e64 v6, s0, 0, v6, s0
	s_waitcnt lgkmcnt(0)
	v_dual_add_f32 v7, v7, v8 :: v_dual_lshlrev_b32 v6, 2, v6
	ds_bpermute_b32 v8, v5, v7
	s_waitcnt lgkmcnt(0)
	v_add_f32_e32 v7, v7, v8
	ds_bpermute_b32 v8, v6, v7
	v_cmpx_eq_u32_e32 0, v2
	s_cbranch_execz .LBB374_8
; %bb.7:
	v_lshrrev_b32_e32 v2, 3, v0
	s_waitcnt lgkmcnt(0)
	s_delay_alu instid0(VALU_DEP_1)
	v_dual_add_f32 v7, v7, v8 :: v_dual_and_b32 v2, 60, v2
	ds_store_b32 v2, v7
.LBB374_8:
	s_or_b32 exec_lo, exec_lo, s1
	v_mov_b32_e32 v2, 0
	s_mov_b32 s1, exec_lo
	s_waitcnt lgkmcnt(0)
	s_barrier
	buffer_gl0_inv
	v_cmpx_gt_u32_e32 16, v0
	s_cbranch_execz .LBB374_10
; %bb.9:
	ds_load_b32 v2, v1
.LBB374_10:
	s_or_b32 exec_lo, exec_lo, s1
	s_and_saveexec_b32 s0, vcc_lo
	s_cbranch_execz .LBB374_12
; %bb.11:
	s_waitcnt lgkmcnt(0)
	ds_bpermute_b32 v1, v4, v2
	s_waitcnt lgkmcnt(0)
	v_add_f32_e32 v1, v2, v1
	ds_bpermute_b32 v2, v3, v1
	s_waitcnt lgkmcnt(0)
	v_add_f32_e32 v1, v1, v2
	;; [unrolled: 3-line block ×4, first 2 shown]
.LBB374_12:
	s_or_b32 exec_lo, exec_lo, s0
	s_delay_alu instid0(SALU_CYCLE_1)
	s_mov_b32 s0, exec_lo
	v_cmpx_eq_u32_e32 0, v0
	s_cbranch_execz .LBB374_18
; %bb.13:
	s_cmp_lg_u32 s10, 1
	s_cbranch_scc0 .LBB374_15
; %bb.14:
	s_mul_hi_u32 s1, s10, s8
	s_mul_i32 s0, s10, s8
	s_mov_b32 s15, 0
	s_lshl_b64 s[0:1], s[0:1], 2
	s_delay_alu instid0(SALU_CYCLE_1) | instskip(SKIP_2) | instid1(SALU_CYCLE_1)
	s_add_u32 s2, s4, s0
	s_addc_u32 s3, s5, s1
	s_lshl_b64 s[0:1], s[14:15], 2
	s_add_u32 s0, s2, s0
	s_addc_u32 s1, s3, s1
	s_cbranch_execz .LBB374_16
	s_branch .LBB374_17
.LBB374_15:
                                        ; implicit-def: $sgpr0_sgpr1
.LBB374_16:
	s_lshl_b64 s[0:1], s[8:9], 2
	s_delay_alu instid0(SALU_CYCLE_1)
	s_add_u32 s0, s6, s0
	s_addc_u32 s1, s7, s1
.LBB374_17:
	v_mov_b32_e32 v0, 0
	s_waitcnt lgkmcnt(0)
	global_store_b32 v0, v2, s[0:1]
.LBB374_18:
	s_nop 0
	s_sendmsg sendmsg(MSG_DEALLOC_VGPRS)
	s_endpgm
	.section	.rodata,"a",@progbits
	.p2align	6, 0x0
	.amdhsa_kernel _ZL24rocblas_dot_kernel_magsqIlLb0ELi512ELi4ELb0EfPKPK16rocblas_bfloat16fEviT5_lT_liPT6_PT4_
		.amdhsa_group_segment_fixed_size 128
		.amdhsa_private_segment_fixed_size 0
		.amdhsa_kernarg_size 320
		.amdhsa_user_sgpr_count 14
		.amdhsa_user_sgpr_dispatch_ptr 0
		.amdhsa_user_sgpr_queue_ptr 0
		.amdhsa_user_sgpr_kernarg_segment_ptr 1
		.amdhsa_user_sgpr_dispatch_id 0
		.amdhsa_user_sgpr_private_segment_size 0
		.amdhsa_wavefront_size32 1
		.amdhsa_uses_dynamic_stack 0
		.amdhsa_enable_private_segment 0
		.amdhsa_system_sgpr_workgroup_id_x 1
		.amdhsa_system_sgpr_workgroup_id_y 0
		.amdhsa_system_sgpr_workgroup_id_z 1
		.amdhsa_system_sgpr_workgroup_info 0
		.amdhsa_system_vgpr_workitem_id 0
		.amdhsa_next_free_vgpr 9
		.amdhsa_next_free_sgpr 20
		.amdhsa_reserve_vcc 1
		.amdhsa_float_round_mode_32 0
		.amdhsa_float_round_mode_16_64 0
		.amdhsa_float_denorm_mode_32 3
		.amdhsa_float_denorm_mode_16_64 3
		.amdhsa_dx10_clamp 1
		.amdhsa_ieee_mode 1
		.amdhsa_fp16_overflow 0
		.amdhsa_workgroup_processor_mode 1
		.amdhsa_memory_ordered 1
		.amdhsa_forward_progress 0
		.amdhsa_shared_vgpr_count 0
		.amdhsa_exception_fp_ieee_invalid_op 0
		.amdhsa_exception_fp_denorm_src 0
		.amdhsa_exception_fp_ieee_div_zero 0
		.amdhsa_exception_fp_ieee_overflow 0
		.amdhsa_exception_fp_ieee_underflow 0
		.amdhsa_exception_fp_ieee_inexact 0
		.amdhsa_exception_int_div_zero 0
	.end_amdhsa_kernel
	.section	.text._ZL24rocblas_dot_kernel_magsqIlLb0ELi512ELi4ELb0EfPKPK16rocblas_bfloat16fEviT5_lT_liPT6_PT4_,"axG",@progbits,_ZL24rocblas_dot_kernel_magsqIlLb0ELi512ELi4ELb0EfPKPK16rocblas_bfloat16fEviT5_lT_liPT6_PT4_,comdat
.Lfunc_end374:
	.size	_ZL24rocblas_dot_kernel_magsqIlLb0ELi512ELi4ELb0EfPKPK16rocblas_bfloat16fEviT5_lT_liPT6_PT4_, .Lfunc_end374-_ZL24rocblas_dot_kernel_magsqIlLb0ELi512ELi4ELb0EfPKPK16rocblas_bfloat16fEviT5_lT_liPT6_PT4_
                                        ; -- End function
	.section	.AMDGPU.csdata,"",@progbits
; Kernel info:
; codeLenInByte = 912
; NumSgprs: 22
; NumVgprs: 9
; ScratchSize: 0
; MemoryBound: 0
; FloatMode: 240
; IeeeMode: 1
; LDSByteSize: 128 bytes/workgroup (compile time only)
; SGPRBlocks: 2
; VGPRBlocks: 1
; NumSGPRsForWavesPerEU: 22
; NumVGPRsForWavesPerEU: 9
; Occupancy: 16
; WaveLimiterHint : 0
; COMPUTE_PGM_RSRC2:SCRATCH_EN: 0
; COMPUTE_PGM_RSRC2:USER_SGPR: 14
; COMPUTE_PGM_RSRC2:TRAP_HANDLER: 0
; COMPUTE_PGM_RSRC2:TGID_X_EN: 1
; COMPUTE_PGM_RSRC2:TGID_Y_EN: 0
; COMPUTE_PGM_RSRC2:TGID_Z_EN: 1
; COMPUTE_PGM_RSRC2:TIDIG_COMP_CNT: 0
	.section	.text._ZL28rocblas_dot_batched_4_kernelIiLi32ELi4ELb0EfDF16_PKDF16_EviT5_lT_lS2_lS3_liPT4_,"axG",@progbits,_ZL28rocblas_dot_batched_4_kernelIiLi32ELi4ELb0EfDF16_PKDF16_EviT5_lT_lS2_lS3_liPT4_,comdat
	.globl	_ZL28rocblas_dot_batched_4_kernelIiLi32ELi4ELb0EfDF16_PKDF16_EviT5_lT_lS2_lS3_liPT4_ ; -- Begin function _ZL28rocblas_dot_batched_4_kernelIiLi32ELi4ELb0EfDF16_PKDF16_EviT5_lT_lS2_lS3_liPT4_
	.p2align	8
	.type	_ZL28rocblas_dot_batched_4_kernelIiLi32ELi4ELb0EfDF16_PKDF16_EviT5_lT_lS2_lS3_liPT4_,@function
_ZL28rocblas_dot_batched_4_kernelIiLi32ELi4ELb0EfDF16_PKDF16_EviT5_lT_lS2_lS3_liPT4_: ; @_ZL28rocblas_dot_batched_4_kernelIiLi32ELi4ELb0EfDF16_PKDF16_EviT5_lT_lS2_lS3_liPT4_
; %bb.0:
	s_load_b32 s2, s[0:1], 0x48
	v_bfe_u32 v1, v0, 10, 10
	s_delay_alu instid0(VALU_DEP_1) | instskip(SKIP_1) | instid1(VALU_DEP_1)
	v_lshl_add_u32 v1, s15, 2, v1
	s_waitcnt lgkmcnt(0)
	v_cmp_gt_u32_e32 vcc_lo, s2, v1
	s_and_saveexec_b32 s2, vcc_lo
	s_cbranch_execz .LBB375_7
; %bb.1:
	s_clause 0x1
	s_load_b32 s12, s[0:1], 0x0
	s_load_b64 s[2:3], s[0:1], 0x50
	v_mov_b32_e32 v2, 0
	v_and_b32_e32 v0, 0x3ff, v0
	s_mov_b32 s13, exec_lo
	s_delay_alu instid0(VALU_DEP_2) | instskip(SKIP_1) | instid1(VALU_DEP_2)
	v_mov_b32_e32 v7, v2
	s_waitcnt lgkmcnt(0)
	v_cmpx_gt_i32_e64 s12, v0
	s_cbranch_execz .LBB375_5
; %bb.2:
	s_clause 0x5
	s_load_b128 s[4:7], s[0:1], 0x20
	s_load_b64 s[14:15], s[0:1], 0x40
	s_load_b32 s16, s[0:1], 0x18
	s_load_b32 s18, s[0:1], 0x38
	s_load_b128 s[8:11], s[0:1], 0x8
	s_load_b64 s[0:1], s[0:1], 0x30
	s_waitcnt lgkmcnt(0)
	v_mad_u64_u32 v[3:4], null, s4, v1, 0
	v_mad_u64_u32 v[5:6], null, s14, v1, 0
	v_mad_i64_i32 v[8:9], null, s16, v0, 0
	s_ashr_i32 s17, s16, 31
	s_ashr_i32 s19, s18, 31
	s_delay_alu instid0(VALU_DEP_2) | instskip(SKIP_1) | instid1(VALU_DEP_3)
	v_mad_u64_u32 v[10:11], null, s5, v1, v[4:5]
	v_mov_b32_e32 v7, 0
	v_lshlrev_b64 v[8:9], 1, v[8:9]
	s_lshl_b64 s[4:5], s[10:11], 1
	s_delay_alu instid0(SALU_CYCLE_1) | instskip(SKIP_1) | instid1(VALU_DEP_3)
	s_add_u32 s8, s8, s4
	s_addc_u32 s9, s9, s5
	v_mov_b32_e32 v4, v10
	v_mad_u64_u32 v[11:12], null, s15, v1, v[6:7]
	v_mad_i64_i32 v[12:13], null, s18, v0, 0
	s_delay_alu instid0(VALU_DEP_3) | instskip(SKIP_3) | instid1(VALU_DEP_3)
	v_lshlrev_b64 v[3:4], 1, v[3:4]
	s_lshl_b64 s[0:1], s[0:1], 1
	s_lshl_b64 s[4:5], s[16:17], 6
	s_add_u32 s0, s6, s0
	v_mov_b32_e32 v6, v11
	s_addc_u32 s1, s7, s1
	s_delay_alu instid0(VALU_DEP_3) | instskip(SKIP_1) | instid1(VALU_DEP_3)
	v_lshlrev_b64 v[10:11], 1, v[12:13]
	v_add_co_u32 v3, vcc_lo, v8, v3
	v_lshlrev_b64 v[5:6], 1, v[5:6]
	v_add_co_ci_u32_e32 v4, vcc_lo, v9, v4, vcc_lo
	v_mov_b32_e32 v8, v0
	s_lshl_b64 s[6:7], s[18:19], 6
	s_delay_alu instid0(VALU_DEP_3) | instskip(NEXT) | instid1(VALU_DEP_4)
	v_add_co_u32 v5, vcc_lo, v10, v5
	v_add_co_ci_u32_e32 v6, vcc_lo, v11, v6, vcc_lo
	v_add_co_u32 v3, vcc_lo, s8, v3
	v_add_co_ci_u32_e32 v4, vcc_lo, s9, v4, vcc_lo
	s_delay_alu instid0(VALU_DEP_4) | instskip(NEXT) | instid1(VALU_DEP_4)
	v_add_co_u32 v5, vcc_lo, s0, v5
	v_add_co_ci_u32_e32 v6, vcc_lo, s1, v6, vcc_lo
	s_mov_b32 s1, 0
	.p2align	6
.LBB375_3:                              ; =>This Inner Loop Header: Depth=1
	global_load_u16 v9, v[3:4], off
	global_load_u16 v10, v[5:6], off
	v_add_nc_u32_e32 v8, 32, v8
	v_add_co_u32 v3, vcc_lo, v3, s4
	v_add_co_ci_u32_e32 v4, vcc_lo, s5, v4, vcc_lo
	v_add_co_u32 v5, vcc_lo, v5, s6
	s_delay_alu instid0(VALU_DEP_4) | instskip(SKIP_1) | instid1(VALU_DEP_2)
	v_cmp_le_i32_e64 s0, s12, v8
	v_add_co_ci_u32_e32 v6, vcc_lo, s7, v6, vcc_lo
	s_or_b32 s1, s0, s1
	s_waitcnt vmcnt(0)
	v_fma_mix_f32 v7, v9, v10, v7 op_sel_hi:[1,1,0]
	s_and_not1_b32 exec_lo, exec_lo, s1
	s_cbranch_execnz .LBB375_3
; %bb.4:
	s_or_b32 exec_lo, exec_lo, s1
.LBB375_5:
	s_delay_alu instid0(SALU_CYCLE_1)
	s_or_b32 exec_lo, exec_lo, s13
	v_mbcnt_lo_u32_b32 v3, -1, 0
	s_barrier
	buffer_gl0_inv
	v_cmp_gt_u32_e32 vcc_lo, 16, v3
	v_cndmask_b32_e64 v4, 0, 1, vcc_lo
	v_cmp_gt_u32_e32 vcc_lo, 24, v3
	s_delay_alu instid0(VALU_DEP_2) | instskip(SKIP_2) | instid1(VALU_DEP_3)
	v_lshlrev_b32_e32 v4, 4, v4
	v_cndmask_b32_e64 v5, 0, 1, vcc_lo
	v_cmp_gt_u32_e32 vcc_lo, 28, v3
	v_add_lshl_u32 v4, v4, v3, 2
	v_cndmask_b32_e64 v6, 0, 1, vcc_lo
	v_cmp_gt_u32_e32 vcc_lo, 30, v3
	ds_bpermute_b32 v4, v4, v7
	v_lshlrev_b32_e32 v5, 3, v5
	v_lshlrev_b32_e32 v6, 2, v6
	s_delay_alu instid0(VALU_DEP_1)
	v_add_lshl_u32 v6, v6, v3, 2
	s_waitcnt lgkmcnt(0)
	v_add_f32_e32 v4, v7, v4
	v_add_lshl_u32 v5, v5, v3, 2
	ds_bpermute_b32 v5, v5, v4
	s_waitcnt lgkmcnt(0)
	v_add_f32_e32 v4, v4, v5
	ds_bpermute_b32 v5, v6, v4
	v_cndmask_b32_e64 v6, 0, 1, vcc_lo
	v_cmp_ne_u32_e32 vcc_lo, 31, v3
	s_delay_alu instid0(VALU_DEP_2) | instskip(NEXT) | instid1(VALU_DEP_1)
	v_lshlrev_b32_e32 v6, 1, v6
	v_add_lshl_u32 v6, v6, v3, 2
	s_waitcnt lgkmcnt(0)
	v_add_f32_e32 v4, v4, v5
	ds_bpermute_b32 v5, v6, v4
	v_add_co_ci_u32_e32 v6, vcc_lo, 0, v3, vcc_lo
	v_cmp_eq_u32_e32 vcc_lo, 0, v0
	s_waitcnt lgkmcnt(0)
	s_delay_alu instid0(VALU_DEP_2)
	v_dual_add_f32 v3, v4, v5 :: v_dual_lshlrev_b32 v4, 2, v6
	ds_bpermute_b32 v4, v4, v3
	s_and_b32 exec_lo, exec_lo, vcc_lo
	s_cbranch_execz .LBB375_7
; %bb.6:
	v_lshlrev_b64 v[0:1], 1, v[1:2]
	s_waitcnt lgkmcnt(0)
	v_add_f32_e32 v2, v3, v4
	s_delay_alu instid0(VALU_DEP_1) | instskip(NEXT) | instid1(VALU_DEP_3)
	v_cvt_f16_f32_e32 v2, v2
	v_add_co_u32 v0, vcc_lo, s2, v0
	s_delay_alu instid0(VALU_DEP_4)
	v_add_co_ci_u32_e32 v1, vcc_lo, s3, v1, vcc_lo
	global_store_b16 v[0:1], v2, off
.LBB375_7:
	s_nop 0
	s_sendmsg sendmsg(MSG_DEALLOC_VGPRS)
	s_endpgm
	.section	.rodata,"a",@progbits
	.p2align	6, 0x0
	.amdhsa_kernel _ZL28rocblas_dot_batched_4_kernelIiLi32ELi4ELb0EfDF16_PKDF16_EviT5_lT_lS2_lS3_liPT4_
		.amdhsa_group_segment_fixed_size 0
		.amdhsa_private_segment_fixed_size 0
		.amdhsa_kernarg_size 88
		.amdhsa_user_sgpr_count 15
		.amdhsa_user_sgpr_dispatch_ptr 0
		.amdhsa_user_sgpr_queue_ptr 0
		.amdhsa_user_sgpr_kernarg_segment_ptr 1
		.amdhsa_user_sgpr_dispatch_id 0
		.amdhsa_user_sgpr_private_segment_size 0
		.amdhsa_wavefront_size32 1
		.amdhsa_uses_dynamic_stack 0
		.amdhsa_enable_private_segment 0
		.amdhsa_system_sgpr_workgroup_id_x 1
		.amdhsa_system_sgpr_workgroup_id_y 0
		.amdhsa_system_sgpr_workgroup_id_z 0
		.amdhsa_system_sgpr_workgroup_info 0
		.amdhsa_system_vgpr_workitem_id 1
		.amdhsa_next_free_vgpr 14
		.amdhsa_next_free_sgpr 20
		.amdhsa_reserve_vcc 1
		.amdhsa_float_round_mode_32 0
		.amdhsa_float_round_mode_16_64 0
		.amdhsa_float_denorm_mode_32 3
		.amdhsa_float_denorm_mode_16_64 3
		.amdhsa_dx10_clamp 1
		.amdhsa_ieee_mode 1
		.amdhsa_fp16_overflow 0
		.amdhsa_workgroup_processor_mode 1
		.amdhsa_memory_ordered 1
		.amdhsa_forward_progress 0
		.amdhsa_shared_vgpr_count 0
		.amdhsa_exception_fp_ieee_invalid_op 0
		.amdhsa_exception_fp_denorm_src 0
		.amdhsa_exception_fp_ieee_div_zero 0
		.amdhsa_exception_fp_ieee_overflow 0
		.amdhsa_exception_fp_ieee_underflow 0
		.amdhsa_exception_fp_ieee_inexact 0
		.amdhsa_exception_int_div_zero 0
	.end_amdhsa_kernel
	.section	.text._ZL28rocblas_dot_batched_4_kernelIiLi32ELi4ELb0EfDF16_PKDF16_EviT5_lT_lS2_lS3_liPT4_,"axG",@progbits,_ZL28rocblas_dot_batched_4_kernelIiLi32ELi4ELb0EfDF16_PKDF16_EviT5_lT_lS2_lS3_liPT4_,comdat
.Lfunc_end375:
	.size	_ZL28rocblas_dot_batched_4_kernelIiLi32ELi4ELb0EfDF16_PKDF16_EviT5_lT_lS2_lS3_liPT4_, .Lfunc_end375-_ZL28rocblas_dot_batched_4_kernelIiLi32ELi4ELb0EfDF16_PKDF16_EviT5_lT_lS2_lS3_liPT4_
                                        ; -- End function
	.section	.AMDGPU.csdata,"",@progbits
; Kernel info:
; codeLenInByte = 752
; NumSgprs: 22
; NumVgprs: 14
; ScratchSize: 0
; MemoryBound: 0
; FloatMode: 240
; IeeeMode: 1
; LDSByteSize: 0 bytes/workgroup (compile time only)
; SGPRBlocks: 2
; VGPRBlocks: 1
; NumSGPRsForWavesPerEU: 22
; NumVGPRsForWavesPerEU: 14
; Occupancy: 16
; WaveLimiterHint : 0
; COMPUTE_PGM_RSRC2:SCRATCH_EN: 0
; COMPUTE_PGM_RSRC2:USER_SGPR: 15
; COMPUTE_PGM_RSRC2:TRAP_HANDLER: 0
; COMPUTE_PGM_RSRC2:TGID_X_EN: 1
; COMPUTE_PGM_RSRC2:TGID_Y_EN: 0
; COMPUTE_PGM_RSRC2:TGID_Z_EN: 0
; COMPUTE_PGM_RSRC2:TIDIG_COMP_CNT: 1
	.section	.text._ZL28rocblas_dot_batched_4_kernelIiLi64ELi4ELb0EfDF16_PKDF16_EviT5_lT_lS2_lS3_liPT4_,"axG",@progbits,_ZL28rocblas_dot_batched_4_kernelIiLi64ELi4ELb0EfDF16_PKDF16_EviT5_lT_lS2_lS3_liPT4_,comdat
	.globl	_ZL28rocblas_dot_batched_4_kernelIiLi64ELi4ELb0EfDF16_PKDF16_EviT5_lT_lS2_lS3_liPT4_ ; -- Begin function _ZL28rocblas_dot_batched_4_kernelIiLi64ELi4ELb0EfDF16_PKDF16_EviT5_lT_lS2_lS3_liPT4_
	.p2align	8
	.type	_ZL28rocblas_dot_batched_4_kernelIiLi64ELi4ELb0EfDF16_PKDF16_EviT5_lT_lS2_lS3_liPT4_,@function
_ZL28rocblas_dot_batched_4_kernelIiLi64ELi4ELb0EfDF16_PKDF16_EviT5_lT_lS2_lS3_liPT4_: ; @_ZL28rocblas_dot_batched_4_kernelIiLi64ELi4ELb0EfDF16_PKDF16_EviT5_lT_lS2_lS3_liPT4_
; %bb.0:
	s_load_b32 s2, s[0:1], 0x48
	v_bfe_u32 v1, v0, 10, 10
	s_delay_alu instid0(VALU_DEP_1) | instskip(SKIP_1) | instid1(VALU_DEP_1)
	v_lshl_add_u32 v1, s15, 2, v1
	s_waitcnt lgkmcnt(0)
	v_cmp_gt_u32_e32 vcc_lo, s2, v1
	s_and_saveexec_b32 s2, vcc_lo
	s_cbranch_execz .LBB376_7
; %bb.1:
	s_clause 0x1
	s_load_b32 s12, s[0:1], 0x0
	s_load_b64 s[2:3], s[0:1], 0x50
	v_mov_b32_e32 v2, 0
	v_and_b32_e32 v0, 0x3ff, v0
	s_mov_b32 s13, exec_lo
	s_delay_alu instid0(VALU_DEP_2) | instskip(SKIP_1) | instid1(VALU_DEP_2)
	v_mov_b32_e32 v7, v2
	s_waitcnt lgkmcnt(0)
	v_cmpx_gt_i32_e64 s12, v0
	s_cbranch_execz .LBB376_5
; %bb.2:
	s_clause 0x5
	s_load_b128 s[4:7], s[0:1], 0x20
	s_load_b64 s[14:15], s[0:1], 0x40
	s_load_b32 s16, s[0:1], 0x18
	s_load_b32 s18, s[0:1], 0x38
	s_load_b128 s[8:11], s[0:1], 0x8
	s_load_b64 s[0:1], s[0:1], 0x30
	s_waitcnt lgkmcnt(0)
	v_mad_u64_u32 v[3:4], null, s4, v1, 0
	v_mad_u64_u32 v[5:6], null, s14, v1, 0
	v_mad_i64_i32 v[8:9], null, s16, v0, 0
	s_ashr_i32 s17, s16, 31
	s_ashr_i32 s19, s18, 31
	s_delay_alu instid0(VALU_DEP_2) | instskip(SKIP_1) | instid1(VALU_DEP_3)
	v_mad_u64_u32 v[10:11], null, s5, v1, v[4:5]
	v_mov_b32_e32 v7, 0
	v_lshlrev_b64 v[8:9], 1, v[8:9]
	s_lshl_b64 s[4:5], s[10:11], 1
	s_delay_alu instid0(SALU_CYCLE_1) | instskip(SKIP_1) | instid1(VALU_DEP_3)
	s_add_u32 s8, s8, s4
	s_addc_u32 s9, s9, s5
	v_mov_b32_e32 v4, v10
	v_mad_u64_u32 v[11:12], null, s15, v1, v[6:7]
	v_mad_i64_i32 v[12:13], null, s18, v0, 0
	s_delay_alu instid0(VALU_DEP_3) | instskip(SKIP_3) | instid1(VALU_DEP_3)
	v_lshlrev_b64 v[3:4], 1, v[3:4]
	s_lshl_b64 s[0:1], s[0:1], 1
	s_lshl_b64 s[4:5], s[16:17], 7
	s_add_u32 s0, s6, s0
	v_mov_b32_e32 v6, v11
	s_addc_u32 s1, s7, s1
	s_delay_alu instid0(VALU_DEP_3) | instskip(SKIP_1) | instid1(VALU_DEP_3)
	v_lshlrev_b64 v[10:11], 1, v[12:13]
	v_add_co_u32 v3, vcc_lo, v8, v3
	v_lshlrev_b64 v[5:6], 1, v[5:6]
	v_add_co_ci_u32_e32 v4, vcc_lo, v9, v4, vcc_lo
	v_mov_b32_e32 v8, v0
	s_lshl_b64 s[6:7], s[18:19], 7
	s_delay_alu instid0(VALU_DEP_3) | instskip(NEXT) | instid1(VALU_DEP_4)
	v_add_co_u32 v5, vcc_lo, v10, v5
	v_add_co_ci_u32_e32 v6, vcc_lo, v11, v6, vcc_lo
	v_add_co_u32 v3, vcc_lo, s8, v3
	v_add_co_ci_u32_e32 v4, vcc_lo, s9, v4, vcc_lo
	s_delay_alu instid0(VALU_DEP_4) | instskip(NEXT) | instid1(VALU_DEP_4)
	v_add_co_u32 v5, vcc_lo, s0, v5
	v_add_co_ci_u32_e32 v6, vcc_lo, s1, v6, vcc_lo
	s_mov_b32 s1, 0
	.p2align	6
.LBB376_3:                              ; =>This Inner Loop Header: Depth=1
	global_load_u16 v9, v[3:4], off
	global_load_u16 v10, v[5:6], off
	v_add_nc_u32_e32 v8, 64, v8
	v_add_co_u32 v3, vcc_lo, v3, s4
	v_add_co_ci_u32_e32 v4, vcc_lo, s5, v4, vcc_lo
	v_add_co_u32 v5, vcc_lo, v5, s6
	s_delay_alu instid0(VALU_DEP_4) | instskip(SKIP_1) | instid1(VALU_DEP_2)
	v_cmp_le_i32_e64 s0, s12, v8
	v_add_co_ci_u32_e32 v6, vcc_lo, s7, v6, vcc_lo
	s_or_b32 s1, s0, s1
	s_waitcnt vmcnt(0)
	v_fma_mix_f32 v7, v9, v10, v7 op_sel_hi:[1,1,0]
	s_and_not1_b32 exec_lo, exec_lo, s1
	s_cbranch_execnz .LBB376_3
; %bb.4:
	s_or_b32 exec_lo, exec_lo, s1
.LBB376_5:
	s_delay_alu instid0(SALU_CYCLE_1)
	s_or_b32 exec_lo, exec_lo, s13
	v_mbcnt_lo_u32_b32 v3, -1, 0
	s_barrier
	buffer_gl0_inv
	v_lshlrev_b32_e32 v4, 2, v3
	v_cmp_gt_u32_e32 vcc_lo, 16, v3
	ds_bpermute_b32 v4, v4, v7
	v_cndmask_b32_e64 v5, 0, 1, vcc_lo
	v_cmp_gt_u32_e32 vcc_lo, 24, v3
	s_delay_alu instid0(VALU_DEP_2) | instskip(SKIP_2) | instid1(VALU_DEP_2)
	v_lshlrev_b32_e32 v5, 4, v5
	v_cndmask_b32_e64 v6, 0, 1, vcc_lo
	v_cmp_gt_u32_e32 vcc_lo, 28, v3
	v_lshlrev_b32_e32 v6, 3, v6
	s_delay_alu instid0(VALU_DEP_1)
	v_add_lshl_u32 v6, v6, v3, 2
	s_waitcnt lgkmcnt(0)
	v_add_f32_e32 v4, v7, v4
	v_add_lshl_u32 v5, v5, v3, 2
	ds_bpermute_b32 v5, v5, v4
	s_waitcnt lgkmcnt(0)
	v_add_f32_e32 v4, v4, v5
	ds_bpermute_b32 v5, v6, v4
	v_cndmask_b32_e64 v6, 0, 1, vcc_lo
	v_cmp_gt_u32_e32 vcc_lo, 30, v3
	s_delay_alu instid0(VALU_DEP_2) | instskip(NEXT) | instid1(VALU_DEP_1)
	v_lshlrev_b32_e32 v6, 2, v6
	v_add_lshl_u32 v6, v6, v3, 2
	s_waitcnt lgkmcnt(0)
	v_add_f32_e32 v4, v4, v5
	ds_bpermute_b32 v5, v6, v4
	v_cndmask_b32_e64 v6, 0, 1, vcc_lo
	v_cmp_ne_u32_e32 vcc_lo, 31, v3
	s_delay_alu instid0(VALU_DEP_2) | instskip(NEXT) | instid1(VALU_DEP_1)
	v_lshlrev_b32_e32 v6, 1, v6
	v_add_lshl_u32 v6, v6, v3, 2
	s_waitcnt lgkmcnt(0)
	v_add_f32_e32 v4, v4, v5
	ds_bpermute_b32 v5, v6, v4
	v_add_co_ci_u32_e32 v6, vcc_lo, 0, v3, vcc_lo
	v_cmp_eq_u32_e32 vcc_lo, 0, v0
	s_waitcnt lgkmcnt(0)
	s_delay_alu instid0(VALU_DEP_2)
	v_dual_add_f32 v3, v4, v5 :: v_dual_lshlrev_b32 v4, 2, v6
	ds_bpermute_b32 v4, v4, v3
	s_and_b32 exec_lo, exec_lo, vcc_lo
	s_cbranch_execz .LBB376_7
; %bb.6:
	v_lshlrev_b64 v[0:1], 1, v[1:2]
	s_waitcnt lgkmcnt(0)
	v_add_f32_e32 v2, v3, v4
	s_delay_alu instid0(VALU_DEP_1) | instskip(NEXT) | instid1(VALU_DEP_3)
	v_cvt_f16_f32_e32 v2, v2
	v_add_co_u32 v0, vcc_lo, s2, v0
	s_delay_alu instid0(VALU_DEP_4)
	v_add_co_ci_u32_e32 v1, vcc_lo, s3, v1, vcc_lo
	global_store_b16 v[0:1], v2, off
.LBB376_7:
	s_nop 0
	s_sendmsg sendmsg(MSG_DEALLOC_VGPRS)
	s_endpgm
	.section	.rodata,"a",@progbits
	.p2align	6, 0x0
	.amdhsa_kernel _ZL28rocblas_dot_batched_4_kernelIiLi64ELi4ELb0EfDF16_PKDF16_EviT5_lT_lS2_lS3_liPT4_
		.amdhsa_group_segment_fixed_size 0
		.amdhsa_private_segment_fixed_size 0
		.amdhsa_kernarg_size 88
		.amdhsa_user_sgpr_count 15
		.amdhsa_user_sgpr_dispatch_ptr 0
		.amdhsa_user_sgpr_queue_ptr 0
		.amdhsa_user_sgpr_kernarg_segment_ptr 1
		.amdhsa_user_sgpr_dispatch_id 0
		.amdhsa_user_sgpr_private_segment_size 0
		.amdhsa_wavefront_size32 1
		.amdhsa_uses_dynamic_stack 0
		.amdhsa_enable_private_segment 0
		.amdhsa_system_sgpr_workgroup_id_x 1
		.amdhsa_system_sgpr_workgroup_id_y 0
		.amdhsa_system_sgpr_workgroup_id_z 0
		.amdhsa_system_sgpr_workgroup_info 0
		.amdhsa_system_vgpr_workitem_id 1
		.amdhsa_next_free_vgpr 14
		.amdhsa_next_free_sgpr 20
		.amdhsa_reserve_vcc 1
		.amdhsa_float_round_mode_32 0
		.amdhsa_float_round_mode_16_64 0
		.amdhsa_float_denorm_mode_32 3
		.amdhsa_float_denorm_mode_16_64 3
		.amdhsa_dx10_clamp 1
		.amdhsa_ieee_mode 1
		.amdhsa_fp16_overflow 0
		.amdhsa_workgroup_processor_mode 1
		.amdhsa_memory_ordered 1
		.amdhsa_forward_progress 0
		.amdhsa_shared_vgpr_count 0
		.amdhsa_exception_fp_ieee_invalid_op 0
		.amdhsa_exception_fp_denorm_src 0
		.amdhsa_exception_fp_ieee_div_zero 0
		.amdhsa_exception_fp_ieee_overflow 0
		.amdhsa_exception_fp_ieee_underflow 0
		.amdhsa_exception_fp_ieee_inexact 0
		.amdhsa_exception_int_div_zero 0
	.end_amdhsa_kernel
	.section	.text._ZL28rocblas_dot_batched_4_kernelIiLi64ELi4ELb0EfDF16_PKDF16_EviT5_lT_lS2_lS3_liPT4_,"axG",@progbits,_ZL28rocblas_dot_batched_4_kernelIiLi64ELi4ELb0EfDF16_PKDF16_EviT5_lT_lS2_lS3_liPT4_,comdat
.Lfunc_end376:
	.size	_ZL28rocblas_dot_batched_4_kernelIiLi64ELi4ELb0EfDF16_PKDF16_EviT5_lT_lS2_lS3_liPT4_, .Lfunc_end376-_ZL28rocblas_dot_batched_4_kernelIiLi64ELi4ELb0EfDF16_PKDF16_EviT5_lT_lS2_lS3_liPT4_
                                        ; -- End function
	.section	.AMDGPU.csdata,"",@progbits
; Kernel info:
; codeLenInByte = 776
; NumSgprs: 22
; NumVgprs: 14
; ScratchSize: 0
; MemoryBound: 0
; FloatMode: 240
; IeeeMode: 1
; LDSByteSize: 0 bytes/workgroup (compile time only)
; SGPRBlocks: 2
; VGPRBlocks: 1
; NumSGPRsForWavesPerEU: 22
; NumVGPRsForWavesPerEU: 14
; Occupancy: 16
; WaveLimiterHint : 0
; COMPUTE_PGM_RSRC2:SCRATCH_EN: 0
; COMPUTE_PGM_RSRC2:USER_SGPR: 15
; COMPUTE_PGM_RSRC2:TRAP_HANDLER: 0
; COMPUTE_PGM_RSRC2:TGID_X_EN: 1
; COMPUTE_PGM_RSRC2:TGID_Y_EN: 0
; COMPUTE_PGM_RSRC2:TGID_Z_EN: 0
; COMPUTE_PGM_RSRC2:TIDIG_COMP_CNT: 1
	.section	.text._ZL26rocblas_dot_kernel_inc1by2ILb1ELi1024ELi32ELb0EDF16_PKDF16_fEviT4_llS2_lliPT5_PT3_,"axG",@progbits,_ZL26rocblas_dot_kernel_inc1by2ILb1ELi1024ELi32ELb0EDF16_PKDF16_fEviT4_llS2_lliPT5_PT3_,comdat
	.globl	_ZL26rocblas_dot_kernel_inc1by2ILb1ELi1024ELi32ELb0EDF16_PKDF16_fEviT4_llS2_lliPT5_PT3_ ; -- Begin function _ZL26rocblas_dot_kernel_inc1by2ILb1ELi1024ELi32ELb0EDF16_PKDF16_fEviT4_llS2_lliPT5_PT3_
	.p2align	8
	.type	_ZL26rocblas_dot_kernel_inc1by2ILb1ELi1024ELi32ELb0EDF16_PKDF16_fEviT4_llS2_lliPT5_PT3_,@function
_ZL26rocblas_dot_kernel_inc1by2ILb1ELi1024ELi32ELb0EDF16_PKDF16_fEviT4_llS2_lliPT5_PT3_: ; @_ZL26rocblas_dot_kernel_inc1by2ILb1ELi1024ELi32ELb0EDF16_PKDF16_fEviT4_llS2_lliPT5_PT3_
; %bb.0:
	s_mov_b32 s2, s15
	s_clause 0x5
	s_load_b128 s[8:11], s[0:1], 0x10
	s_load_b128 s[4:7], s[0:1], 0x28
	s_load_b32 s17, s[0:1], 0x0
	s_load_b64 s[12:13], s[0:1], 0x48
	s_load_b64 s[14:15], s[0:1], 0x8
	;; [unrolled: 1-line block ×3, first 2 shown]
	v_dual_mov_b32 v5, 0 :: v_dual_lshlrev_b32 v6, 1, v0
	s_mov_b32 s3, 0
	s_waitcnt lgkmcnt(0)
	s_mul_i32 s11, s2, s11
	s_mul_hi_u32 s18, s2, s10
	s_mul_i32 s7, s2, s7
	s_mul_hi_u32 s19, s2, s6
	s_add_i32 s16, s17, -1
	s_add_i32 s11, s18, s11
	s_mul_i32 s10, s2, s10
	s_add_i32 s7, s19, s7
	s_mul_i32 s6, s2, s6
	s_mov_b32 s18, exec_lo
	v_cmpx_gt_i32_e64 s16, v6
	s_cbranch_execz .LBB377_4
; %bb.1:
	s_lshl_b64 s[22:23], s[4:5], 1
	s_lshl_b64 s[20:21], s[6:7], 1
	v_lshlrev_b32_e32 v3, 2, v0
	s_add_u32 s19, s0, s22
	s_addc_u32 s22, s1, s23
	s_add_u32 s19, s19, s20
	s_addc_u32 s20, s22, s21
	v_add_co_u32 v1, s19, s19, v3
	s_delay_alu instid0(VALU_DEP_1)
	v_add_co_ci_u32_e64 v2, null, s20, 0, s19
	s_lshl_b64 s[20:21], s[8:9], 1
	s_lshl_b64 s[22:23], s[10:11], 1
	s_add_u32 s19, s14, s20
	s_addc_u32 s20, s15, s21
	s_add_u32 s19, s19, s22
	s_addc_u32 s20, s20, s23
	v_add_co_u32 v3, s19, s19, v3
	v_mov_b32_e32 v5, 0
	v_add_co_ci_u32_e64 v4, null, s20, 0, s19
	s_mov_b32 s19, s3
	s_mov_b32 s20, s3
	.p2align	6
.LBB377_2:                              ; =>This Inner Loop Header: Depth=1
	global_load_b32 v7, v[1:2], off
	global_load_b32 v8, v[3:4], off
	v_add_co_u32 v1, vcc_lo, 0x1000, v1
	v_add_nc_u32_e32 v6, 0x800, v6
	v_add_co_ci_u32_e32 v2, vcc_lo, 0, v2, vcc_lo
	v_add_co_u32 v3, vcc_lo, 0x1000, v3
	v_add_co_ci_u32_e32 v4, vcc_lo, 0, v4, vcc_lo
	s_add_i32 s21, s20, 1
	s_cmp_gt_u32 s20, 30
	s_cselect_b32 s20, -1, 0
	s_waitcnt vmcnt(0)
	v_dot2acc_f32_f16 v5, v7, v8
	v_cmp_le_i32_e32 vcc_lo, s16, v6
	s_or_b32 s20, s20, vcc_lo
	s_delay_alu instid0(SALU_CYCLE_1) | instskip(NEXT) | instid1(SALU_CYCLE_1)
	s_and_b32 s20, exec_lo, s20
	s_or_b32 s19, s20, s19
	s_mov_b32 s20, s21
	s_and_not1_b32 exec_lo, exec_lo, s19
	s_cbranch_execnz .LBB377_2
; %bb.3:
	s_or_b32 exec_lo, exec_lo, s19
.LBB377_4:
	s_delay_alu instid0(SALU_CYCLE_1) | instskip(SKIP_3) | instid1(SALU_CYCLE_1)
	s_or_b32 exec_lo, exec_lo, s18
	v_cmp_eq_u32_e32 vcc_lo, s16, v6
	s_bitcmp1_b32 s17, 0
	s_cselect_b32 s17, -1, 0
	s_and_b32 s17, s17, vcc_lo
	s_delay_alu instid0(SALU_CYCLE_1)
	s_and_saveexec_b32 s18, s17
	s_cbranch_execz .LBB377_6
; %bb.5:
	s_lshl_b64 s[10:11], s[10:11], 1
	s_mov_b32 s17, 0
	s_add_u32 s10, s14, s10
	s_addc_u32 s11, s15, s11
	s_lshl_b64 s[8:9], s[8:9], 1
	v_mov_b32_e32 v1, 0
	s_add_u32 s8, s10, s8
	s_addc_u32 s9, s11, s9
	s_lshl_b64 s[6:7], s[6:7], 1
	s_delay_alu instid0(SALU_CYCLE_1) | instskip(SKIP_2) | instid1(SALU_CYCLE_1)
	s_add_u32 s6, s0, s6
	s_addc_u32 s7, s1, s7
	s_lshl_b64 s[0:1], s[4:5], 1
	s_add_u32 s4, s6, s0
	s_addc_u32 s5, s7, s1
	s_lshl_b64 s[0:1], s[16:17], 1
	s_delay_alu instid0(SALU_CYCLE_1)
	s_add_u32 s4, s4, s0
	s_addc_u32 s5, s5, s1
	s_add_u32 s0, s8, s0
	s_addc_u32 s1, s9, s1
	s_clause 0x1
	global_load_u16 v2, v1, s[4:5]
	global_load_u16 v1, v1, s[0:1]
	s_waitcnt vmcnt(0)
	v_fma_mix_f32 v5, v2, v1, v5 op_sel_hi:[1,1,0]
.LBB377_6:
	s_or_b32 exec_lo, exec_lo, s18
	v_and_b32_e32 v7, 31, v0
	v_cmp_gt_u32_e32 vcc_lo, 32, v0
	s_delay_alu instid0(VALU_DEP_2)
	v_lshlrev_b32_e32 v1, 2, v7
	s_and_saveexec_b32 s0, vcc_lo
	s_cbranch_execz .LBB377_8
; %bb.7:
	v_mov_b32_e32 v2, 0
	ds_store_b32 v1, v2
.LBB377_8:
	s_or_b32 exec_lo, exec_lo, s0
	v_mbcnt_lo_u32_b32 v6, -1, 0
	s_mov_b32 s1, exec_lo
	s_waitcnt lgkmcnt(0)
	s_barrier
	buffer_gl0_inv
	v_cmp_gt_u32_e64 s0, 16, v6
	s_delay_alu instid0(VALU_DEP_1) | instskip(SKIP_1) | instid1(VALU_DEP_2)
	v_cndmask_b32_e64 v2, 0, 1, s0
	v_cmp_gt_u32_e64 s0, 24, v6
	v_lshlrev_b32_e32 v2, 4, v2
	s_delay_alu instid0(VALU_DEP_2) | instskip(SKIP_1) | instid1(VALU_DEP_3)
	v_cndmask_b32_e64 v3, 0, 1, s0
	v_cmp_gt_u32_e64 s0, 28, v6
	v_add_lshl_u32 v2, v2, v6, 2
	ds_bpermute_b32 v4, v2, v5
	s_waitcnt lgkmcnt(0)
	v_add_f32_e32 v5, v5, v4
	v_lshlrev_b32_e32 v3, 3, v3
	v_cndmask_b32_e64 v4, 0, 1, s0
	v_cmp_gt_u32_e64 s0, 30, v6
	s_delay_alu instid0(VALU_DEP_3) | instskip(NEXT) | instid1(VALU_DEP_3)
	v_add_lshl_u32 v3, v3, v6, 2
	v_lshlrev_b32_e32 v4, 2, v4
	ds_bpermute_b32 v8, v3, v5
	v_add_lshl_u32 v4, v4, v6, 2
	s_waitcnt lgkmcnt(0)
	v_add_f32_e32 v8, v5, v8
	v_cndmask_b32_e64 v5, 0, 1, s0
	v_cmp_ne_u32_e64 s0, 31, v6
	ds_bpermute_b32 v9, v4, v8
	v_lshlrev_b32_e32 v5, 1, v5
	s_delay_alu instid0(VALU_DEP_1) | instskip(SKIP_1) | instid1(VALU_DEP_1)
	v_add_lshl_u32 v5, v5, v6, 2
	v_add_co_ci_u32_e64 v6, s0, 0, v6, s0
	v_lshlrev_b32_e32 v6, 2, v6
	s_waitcnt lgkmcnt(0)
	v_add_f32_e32 v8, v8, v9
	ds_bpermute_b32 v9, v5, v8
	s_waitcnt lgkmcnt(0)
	v_add_f32_e32 v8, v8, v9
	ds_bpermute_b32 v9, v6, v8
	v_cmpx_eq_u32_e32 0, v7
	s_cbranch_execz .LBB377_10
; %bb.9:
	v_lshrrev_b32_e32 v7, 3, v0
	s_waitcnt lgkmcnt(0)
	s_delay_alu instid0(VALU_DEP_1)
	v_dual_add_f32 v8, v8, v9 :: v_dual_and_b32 v7, 0x7c, v7
	ds_store_b32 v7, v8
.LBB377_10:
	s_or_b32 exec_lo, exec_lo, s1
	v_mov_b32_e32 v7, 0
	s_waitcnt lgkmcnt(0)
	s_barrier
	buffer_gl0_inv
	s_and_saveexec_b32 s0, vcc_lo
	s_cbranch_execz .LBB377_12
; %bb.11:
	ds_load_b32 v7, v1
.LBB377_12:
	s_or_b32 exec_lo, exec_lo, s0
	s_and_saveexec_b32 s0, vcc_lo
	s_cbranch_execz .LBB377_14
; %bb.13:
	s_waitcnt lgkmcnt(0)
	ds_bpermute_b32 v1, v2, v7
	s_waitcnt lgkmcnt(0)
	v_add_f32_e32 v1, v7, v1
	ds_bpermute_b32 v2, v3, v1
	s_waitcnt lgkmcnt(0)
	v_add_f32_e32 v1, v1, v2
	;; [unrolled: 3-line block ×5, first 2 shown]
.LBB377_14:
	s_or_b32 exec_lo, exec_lo, s0
	s_delay_alu instid0(SALU_CYCLE_1)
	s_mov_b32 s0, exec_lo
	v_cmpx_eq_u32_e32 0, v0
	s_cbranch_execz .LBB377_16
; %bb.15:
	s_waitcnt lgkmcnt(0)
	v_cvt_f16_f32_e32 v0, v7
	s_lshl_b64 s[0:1], s[2:3], 1
	v_mov_b32_e32 v1, 0
	s_add_u32 s0, s12, s0
	s_addc_u32 s1, s13, s1
	global_store_b16 v1, v0, s[0:1]
.LBB377_16:
	s_nop 0
	s_sendmsg sendmsg(MSG_DEALLOC_VGPRS)
	s_endpgm
	.section	.rodata,"a",@progbits
	.p2align	6, 0x0
	.amdhsa_kernel _ZL26rocblas_dot_kernel_inc1by2ILb1ELi1024ELi32ELb0EDF16_PKDF16_fEviT4_llS2_lliPT5_PT3_
		.amdhsa_group_segment_fixed_size 128
		.amdhsa_private_segment_fixed_size 0
		.amdhsa_kernarg_size 80
		.amdhsa_user_sgpr_count 14
		.amdhsa_user_sgpr_dispatch_ptr 0
		.amdhsa_user_sgpr_queue_ptr 0
		.amdhsa_user_sgpr_kernarg_segment_ptr 1
		.amdhsa_user_sgpr_dispatch_id 0
		.amdhsa_user_sgpr_private_segment_size 0
		.amdhsa_wavefront_size32 1
		.amdhsa_uses_dynamic_stack 0
		.amdhsa_enable_private_segment 0
		.amdhsa_system_sgpr_workgroup_id_x 1
		.amdhsa_system_sgpr_workgroup_id_y 0
		.amdhsa_system_sgpr_workgroup_id_z 1
		.amdhsa_system_sgpr_workgroup_info 0
		.amdhsa_system_vgpr_workitem_id 0
		.amdhsa_next_free_vgpr 10
		.amdhsa_next_free_sgpr 24
		.amdhsa_reserve_vcc 1
		.amdhsa_float_round_mode_32 0
		.amdhsa_float_round_mode_16_64 0
		.amdhsa_float_denorm_mode_32 3
		.amdhsa_float_denorm_mode_16_64 3
		.amdhsa_dx10_clamp 1
		.amdhsa_ieee_mode 1
		.amdhsa_fp16_overflow 0
		.amdhsa_workgroup_processor_mode 1
		.amdhsa_memory_ordered 1
		.amdhsa_forward_progress 0
		.amdhsa_shared_vgpr_count 0
		.amdhsa_exception_fp_ieee_invalid_op 0
		.amdhsa_exception_fp_denorm_src 0
		.amdhsa_exception_fp_ieee_div_zero 0
		.amdhsa_exception_fp_ieee_overflow 0
		.amdhsa_exception_fp_ieee_underflow 0
		.amdhsa_exception_fp_ieee_inexact 0
		.amdhsa_exception_int_div_zero 0
	.end_amdhsa_kernel
	.section	.text._ZL26rocblas_dot_kernel_inc1by2ILb1ELi1024ELi32ELb0EDF16_PKDF16_fEviT4_llS2_lliPT5_PT3_,"axG",@progbits,_ZL26rocblas_dot_kernel_inc1by2ILb1ELi1024ELi32ELb0EDF16_PKDF16_fEviT4_llS2_lliPT5_PT3_,comdat
.Lfunc_end377:
	.size	_ZL26rocblas_dot_kernel_inc1by2ILb1ELi1024ELi32ELb0EDF16_PKDF16_fEviT4_llS2_lliPT5_PT3_, .Lfunc_end377-_ZL26rocblas_dot_kernel_inc1by2ILb1ELi1024ELi32ELb0EDF16_PKDF16_fEviT4_llS2_lliPT5_PT3_
                                        ; -- End function
	.section	.AMDGPU.csdata,"",@progbits
; Kernel info:
; codeLenInByte = 1020
; NumSgprs: 26
; NumVgprs: 10
; ScratchSize: 0
; MemoryBound: 0
; FloatMode: 240
; IeeeMode: 1
; LDSByteSize: 128 bytes/workgroup (compile time only)
; SGPRBlocks: 3
; VGPRBlocks: 1
; NumSGPRsForWavesPerEU: 26
; NumVGPRsForWavesPerEU: 10
; Occupancy: 16
; WaveLimiterHint : 0
; COMPUTE_PGM_RSRC2:SCRATCH_EN: 0
; COMPUTE_PGM_RSRC2:USER_SGPR: 14
; COMPUTE_PGM_RSRC2:TRAP_HANDLER: 0
; COMPUTE_PGM_RSRC2:TGID_X_EN: 1
; COMPUTE_PGM_RSRC2:TGID_Y_EN: 0
; COMPUTE_PGM_RSRC2:TGID_Z_EN: 1
; COMPUTE_PGM_RSRC2:TIDIG_COMP_CNT: 0
	.section	.text._ZL18rocblas_dot_kernelIiLb1ELi1024ELi32ELb0EDF16_PKDF16_fEviT5_lT_lS2_lS3_liPT6_PT4_,"axG",@progbits,_ZL18rocblas_dot_kernelIiLb1ELi1024ELi32ELb0EDF16_PKDF16_fEviT5_lT_lS2_lS3_liPT6_PT4_,comdat
	.globl	_ZL18rocblas_dot_kernelIiLb1ELi1024ELi32ELb0EDF16_PKDF16_fEviT5_lT_lS2_lS3_liPT6_PT4_ ; -- Begin function _ZL18rocblas_dot_kernelIiLb1ELi1024ELi32ELb0EDF16_PKDF16_fEviT5_lT_lS2_lS3_liPT6_PT4_
	.p2align	8
	.type	_ZL18rocblas_dot_kernelIiLb1ELi1024ELi32ELb0EDF16_PKDF16_fEviT5_lT_lS2_lS3_liPT6_PT4_,@function
_ZL18rocblas_dot_kernelIiLb1ELi1024ELi32ELb0EDF16_PKDF16_fEviT5_lT_lS2_lS3_liPT6_PT4_: ; @_ZL18rocblas_dot_kernelIiLb1ELi1024ELi32ELb0EDF16_PKDF16_fEviT5_lT_lS2_lS3_liPT6_PT4_
; %bb.0:
	s_clause 0x1
	s_load_b32 s10, s[0:1], 0x0
	s_load_b64 s[2:3], s[0:1], 0x58
	v_mov_b32_e32 v5, 0
	s_mov_b32 s8, s15
	s_mov_b32 s9, 0
	s_mov_b32 s11, exec_lo
	s_waitcnt lgkmcnt(0)
	v_cmpx_gt_i32_e64 s10, v0
	s_cbranch_execz .LBB378_4
; %bb.1:
	s_clause 0x6
	s_load_b32 s20, s[0:1], 0x60
	s_load_b128 s[4:7], s[0:1], 0x20
	s_load_b32 s22, s[0:1], 0x18
	s_load_b128 s[12:15], s[0:1], 0x8
	s_load_b64 s[16:17], s[0:1], 0x40
	s_load_b32 s23, s[0:1], 0x38
	s_load_b64 s[18:19], s[0:1], 0x30
	v_mov_b32_e32 v5, 0
	s_waitcnt lgkmcnt(0)
	s_lshl_b32 s1, s20, 10
	s_mul_i32 s0, s5, s8
	v_mad_i64_i32 v[1:2], null, s22, v0, 0
	s_mul_hi_u32 s5, s4, s8
	s_mul_i32 s4, s4, s8
	v_mad_i64_i32 v[3:4], null, s23, v0, 0
	s_add_i32 s5, s5, s0
	s_lshl_b64 s[14:15], s[14:15], 1
	s_delay_alu instid0(VALU_DEP_2)
	v_lshlrev_b64 v[1:2], 1, v[1:2]
	s_lshl_b64 s[4:5], s[4:5], 1
	s_add_u32 s0, s12, s14
	s_addc_u32 s12, s13, s15
	s_mul_i32 s17, s17, s8
	s_mul_hi_u32 s24, s16, s8
	s_add_u32 s0, s0, s4
	s_mul_i32 s16, s16, s8
	s_mul_hi_i32 s21, s22, s1
	s_mul_i32 s20, s22, s1
	s_addc_u32 s12, s12, s5
	s_add_i32 s17, s24, s17
	v_add_co_u32 v1, vcc_lo, s0, v1
	s_lshl_b64 s[14:15], s[18:19], 1
	v_lshlrev_b64 v[3:4], 1, v[3:4]
	s_lshl_b64 s[4:5], s[20:21], 1
	v_add_co_ci_u32_e32 v2, vcc_lo, s12, v2, vcc_lo
	s_lshl_b64 s[12:13], s[16:17], 1
	s_add_u32 s0, s6, s14
	s_addc_u32 s6, s7, s15
	s_add_u32 s0, s0, s12
	s_addc_u32 s6, s6, s13
	v_add_co_u32 v3, vcc_lo, s0, v3
	v_or_b32_e32 v6, s1, v0
	v_add_co_ci_u32_e32 v4, vcc_lo, s6, v4, vcc_lo
	s_mul_hi_i32 s7, s23, s1
	s_mul_i32 s6, s23, s1
	s_mov_b32 s12, s9
	s_lshl_b64 s[6:7], s[6:7], 1
	s_mov_b32 s13, s9
	.p2align	6
.LBB378_2:                              ; =>This Inner Loop Header: Depth=1
	global_load_u16 v7, v[3:4], off
	global_load_u16 v8, v[1:2], off
	v_add_co_u32 v1, s0, v1, s4
	s_delay_alu instid0(VALU_DEP_1)
	v_add_co_ci_u32_e64 v2, s0, s5, v2, s0
	s_add_i32 s14, s13, 1
	v_cmp_le_i32_e32 vcc_lo, s10, v6
	v_add_co_u32 v3, s0, v3, s6
	s_cmp_gt_u32 s13, 30
	v_add_co_ci_u32_e64 v4, s0, s7, v4, s0
	s_cselect_b32 s0, -1, 0
	v_add_nc_u32_e32 v6, s1, v6
	s_or_b32 s0, s0, vcc_lo
	s_mov_b32 s13, s14
	s_and_b32 s0, exec_lo, s0
	s_delay_alu instid0(SALU_CYCLE_1)
	s_or_b32 s12, s0, s12
	s_waitcnt vmcnt(0)
	v_fma_mix_f32 v5, v7, v8, v5 op_sel_hi:[1,1,0]
	s_and_not1_b32 exec_lo, exec_lo, s12
	s_cbranch_execnz .LBB378_2
; %bb.3:
	s_or_b32 exec_lo, exec_lo, s12
.LBB378_4:
	s_delay_alu instid0(SALU_CYCLE_1) | instskip(SKIP_2) | instid1(VALU_DEP_2)
	s_or_b32 exec_lo, exec_lo, s11
	v_and_b32_e32 v7, 31, v0
	v_cmp_gt_u32_e32 vcc_lo, 32, v0
	v_lshlrev_b32_e32 v1, 2, v7
	s_and_saveexec_b32 s0, vcc_lo
	s_cbranch_execz .LBB378_6
; %bb.5:
	v_mov_b32_e32 v2, 0
	ds_store_b32 v1, v2
.LBB378_6:
	s_or_b32 exec_lo, exec_lo, s0
	v_mbcnt_lo_u32_b32 v6, -1, 0
	s_mov_b32 s1, exec_lo
	s_waitcnt lgkmcnt(0)
	s_barrier
	buffer_gl0_inv
	v_cmp_gt_u32_e64 s0, 16, v6
	s_delay_alu instid0(VALU_DEP_1) | instskip(SKIP_1) | instid1(VALU_DEP_2)
	v_cndmask_b32_e64 v2, 0, 1, s0
	v_cmp_gt_u32_e64 s0, 24, v6
	v_lshlrev_b32_e32 v2, 4, v2
	s_delay_alu instid0(VALU_DEP_2) | instskip(SKIP_1) | instid1(VALU_DEP_3)
	v_cndmask_b32_e64 v3, 0, 1, s0
	v_cmp_gt_u32_e64 s0, 28, v6
	v_add_lshl_u32 v2, v2, v6, 2
	ds_bpermute_b32 v4, v2, v5
	s_waitcnt lgkmcnt(0)
	v_add_f32_e32 v5, v5, v4
	v_lshlrev_b32_e32 v3, 3, v3
	v_cndmask_b32_e64 v4, 0, 1, s0
	v_cmp_gt_u32_e64 s0, 30, v6
	s_delay_alu instid0(VALU_DEP_3) | instskip(NEXT) | instid1(VALU_DEP_3)
	v_add_lshl_u32 v3, v3, v6, 2
	v_lshlrev_b32_e32 v4, 2, v4
	ds_bpermute_b32 v8, v3, v5
	v_add_lshl_u32 v4, v4, v6, 2
	s_waitcnt lgkmcnt(0)
	v_add_f32_e32 v8, v5, v8
	v_cndmask_b32_e64 v5, 0, 1, s0
	v_cmp_ne_u32_e64 s0, 31, v6
	ds_bpermute_b32 v9, v4, v8
	v_lshlrev_b32_e32 v5, 1, v5
	s_delay_alu instid0(VALU_DEP_1) | instskip(SKIP_1) | instid1(VALU_DEP_1)
	v_add_lshl_u32 v5, v5, v6, 2
	v_add_co_ci_u32_e64 v6, s0, 0, v6, s0
	v_lshlrev_b32_e32 v6, 2, v6
	s_waitcnt lgkmcnt(0)
	v_add_f32_e32 v8, v8, v9
	ds_bpermute_b32 v9, v5, v8
	s_waitcnt lgkmcnt(0)
	v_add_f32_e32 v8, v8, v9
	ds_bpermute_b32 v9, v6, v8
	v_cmpx_eq_u32_e32 0, v7
	s_cbranch_execz .LBB378_8
; %bb.7:
	v_lshrrev_b32_e32 v7, 3, v0
	s_waitcnt lgkmcnt(0)
	s_delay_alu instid0(VALU_DEP_1)
	v_dual_add_f32 v8, v8, v9 :: v_dual_and_b32 v7, 0x7c, v7
	ds_store_b32 v7, v8
.LBB378_8:
	s_or_b32 exec_lo, exec_lo, s1
	v_mov_b32_e32 v7, 0
	s_waitcnt lgkmcnt(0)
	s_barrier
	buffer_gl0_inv
	s_and_saveexec_b32 s0, vcc_lo
	s_cbranch_execz .LBB378_10
; %bb.9:
	ds_load_b32 v7, v1
.LBB378_10:
	s_or_b32 exec_lo, exec_lo, s0
	s_and_saveexec_b32 s0, vcc_lo
	s_cbranch_execz .LBB378_12
; %bb.11:
	s_waitcnt lgkmcnt(0)
	ds_bpermute_b32 v1, v2, v7
	s_waitcnt lgkmcnt(0)
	v_add_f32_e32 v1, v7, v1
	ds_bpermute_b32 v2, v3, v1
	s_waitcnt lgkmcnt(0)
	v_add_f32_e32 v1, v1, v2
	ds_bpermute_b32 v2, v4, v1
	s_waitcnt lgkmcnt(0)
	v_add_f32_e32 v1, v1, v2
	ds_bpermute_b32 v2, v5, v1
	s_waitcnt lgkmcnt(0)
	v_add_f32_e32 v1, v1, v2
	ds_bpermute_b32 v2, v6, v1
	s_waitcnt lgkmcnt(0)
	v_add_f32_e32 v7, v1, v2
.LBB378_12:
	s_or_b32 exec_lo, exec_lo, s0
	s_delay_alu instid0(SALU_CYCLE_1)
	s_mov_b32 s0, exec_lo
	v_cmpx_eq_u32_e32 0, v0
	s_cbranch_execz .LBB378_14
; %bb.13:
	s_waitcnt lgkmcnt(0)
	v_cvt_f16_f32_e32 v0, v7
	s_lshl_b64 s[0:1], s[8:9], 1
	v_mov_b32_e32 v1, 0
	s_add_u32 s0, s2, s0
	s_addc_u32 s1, s3, s1
	global_store_b16 v1, v0, s[0:1]
.LBB378_14:
	s_nop 0
	s_sendmsg sendmsg(MSG_DEALLOC_VGPRS)
	s_endpgm
	.section	.rodata,"a",@progbits
	.p2align	6, 0x0
	.amdhsa_kernel _ZL18rocblas_dot_kernelIiLb1ELi1024ELi32ELb0EDF16_PKDF16_fEviT5_lT_lS2_lS3_liPT6_PT4_
		.amdhsa_group_segment_fixed_size 128
		.amdhsa_private_segment_fixed_size 0
		.amdhsa_kernarg_size 352
		.amdhsa_user_sgpr_count 14
		.amdhsa_user_sgpr_dispatch_ptr 0
		.amdhsa_user_sgpr_queue_ptr 0
		.amdhsa_user_sgpr_kernarg_segment_ptr 1
		.amdhsa_user_sgpr_dispatch_id 0
		.amdhsa_user_sgpr_private_segment_size 0
		.amdhsa_wavefront_size32 1
		.amdhsa_uses_dynamic_stack 0
		.amdhsa_enable_private_segment 0
		.amdhsa_system_sgpr_workgroup_id_x 1
		.amdhsa_system_sgpr_workgroup_id_y 0
		.amdhsa_system_sgpr_workgroup_id_z 1
		.amdhsa_system_sgpr_workgroup_info 0
		.amdhsa_system_vgpr_workitem_id 0
		.amdhsa_next_free_vgpr 10
		.amdhsa_next_free_sgpr 25
		.amdhsa_reserve_vcc 1
		.amdhsa_float_round_mode_32 0
		.amdhsa_float_round_mode_16_64 0
		.amdhsa_float_denorm_mode_32 3
		.amdhsa_float_denorm_mode_16_64 3
		.amdhsa_dx10_clamp 1
		.amdhsa_ieee_mode 1
		.amdhsa_fp16_overflow 0
		.amdhsa_workgroup_processor_mode 1
		.amdhsa_memory_ordered 1
		.amdhsa_forward_progress 0
		.amdhsa_shared_vgpr_count 0
		.amdhsa_exception_fp_ieee_invalid_op 0
		.amdhsa_exception_fp_denorm_src 0
		.amdhsa_exception_fp_ieee_div_zero 0
		.amdhsa_exception_fp_ieee_overflow 0
		.amdhsa_exception_fp_ieee_underflow 0
		.amdhsa_exception_fp_ieee_inexact 0
		.amdhsa_exception_int_div_zero 0
	.end_amdhsa_kernel
	.section	.text._ZL18rocblas_dot_kernelIiLb1ELi1024ELi32ELb0EDF16_PKDF16_fEviT5_lT_lS2_lS3_liPT6_PT4_,"axG",@progbits,_ZL18rocblas_dot_kernelIiLb1ELi1024ELi32ELb0EDF16_PKDF16_fEviT5_lT_lS2_lS3_liPT6_PT4_,comdat
.Lfunc_end378:
	.size	_ZL18rocblas_dot_kernelIiLb1ELi1024ELi32ELb0EDF16_PKDF16_fEviT5_lT_lS2_lS3_liPT6_PT4_, .Lfunc_end378-_ZL18rocblas_dot_kernelIiLb1ELi1024ELi32ELb0EDF16_PKDF16_fEviT5_lT_lS2_lS3_liPT6_PT4_
                                        ; -- End function
	.section	.AMDGPU.csdata,"",@progbits
; Kernel info:
; codeLenInByte = 948
; NumSgprs: 27
; NumVgprs: 10
; ScratchSize: 0
; MemoryBound: 0
; FloatMode: 240
; IeeeMode: 1
; LDSByteSize: 128 bytes/workgroup (compile time only)
; SGPRBlocks: 3
; VGPRBlocks: 1
; NumSGPRsForWavesPerEU: 27
; NumVGPRsForWavesPerEU: 10
; Occupancy: 16
; WaveLimiterHint : 0
; COMPUTE_PGM_RSRC2:SCRATCH_EN: 0
; COMPUTE_PGM_RSRC2:USER_SGPR: 14
; COMPUTE_PGM_RSRC2:TRAP_HANDLER: 0
; COMPUTE_PGM_RSRC2:TGID_X_EN: 1
; COMPUTE_PGM_RSRC2:TGID_Y_EN: 0
; COMPUTE_PGM_RSRC2:TGID_Z_EN: 1
; COMPUTE_PGM_RSRC2:TIDIG_COMP_CNT: 0
	.section	.text._ZL24rocblas_dot_kernel_magsqIiLb1ELi1024ELi32ELb0EDF16_PKDF16_fEviT5_lT_liPT6_PT4_,"axG",@progbits,_ZL24rocblas_dot_kernel_magsqIiLb1ELi1024ELi32ELb0EDF16_PKDF16_fEviT5_lT_liPT6_PT4_,comdat
	.globl	_ZL24rocblas_dot_kernel_magsqIiLb1ELi1024ELi32ELb0EDF16_PKDF16_fEviT5_lT_liPT6_PT4_ ; -- Begin function _ZL24rocblas_dot_kernel_magsqIiLb1ELi1024ELi32ELb0EDF16_PKDF16_fEviT5_lT_liPT6_PT4_
	.p2align	8
	.type	_ZL24rocblas_dot_kernel_magsqIiLb1ELi1024ELi32ELb0EDF16_PKDF16_fEviT5_lT_liPT6_PT4_,@function
_ZL24rocblas_dot_kernel_magsqIiLb1ELi1024ELi32ELb0EDF16_PKDF16_fEviT5_lT_liPT6_PT4_: ; @_ZL24rocblas_dot_kernel_magsqIiLb1ELi1024ELi32ELb0EDF16_PKDF16_fEviT5_lT_liPT6_PT4_
; %bb.0:
	s_clause 0x1
	s_load_b32 s8, s[0:1], 0x0
	s_load_b64 s[2:3], s[0:1], 0x38
	v_mov_b32_e32 v3, 0
	s_mov_b32 s4, s15
	s_mov_b32 s5, 0
	s_mov_b32 s9, exec_lo
	s_waitcnt lgkmcnt(0)
	v_cmpx_gt_i32_e64 s8, v0
	s_cbranch_execz .LBB379_4
; %bb.1:
	s_clause 0x3
	s_load_b32 s10, s[0:1], 0x40
	s_load_b64 s[6:7], s[0:1], 0x20
	s_load_b32 s16, s[0:1], 0x18
	s_load_b128 s[12:15], s[0:1], 0x8
	v_mov_b32_e32 v3, 0
	s_waitcnt lgkmcnt(0)
	s_lshl_b32 s1, s10, 10
	s_mul_i32 s0, s7, s4
	v_mad_i64_i32 v[1:2], null, s16, v0, 0
	s_mul_hi_u32 s7, s6, s4
	s_mul_i32 s6, s6, s4
	s_add_i32 s7, s7, s0
	s_lshl_b64 s[10:11], s[14:15], 1
	s_lshl_b64 s[6:7], s[6:7], 1
	s_add_u32 s0, s12, s10
	s_delay_alu instid0(VALU_DEP_1)
	v_lshlrev_b64 v[1:2], 1, v[1:2]
	s_addc_u32 s10, s13, s11
	s_add_u32 s0, s0, s6
	s_addc_u32 s6, s10, s7
	v_or_b32_e32 v4, s1, v0
	s_mul_hi_i32 s15, s16, s1
	v_add_co_u32 v1, vcc_lo, s0, v1
	v_add_co_ci_u32_e32 v2, vcc_lo, s6, v2, vcc_lo
	s_mul_i32 s14, s16, s1
	s_mov_b32 s10, s5
	s_lshl_b64 s[6:7], s[14:15], 1
	s_mov_b32 s11, s5
	.p2align	6
.LBB379_2:                              ; =>This Inner Loop Header: Depth=1
	global_load_u16 v5, v[1:2], off
	s_add_i32 s12, s11, 1
	v_cmp_le_i32_e32 vcc_lo, s8, v4
	v_add_co_u32 v1, s0, v1, s6
	s_cmp_gt_u32 s11, 30
	v_add_co_ci_u32_e64 v2, s0, s7, v2, s0
	s_cselect_b32 s0, -1, 0
	v_add_nc_u32_e32 v4, s1, v4
	s_or_b32 s0, s0, vcc_lo
	s_mov_b32 s11, s12
	s_and_b32 s0, exec_lo, s0
	s_delay_alu instid0(SALU_CYCLE_1)
	s_or_b32 s10, s0, s10
	s_waitcnt vmcnt(0)
	v_fma_mix_f32 v3, v5, v5, v3 op_sel_hi:[1,1,0]
	s_and_not1_b32 exec_lo, exec_lo, s10
	s_cbranch_execnz .LBB379_2
; %bb.3:
	s_or_b32 exec_lo, exec_lo, s10
.LBB379_4:
	s_delay_alu instid0(SALU_CYCLE_1) | instskip(SKIP_2) | instid1(VALU_DEP_2)
	s_or_b32 exec_lo, exec_lo, s9
	v_and_b32_e32 v7, 31, v0
	v_cmp_gt_u32_e32 vcc_lo, 32, v0
	v_lshlrev_b32_e32 v1, 2, v7
	s_and_saveexec_b32 s0, vcc_lo
	s_cbranch_execz .LBB379_6
; %bb.5:
	v_mov_b32_e32 v2, 0
	ds_store_b32 v1, v2
.LBB379_6:
	s_or_b32 exec_lo, exec_lo, s0
	v_mbcnt_lo_u32_b32 v6, -1, 0
	s_mov_b32 s1, exec_lo
	s_waitcnt lgkmcnt(0)
	s_barrier
	buffer_gl0_inv
	v_cmp_gt_u32_e64 s0, 16, v6
	s_delay_alu instid0(VALU_DEP_1) | instskip(SKIP_1) | instid1(VALU_DEP_2)
	v_cndmask_b32_e64 v2, 0, 1, s0
	v_cmp_gt_u32_e64 s0, 24, v6
	v_lshlrev_b32_e32 v2, 4, v2
	s_delay_alu instid0(VALU_DEP_2) | instskip(SKIP_1) | instid1(VALU_DEP_3)
	v_cndmask_b32_e64 v4, 0, 1, s0
	v_cmp_gt_u32_e64 s0, 28, v6
	v_add_lshl_u32 v2, v2, v6, 2
	s_delay_alu instid0(VALU_DEP_3)
	v_lshlrev_b32_e32 v4, 3, v4
	ds_bpermute_b32 v5, v2, v3
	v_add_lshl_u32 v4, v4, v6, 2
	s_waitcnt lgkmcnt(0)
	v_add_f32_e32 v5, v3, v5
	v_cndmask_b32_e64 v3, 0, 1, s0
	v_cmp_gt_u32_e64 s0, 30, v6
	ds_bpermute_b32 v8, v4, v5
	s_waitcnt lgkmcnt(0)
	v_dual_add_f32 v8, v5, v8 :: v_dual_lshlrev_b32 v3, 2, v3
	s_delay_alu instid0(VALU_DEP_1) | instskip(SKIP_4) | instid1(VALU_DEP_1)
	v_add_lshl_u32 v3, v3, v6, 2
	v_cndmask_b32_e64 v5, 0, 1, s0
	v_cmp_ne_u32_e64 s0, 31, v6
	ds_bpermute_b32 v9, v3, v8
	v_lshlrev_b32_e32 v5, 1, v5
	v_add_lshl_u32 v5, v5, v6, 2
	v_add_co_ci_u32_e64 v6, s0, 0, v6, s0
	s_delay_alu instid0(VALU_DEP_1)
	v_lshlrev_b32_e32 v6, 2, v6
	s_waitcnt lgkmcnt(0)
	v_add_f32_e32 v8, v8, v9
	ds_bpermute_b32 v9, v5, v8
	s_waitcnt lgkmcnt(0)
	v_add_f32_e32 v8, v8, v9
	ds_bpermute_b32 v9, v6, v8
	v_cmpx_eq_u32_e32 0, v7
	s_cbranch_execz .LBB379_8
; %bb.7:
	v_lshrrev_b32_e32 v7, 3, v0
	s_waitcnt lgkmcnt(0)
	s_delay_alu instid0(VALU_DEP_1)
	v_dual_add_f32 v8, v8, v9 :: v_dual_and_b32 v7, 0x7c, v7
	ds_store_b32 v7, v8
.LBB379_8:
	s_or_b32 exec_lo, exec_lo, s1
	v_mov_b32_e32 v7, 0
	s_waitcnt lgkmcnt(0)
	s_barrier
	buffer_gl0_inv
	s_and_saveexec_b32 s0, vcc_lo
	s_cbranch_execz .LBB379_10
; %bb.9:
	ds_load_b32 v7, v1
.LBB379_10:
	s_or_b32 exec_lo, exec_lo, s0
	s_and_saveexec_b32 s0, vcc_lo
	s_cbranch_execz .LBB379_12
; %bb.11:
	s_waitcnt lgkmcnt(0)
	ds_bpermute_b32 v1, v2, v7
	s_waitcnt lgkmcnt(0)
	v_add_f32_e32 v1, v7, v1
	ds_bpermute_b32 v2, v4, v1
	s_waitcnt lgkmcnt(0)
	v_add_f32_e32 v1, v1, v2
	;; [unrolled: 3-line block ×5, first 2 shown]
.LBB379_12:
	s_or_b32 exec_lo, exec_lo, s0
	s_delay_alu instid0(SALU_CYCLE_1)
	s_mov_b32 s0, exec_lo
	v_cmpx_eq_u32_e32 0, v0
	s_cbranch_execz .LBB379_14
; %bb.13:
	s_waitcnt lgkmcnt(0)
	v_cvt_f16_f32_e32 v0, v7
	s_lshl_b64 s[0:1], s[4:5], 1
	v_mov_b32_e32 v1, 0
	s_add_u32 s0, s2, s0
	s_addc_u32 s1, s3, s1
	global_store_b16 v1, v0, s[0:1]
.LBB379_14:
	s_nop 0
	s_sendmsg sendmsg(MSG_DEALLOC_VGPRS)
	s_endpgm
	.section	.rodata,"a",@progbits
	.p2align	6, 0x0
	.amdhsa_kernel _ZL24rocblas_dot_kernel_magsqIiLb1ELi1024ELi32ELb0EDF16_PKDF16_fEviT5_lT_liPT6_PT4_
		.amdhsa_group_segment_fixed_size 128
		.amdhsa_private_segment_fixed_size 0
		.amdhsa_kernarg_size 320
		.amdhsa_user_sgpr_count 14
		.amdhsa_user_sgpr_dispatch_ptr 0
		.amdhsa_user_sgpr_queue_ptr 0
		.amdhsa_user_sgpr_kernarg_segment_ptr 1
		.amdhsa_user_sgpr_dispatch_id 0
		.amdhsa_user_sgpr_private_segment_size 0
		.amdhsa_wavefront_size32 1
		.amdhsa_uses_dynamic_stack 0
		.amdhsa_enable_private_segment 0
		.amdhsa_system_sgpr_workgroup_id_x 1
		.amdhsa_system_sgpr_workgroup_id_y 0
		.amdhsa_system_sgpr_workgroup_id_z 1
		.amdhsa_system_sgpr_workgroup_info 0
		.amdhsa_system_vgpr_workitem_id 0
		.amdhsa_next_free_vgpr 10
		.amdhsa_next_free_sgpr 17
		.amdhsa_reserve_vcc 1
		.amdhsa_float_round_mode_32 0
		.amdhsa_float_round_mode_16_64 0
		.amdhsa_float_denorm_mode_32 3
		.amdhsa_float_denorm_mode_16_64 3
		.amdhsa_dx10_clamp 1
		.amdhsa_ieee_mode 1
		.amdhsa_fp16_overflow 0
		.amdhsa_workgroup_processor_mode 1
		.amdhsa_memory_ordered 1
		.amdhsa_forward_progress 0
		.amdhsa_shared_vgpr_count 0
		.amdhsa_exception_fp_ieee_invalid_op 0
		.amdhsa_exception_fp_denorm_src 0
		.amdhsa_exception_fp_ieee_div_zero 0
		.amdhsa_exception_fp_ieee_overflow 0
		.amdhsa_exception_fp_ieee_underflow 0
		.amdhsa_exception_fp_ieee_inexact 0
		.amdhsa_exception_int_div_zero 0
	.end_amdhsa_kernel
	.section	.text._ZL24rocblas_dot_kernel_magsqIiLb1ELi1024ELi32ELb0EDF16_PKDF16_fEviT5_lT_liPT6_PT4_,"axG",@progbits,_ZL24rocblas_dot_kernel_magsqIiLb1ELi1024ELi32ELb0EDF16_PKDF16_fEviT5_lT_liPT6_PT4_,comdat
.Lfunc_end379:
	.size	_ZL24rocblas_dot_kernel_magsqIiLb1ELi1024ELi32ELb0EDF16_PKDF16_fEviT5_lT_liPT6_PT4_, .Lfunc_end379-_ZL24rocblas_dot_kernel_magsqIiLb1ELi1024ELi32ELb0EDF16_PKDF16_fEviT5_lT_liPT6_PT4_
                                        ; -- End function
	.section	.AMDGPU.csdata,"",@progbits
; Kernel info:
; codeLenInByte = 820
; NumSgprs: 19
; NumVgprs: 10
; ScratchSize: 0
; MemoryBound: 0
; FloatMode: 240
; IeeeMode: 1
; LDSByteSize: 128 bytes/workgroup (compile time only)
; SGPRBlocks: 2
; VGPRBlocks: 1
; NumSGPRsForWavesPerEU: 19
; NumVGPRsForWavesPerEU: 10
; Occupancy: 16
; WaveLimiterHint : 0
; COMPUTE_PGM_RSRC2:SCRATCH_EN: 0
; COMPUTE_PGM_RSRC2:USER_SGPR: 14
; COMPUTE_PGM_RSRC2:TRAP_HANDLER: 0
; COMPUTE_PGM_RSRC2:TGID_X_EN: 1
; COMPUTE_PGM_RSRC2:TGID_Y_EN: 0
; COMPUTE_PGM_RSRC2:TGID_Z_EN: 1
; COMPUTE_PGM_RSRC2:TIDIG_COMP_CNT: 0
	.section	.text._ZL38rocblas_dot_kernel_gfx942_float_doubleIiLi1024EDF16_PKDF16_fEviT2_lT_lS2_lS3_lPT3_PT1_,"axG",@progbits,_ZL38rocblas_dot_kernel_gfx942_float_doubleIiLi1024EDF16_PKDF16_fEviT2_lT_lS2_lS3_lPT3_PT1_,comdat
	.globl	_ZL38rocblas_dot_kernel_gfx942_float_doubleIiLi1024EDF16_PKDF16_fEviT2_lT_lS2_lS3_lPT3_PT1_ ; -- Begin function _ZL38rocblas_dot_kernel_gfx942_float_doubleIiLi1024EDF16_PKDF16_fEviT2_lT_lS2_lS3_lPT3_PT1_
	.p2align	8
	.type	_ZL38rocblas_dot_kernel_gfx942_float_doubleIiLi1024EDF16_PKDF16_fEviT2_lT_lS2_lS3_lPT3_PT1_,@function
_ZL38rocblas_dot_kernel_gfx942_float_doubleIiLi1024EDF16_PKDF16_fEviT2_lT_lS2_lS3_lPT3_PT1_: ; @_ZL38rocblas_dot_kernel_gfx942_float_doubleIiLi1024EDF16_PKDF16_fEviT2_lT_lS2_lS3_lPT3_PT1_
; %bb.0:
	s_endpgm
	.section	.rodata,"a",@progbits
	.p2align	6, 0x0
	.amdhsa_kernel _ZL38rocblas_dot_kernel_gfx942_float_doubleIiLi1024EDF16_PKDF16_fEviT2_lT_lS2_lS3_lPT3_PT1_
		.amdhsa_group_segment_fixed_size 0
		.amdhsa_private_segment_fixed_size 0
		.amdhsa_kernarg_size 88
		.amdhsa_user_sgpr_count 15
		.amdhsa_user_sgpr_dispatch_ptr 0
		.amdhsa_user_sgpr_queue_ptr 0
		.amdhsa_user_sgpr_kernarg_segment_ptr 1
		.amdhsa_user_sgpr_dispatch_id 0
		.amdhsa_user_sgpr_private_segment_size 0
		.amdhsa_wavefront_size32 1
		.amdhsa_uses_dynamic_stack 0
		.amdhsa_enable_private_segment 0
		.amdhsa_system_sgpr_workgroup_id_x 1
		.amdhsa_system_sgpr_workgroup_id_y 0
		.amdhsa_system_sgpr_workgroup_id_z 0
		.amdhsa_system_sgpr_workgroup_info 0
		.amdhsa_system_vgpr_workitem_id 0
		.amdhsa_next_free_vgpr 1
		.amdhsa_next_free_sgpr 1
		.amdhsa_reserve_vcc 0
		.amdhsa_float_round_mode_32 0
		.amdhsa_float_round_mode_16_64 0
		.amdhsa_float_denorm_mode_32 3
		.amdhsa_float_denorm_mode_16_64 3
		.amdhsa_dx10_clamp 1
		.amdhsa_ieee_mode 1
		.amdhsa_fp16_overflow 0
		.amdhsa_workgroup_processor_mode 1
		.amdhsa_memory_ordered 1
		.amdhsa_forward_progress 0
		.amdhsa_shared_vgpr_count 0
		.amdhsa_exception_fp_ieee_invalid_op 0
		.amdhsa_exception_fp_denorm_src 0
		.amdhsa_exception_fp_ieee_div_zero 0
		.amdhsa_exception_fp_ieee_overflow 0
		.amdhsa_exception_fp_ieee_underflow 0
		.amdhsa_exception_fp_ieee_inexact 0
		.amdhsa_exception_int_div_zero 0
	.end_amdhsa_kernel
	.section	.text._ZL38rocblas_dot_kernel_gfx942_float_doubleIiLi1024EDF16_PKDF16_fEviT2_lT_lS2_lS3_lPT3_PT1_,"axG",@progbits,_ZL38rocblas_dot_kernel_gfx942_float_doubleIiLi1024EDF16_PKDF16_fEviT2_lT_lS2_lS3_lPT3_PT1_,comdat
.Lfunc_end380:
	.size	_ZL38rocblas_dot_kernel_gfx942_float_doubleIiLi1024EDF16_PKDF16_fEviT2_lT_lS2_lS3_lPT3_PT1_, .Lfunc_end380-_ZL38rocblas_dot_kernel_gfx942_float_doubleIiLi1024EDF16_PKDF16_fEviT2_lT_lS2_lS3_lPT3_PT1_
                                        ; -- End function
	.section	.AMDGPU.csdata,"",@progbits
; Kernel info:
; codeLenInByte = 4
; NumSgprs: 0
; NumVgprs: 0
; ScratchSize: 0
; MemoryBound: 0
; FloatMode: 240
; IeeeMode: 1
; LDSByteSize: 0 bytes/workgroup (compile time only)
; SGPRBlocks: 0
; VGPRBlocks: 0
; NumSGPRsForWavesPerEU: 1
; NumVGPRsForWavesPerEU: 1
; Occupancy: 16
; WaveLimiterHint : 0
; COMPUTE_PGM_RSRC2:SCRATCH_EN: 0
; COMPUTE_PGM_RSRC2:USER_SGPR: 15
; COMPUTE_PGM_RSRC2:TRAP_HANDLER: 0
; COMPUTE_PGM_RSRC2:TGID_X_EN: 1
; COMPUTE_PGM_RSRC2:TGID_Y_EN: 0
; COMPUTE_PGM_RSRC2:TGID_Z_EN: 0
; COMPUTE_PGM_RSRC2:TIDIG_COMP_CNT: 0
	.section	.text._ZL30rocblas_reduction_kernel_part2ILi1024ELi4E25rocblas_finalize_identityfDF16_EviPT2_PT3_,"axG",@progbits,_ZL30rocblas_reduction_kernel_part2ILi1024ELi4E25rocblas_finalize_identityfDF16_EviPT2_PT3_,comdat
	.globl	_ZL30rocblas_reduction_kernel_part2ILi1024ELi4E25rocblas_finalize_identityfDF16_EviPT2_PT3_ ; -- Begin function _ZL30rocblas_reduction_kernel_part2ILi1024ELi4E25rocblas_finalize_identityfDF16_EviPT2_PT3_
	.p2align	8
	.type	_ZL30rocblas_reduction_kernel_part2ILi1024ELi4E25rocblas_finalize_identityfDF16_EviPT2_PT3_,@function
_ZL30rocblas_reduction_kernel_part2ILi1024ELi4E25rocblas_finalize_identityfDF16_EviPT2_PT3_: ; @_ZL30rocblas_reduction_kernel_part2ILi1024ELi4E25rocblas_finalize_identityfDF16_EviPT2_PT3_
; %bb.0:
	s_clause 0x1
	s_load_b32 s10, s[0:1], 0x0
	s_load_b128 s[4:7], s[0:1], 0x8
	v_dual_mov_b32 v3, 0 :: v_dual_lshlrev_b32 v4, 2, v0
	s_mov_b32 s2, s15
	s_mov_b32 s3, 0
	s_mov_b32 s11, exec_lo
	s_waitcnt lgkmcnt(0)
	s_ashr_i32 s0, s10, 31
	s_mul_hi_u32 s8, s10, s15
	s_lshr_b32 s1, s0, 30
	s_mul_i32 s0, s0, s15
	s_add_i32 s1, s10, s1
	s_add_i32 s9, s8, s0
	s_and_b32 s1, s1, -4
	s_mul_i32 s8, s10, s15
	v_cmpx_gt_i32_e64 s1, v4
	s_cbranch_execz .LBB381_4
; %bb.1:
	v_lshlrev_b32_e32 v1, 4, v0
	s_lshl_b64 s[12:13], s[8:9], 2
	v_mov_b32_e32 v3, 0
	s_add_u32 s0, s4, s12
	s_addc_u32 s12, s5, s13
	v_add_co_u32 v1, s0, s0, v1
	s_delay_alu instid0(VALU_DEP_1) | instskip(SKIP_1) | instid1(VALU_DEP_2)
	v_add_co_ci_u32_e64 v2, null, s12, 0, s0
	s_mov_b32 s12, s3
	v_add_co_u32 v1, vcc_lo, v1, 8
	s_delay_alu instid0(VALU_DEP_2)
	v_add_co_ci_u32_e32 v2, vcc_lo, 0, v2, vcc_lo
	.p2align	6
.LBB381_2:                              ; =>This Inner Loop Header: Depth=1
	global_load_b128 v[5:8], v[1:2], off offset:-8
	v_add_co_u32 v1, vcc_lo, 0x4000, v1
	v_add_co_ci_u32_e32 v2, vcc_lo, 0, v2, vcc_lo
	v_add_nc_u32_e32 v4, 0x1000, v4
	s_delay_alu instid0(VALU_DEP_1) | instskip(NEXT) | instid1(VALU_DEP_1)
	v_cmp_le_i32_e64 s0, s1, v4
	s_or_b32 s12, s0, s12
	s_waitcnt vmcnt(0)
	v_add_f32_e32 v3, v3, v5
	s_delay_alu instid0(VALU_DEP_1) | instskip(NEXT) | instid1(VALU_DEP_1)
	v_add_f32_e32 v3, v3, v6
	v_add_f32_e32 v3, v3, v7
	s_delay_alu instid0(VALU_DEP_1)
	v_add_f32_e32 v3, v3, v8
	s_and_not1_b32 exec_lo, exec_lo, s12
	s_cbranch_execnz .LBB381_2
; %bb.3:
	s_or_b32 exec_lo, exec_lo, s12
.LBB381_4:
	s_delay_alu instid0(SALU_CYCLE_1) | instskip(SKIP_1) | instid1(SALU_CYCLE_1)
	s_or_b32 exec_lo, exec_lo, s11
	s_sub_i32 s0, s10, s1
	v_cmp_gt_u32_e32 vcc_lo, s0, v0
	s_and_saveexec_b32 s0, vcc_lo
	s_cbranch_execz .LBB381_6
; %bb.5:
	v_xad_u32 v1, v0, -1, s10
	v_mov_b32_e32 v2, 0
	s_lshl_b64 s[8:9], s[8:9], 2
	s_delay_alu instid0(SALU_CYCLE_1) | instskip(SKIP_1) | instid1(VALU_DEP_1)
	s_add_u32 s1, s4, s8
	s_addc_u32 s4, s5, s9
	v_lshlrev_b64 v[1:2], 2, v[1:2]
	s_delay_alu instid0(VALU_DEP_1) | instskip(NEXT) | instid1(VALU_DEP_2)
	v_add_co_u32 v1, vcc_lo, s1, v1
	v_add_co_ci_u32_e32 v2, vcc_lo, s4, v2, vcc_lo
	global_load_b32 v1, v[1:2], off
	s_waitcnt vmcnt(0)
	v_add_f32_e32 v3, v3, v1
.LBB381_6:
	s_or_b32 exec_lo, exec_lo, s0
	v_and_b32_e32 v7, 31, v0
	v_cmp_gt_u32_e32 vcc_lo, 32, v0
	s_delay_alu instid0(VALU_DEP_2)
	v_lshlrev_b32_e32 v1, 2, v7
	s_and_saveexec_b32 s0, vcc_lo
	s_cbranch_execz .LBB381_8
; %bb.7:
	v_mov_b32_e32 v2, 0
	ds_store_b32 v1, v2
.LBB381_8:
	s_or_b32 exec_lo, exec_lo, s0
	v_mbcnt_lo_u32_b32 v6, -1, 0
	s_mov_b32 s1, exec_lo
	s_waitcnt lgkmcnt(0)
	s_barrier
	buffer_gl0_inv
	v_cmp_gt_u32_e64 s0, 16, v6
	s_delay_alu instid0(VALU_DEP_1) | instskip(SKIP_1) | instid1(VALU_DEP_2)
	v_cndmask_b32_e64 v2, 0, 1, s0
	v_cmp_gt_u32_e64 s0, 24, v6
	v_lshlrev_b32_e32 v2, 4, v2
	s_delay_alu instid0(VALU_DEP_2) | instskip(SKIP_1) | instid1(VALU_DEP_3)
	v_cndmask_b32_e64 v4, 0, 1, s0
	v_cmp_gt_u32_e64 s0, 28, v6
	v_add_lshl_u32 v2, v2, v6, 2
	s_delay_alu instid0(VALU_DEP_3)
	v_lshlrev_b32_e32 v4, 3, v4
	ds_bpermute_b32 v5, v2, v3
	v_add_lshl_u32 v4, v4, v6, 2
	s_waitcnt lgkmcnt(0)
	v_add_f32_e32 v5, v3, v5
	v_cndmask_b32_e64 v3, 0, 1, s0
	v_cmp_gt_u32_e64 s0, 30, v6
	ds_bpermute_b32 v8, v4, v5
	s_waitcnt lgkmcnt(0)
	v_dual_add_f32 v8, v5, v8 :: v_dual_lshlrev_b32 v3, 2, v3
	s_delay_alu instid0(VALU_DEP_1) | instskip(SKIP_4) | instid1(VALU_DEP_1)
	v_add_lshl_u32 v3, v3, v6, 2
	v_cndmask_b32_e64 v5, 0, 1, s0
	v_cmp_ne_u32_e64 s0, 31, v6
	ds_bpermute_b32 v9, v3, v8
	v_lshlrev_b32_e32 v5, 1, v5
	v_add_lshl_u32 v5, v5, v6, 2
	v_add_co_ci_u32_e64 v6, s0, 0, v6, s0
	s_delay_alu instid0(VALU_DEP_1)
	v_lshlrev_b32_e32 v6, 2, v6
	s_waitcnt lgkmcnt(0)
	v_add_f32_e32 v8, v8, v9
	ds_bpermute_b32 v9, v5, v8
	s_waitcnt lgkmcnt(0)
	v_add_f32_e32 v8, v8, v9
	ds_bpermute_b32 v9, v6, v8
	v_cmpx_eq_u32_e32 0, v7
	s_cbranch_execz .LBB381_10
; %bb.9:
	v_lshrrev_b32_e32 v7, 3, v0
	s_waitcnt lgkmcnt(0)
	s_delay_alu instid0(VALU_DEP_1)
	v_dual_add_f32 v8, v8, v9 :: v_dual_and_b32 v7, 0x7c, v7
	ds_store_b32 v7, v8
.LBB381_10:
	s_or_b32 exec_lo, exec_lo, s1
	v_mov_b32_e32 v7, 0
	s_waitcnt lgkmcnt(0)
	s_barrier
	buffer_gl0_inv
	s_and_saveexec_b32 s0, vcc_lo
	s_cbranch_execz .LBB381_12
; %bb.11:
	ds_load_b32 v7, v1
.LBB381_12:
	s_or_b32 exec_lo, exec_lo, s0
	s_and_saveexec_b32 s0, vcc_lo
	s_cbranch_execz .LBB381_14
; %bb.13:
	s_waitcnt lgkmcnt(0)
	ds_bpermute_b32 v1, v2, v7
	s_waitcnt lgkmcnt(0)
	v_add_f32_e32 v1, v7, v1
	ds_bpermute_b32 v2, v4, v1
	s_waitcnt lgkmcnt(0)
	v_add_f32_e32 v1, v1, v2
	;; [unrolled: 3-line block ×5, first 2 shown]
.LBB381_14:
	s_or_b32 exec_lo, exec_lo, s0
	s_delay_alu instid0(SALU_CYCLE_1)
	s_mov_b32 s0, exec_lo
	v_cmpx_eq_u32_e32 0, v0
	s_cbranch_execz .LBB381_16
; %bb.15:
	s_lshl_b64 s[0:1], s[2:3], 1
	v_mov_b32_e32 v0, 0
	s_waitcnt lgkmcnt(0)
	v_cvt_f16_f32_e32 v1, v7
	s_add_u32 s0, s6, s0
	s_addc_u32 s1, s7, s1
	global_store_b16 v0, v1, s[0:1]
.LBB381_16:
	s_nop 0
	s_sendmsg sendmsg(MSG_DEALLOC_VGPRS)
	s_endpgm
	.section	.rodata,"a",@progbits
	.p2align	6, 0x0
	.amdhsa_kernel _ZL30rocblas_reduction_kernel_part2ILi1024ELi4E25rocblas_finalize_identityfDF16_EviPT2_PT3_
		.amdhsa_group_segment_fixed_size 128
		.amdhsa_private_segment_fixed_size 0
		.amdhsa_kernarg_size 24
		.amdhsa_user_sgpr_count 15
		.amdhsa_user_sgpr_dispatch_ptr 0
		.amdhsa_user_sgpr_queue_ptr 0
		.amdhsa_user_sgpr_kernarg_segment_ptr 1
		.amdhsa_user_sgpr_dispatch_id 0
		.amdhsa_user_sgpr_private_segment_size 0
		.amdhsa_wavefront_size32 1
		.amdhsa_uses_dynamic_stack 0
		.amdhsa_enable_private_segment 0
		.amdhsa_system_sgpr_workgroup_id_x 1
		.amdhsa_system_sgpr_workgroup_id_y 0
		.amdhsa_system_sgpr_workgroup_id_z 0
		.amdhsa_system_sgpr_workgroup_info 0
		.amdhsa_system_vgpr_workitem_id 0
		.amdhsa_next_free_vgpr 10
		.amdhsa_next_free_sgpr 16
		.amdhsa_reserve_vcc 1
		.amdhsa_float_round_mode_32 0
		.amdhsa_float_round_mode_16_64 0
		.amdhsa_float_denorm_mode_32 3
		.amdhsa_float_denorm_mode_16_64 3
		.amdhsa_dx10_clamp 1
		.amdhsa_ieee_mode 1
		.amdhsa_fp16_overflow 0
		.amdhsa_workgroup_processor_mode 1
		.amdhsa_memory_ordered 1
		.amdhsa_forward_progress 0
		.amdhsa_shared_vgpr_count 0
		.amdhsa_exception_fp_ieee_invalid_op 0
		.amdhsa_exception_fp_denorm_src 0
		.amdhsa_exception_fp_ieee_div_zero 0
		.amdhsa_exception_fp_ieee_overflow 0
		.amdhsa_exception_fp_ieee_underflow 0
		.amdhsa_exception_fp_ieee_inexact 0
		.amdhsa_exception_int_div_zero 0
	.end_amdhsa_kernel
	.section	.text._ZL30rocblas_reduction_kernel_part2ILi1024ELi4E25rocblas_finalize_identityfDF16_EviPT2_PT3_,"axG",@progbits,_ZL30rocblas_reduction_kernel_part2ILi1024ELi4E25rocblas_finalize_identityfDF16_EviPT2_PT3_,comdat
.Lfunc_end381:
	.size	_ZL30rocblas_reduction_kernel_part2ILi1024ELi4E25rocblas_finalize_identityfDF16_EviPT2_PT3_, .Lfunc_end381-_ZL30rocblas_reduction_kernel_part2ILi1024ELi4E25rocblas_finalize_identityfDF16_EviPT2_PT3_
                                        ; -- End function
	.section	.AMDGPU.csdata,"",@progbits
; Kernel info:
; codeLenInByte = 864
; NumSgprs: 18
; NumVgprs: 10
; ScratchSize: 0
; MemoryBound: 0
; FloatMode: 240
; IeeeMode: 1
; LDSByteSize: 128 bytes/workgroup (compile time only)
; SGPRBlocks: 2
; VGPRBlocks: 1
; NumSGPRsForWavesPerEU: 18
; NumVGPRsForWavesPerEU: 10
; Occupancy: 16
; WaveLimiterHint : 0
; COMPUTE_PGM_RSRC2:SCRATCH_EN: 0
; COMPUTE_PGM_RSRC2:USER_SGPR: 15
; COMPUTE_PGM_RSRC2:TRAP_HANDLER: 0
; COMPUTE_PGM_RSRC2:TGID_X_EN: 1
; COMPUTE_PGM_RSRC2:TGID_Y_EN: 0
; COMPUTE_PGM_RSRC2:TGID_Z_EN: 0
; COMPUTE_PGM_RSRC2:TIDIG_COMP_CNT: 0
	.section	.text._ZL23rocblas_dot_kernel_inc1ILb0ELi512ELi8ELb0EDF16_PKDF16_fEviT4_llS2_lliPT5_PT3_,"axG",@progbits,_ZL23rocblas_dot_kernel_inc1ILb0ELi512ELi8ELb0EDF16_PKDF16_fEviT4_llS2_lliPT5_PT3_,comdat
	.globl	_ZL23rocblas_dot_kernel_inc1ILb0ELi512ELi8ELb0EDF16_PKDF16_fEviT4_llS2_lliPT5_PT3_ ; -- Begin function _ZL23rocblas_dot_kernel_inc1ILb0ELi512ELi8ELb0EDF16_PKDF16_fEviT4_llS2_lliPT5_PT3_
	.p2align	8
	.type	_ZL23rocblas_dot_kernel_inc1ILb0ELi512ELi8ELb0EDF16_PKDF16_fEviT4_llS2_lliPT5_PT3_,@function
_ZL23rocblas_dot_kernel_inc1ILb0ELi512ELi8ELb0EDF16_PKDF16_fEviT4_llS2_lliPT5_PT3_: ; @_ZL23rocblas_dot_kernel_inc1ILb0ELi512ELi8ELb0EDF16_PKDF16_fEviT4_llS2_lliPT5_PT3_
; %bb.0:
	s_clause 0x2
	s_load_b32 s12, s[0:1], 0x50
	s_load_b32 s13, s[0:1], 0x0
	s_load_b128 s[4:7], s[0:1], 0x40
	v_lshl_or_b32 v1, s14, 9, v0
	v_mov_b32_e32 v4, 0
	s_mov_b32 s2, s15
	s_mov_b32 s3, 0
	s_mov_b32 s15, exec_lo
	s_waitcnt lgkmcnt(0)
	v_cmpx_gt_i32_e64 s13, v1
	s_cbranch_execz .LBB382_4
; %bb.1:
	s_clause 0x3
	s_load_b128 s[8:11], s[0:1], 0x10
	s_load_b128 s[20:23], s[0:1], 0x28
	s_load_b64 s[16:17], s[0:1], 0x8
	s_load_b64 s[18:19], s[0:1], 0x20
	v_ashrrev_i32_e32 v2, 31, v1
	s_delay_alu instid0(VALU_DEP_1)
	v_lshlrev_b64 v[2:3], 1, v[1:2]
	s_waitcnt lgkmcnt(0)
	s_mul_i32 s1, s2, s11
	s_mul_hi_u32 s11, s2, s10
	s_mul_i32 s0, s2, s10
	s_add_i32 s1, s11, s1
	s_mul_i32 s11, s2, s23
	s_lshl_b64 s[0:1], s[0:1], 1
	s_mul_hi_u32 s23, s2, s22
	s_add_u32 s0, s16, s0
	s_addc_u32 s16, s17, s1
	s_lshl_b64 s[8:9], s[8:9], 1
	s_mul_i32 s10, s2, s22
	s_add_u32 s1, s0, s8
	s_addc_u32 s16, s16, s9
	s_add_i32 s11, s23, s11
	s_delay_alu instid0(SALU_CYCLE_1) | instskip(NEXT) | instid1(SALU_CYCLE_1)
	s_lshl_b64 s[8:9], s[10:11], 1
	s_add_u32 s0, s18, s8
	s_addc_u32 s10, s19, s9
	s_lshl_b64 s[8:9], s[20:21], 1
	s_mov_b32 s19, s3
	s_add_u32 s17, s0, s8
	s_addc_u32 s18, s10, s9
	s_lshl_b32 s8, s12, 9
	s_delay_alu instid0(SALU_CYCLE_1) | instskip(SKIP_1) | instid1(SALU_CYCLE_1)
	v_dual_mov_b32 v4, 0 :: v_dual_add_nc_u32 v1, s8, v1
	s_ashr_i32 s9, s8, 31
	s_lshl_b64 s[10:11], s[8:9], 1
	s_mov_b32 s9, s3
	.p2align	6
.LBB382_2:                              ; =>This Inner Loop Header: Depth=1
	v_add_co_u32 v5, vcc_lo, s17, v2
	v_add_co_ci_u32_e32 v6, vcc_lo, s18, v3, vcc_lo
	v_add_co_u32 v7, vcc_lo, s1, v2
	v_add_co_ci_u32_e32 v8, vcc_lo, s16, v3, vcc_lo
	s_add_i32 s20, s19, 1
	global_load_u16 v5, v[5:6], off
	global_load_u16 v6, v[7:8], off
	v_cmp_le_i32_e32 vcc_lo, s13, v1
	v_add_co_u32 v2, s0, v2, s10
	s_cmp_gt_u32 s19, 6
	v_add_co_ci_u32_e64 v3, s0, s11, v3, s0
	s_cselect_b32 s0, -1, 0
	v_add_nc_u32_e32 v1, s8, v1
	s_or_b32 s0, s0, vcc_lo
	s_mov_b32 s19, s20
	s_and_b32 s0, exec_lo, s0
	s_delay_alu instid0(SALU_CYCLE_1)
	s_or_b32 s9, s0, s9
	s_waitcnt vmcnt(0)
	v_fma_mix_f32 v4, v5, v6, v4 op_sel_hi:[1,1,0]
	s_and_not1_b32 exec_lo, exec_lo, s9
	s_cbranch_execnz .LBB382_2
; %bb.3:
	s_or_b32 exec_lo, exec_lo, s9
.LBB382_4:
	s_delay_alu instid0(SALU_CYCLE_1) | instskip(SKIP_2) | instid1(VALU_DEP_2)
	s_or_b32 exec_lo, exec_lo, s15
	v_and_b32_e32 v2, 31, v0
	v_cmp_gt_u32_e32 vcc_lo, 32, v0
	v_lshlrev_b32_e32 v1, 2, v2
	s_and_saveexec_b32 s0, vcc_lo
	s_cbranch_execz .LBB382_6
; %bb.5:
	v_mov_b32_e32 v3, 0
	ds_store_b32 v1, v3
.LBB382_6:
	s_or_b32 exec_lo, exec_lo, s0
	v_mbcnt_lo_u32_b32 v6, -1, 0
	s_mov_b32 s1, exec_lo
	s_waitcnt lgkmcnt(0)
	s_barrier
	buffer_gl0_inv
	v_cmp_gt_u32_e64 s0, 16, v6
	s_delay_alu instid0(VALU_DEP_1) | instskip(SKIP_1) | instid1(VALU_DEP_2)
	v_cndmask_b32_e64 v3, 0, 1, s0
	v_cmp_gt_u32_e64 s0, 24, v6
	v_lshlrev_b32_e32 v3, 4, v3
	s_delay_alu instid0(VALU_DEP_1) | instskip(SKIP_3) | instid1(VALU_DEP_2)
	v_add_lshl_u32 v3, v3, v6, 2
	ds_bpermute_b32 v5, v3, v4
	v_cndmask_b32_e64 v3, 0, 1, s0
	v_cmp_gt_u32_e64 s0, 28, v6
	v_lshlrev_b32_e32 v3, 3, v3
	s_delay_alu instid0(VALU_DEP_1) | instskip(SKIP_4) | instid1(VALU_DEP_2)
	v_add_lshl_u32 v3, v3, v6, 2
	s_waitcnt lgkmcnt(0)
	v_add_f32_e32 v5, v4, v5
	v_cndmask_b32_e64 v4, 0, 1, s0
	v_cmp_gt_u32_e64 s0, 30, v6
	v_lshlrev_b32_e32 v4, 2, v4
	ds_bpermute_b32 v7, v3, v5
	v_add_lshl_u32 v4, v4, v6, 2
	s_waitcnt lgkmcnt(0)
	v_add_f32_e32 v7, v5, v7
	v_cndmask_b32_e64 v5, 0, 1, s0
	v_cmp_ne_u32_e64 s0, 31, v6
	s_delay_alu instid0(VALU_DEP_2) | instskip(NEXT) | instid1(VALU_DEP_1)
	v_lshlrev_b32_e32 v5, 1, v5
	v_add_lshl_u32 v5, v5, v6, 2
	s_delay_alu instid0(VALU_DEP_3) | instskip(NEXT) | instid1(VALU_DEP_1)
	v_add_co_ci_u32_e64 v6, s0, 0, v6, s0
	v_lshlrev_b32_e32 v6, 2, v6
	ds_bpermute_b32 v8, v4, v7
	s_waitcnt lgkmcnt(0)
	v_add_f32_e32 v7, v7, v8
	ds_bpermute_b32 v8, v5, v7
	s_waitcnt lgkmcnt(0)
	v_add_f32_e32 v7, v7, v8
	ds_bpermute_b32 v8, v6, v7
	v_cmpx_eq_u32_e32 0, v2
	s_cbranch_execz .LBB382_8
; %bb.7:
	v_lshrrev_b32_e32 v2, 3, v0
	s_waitcnt lgkmcnt(0)
	s_delay_alu instid0(VALU_DEP_1)
	v_dual_add_f32 v7, v7, v8 :: v_dual_and_b32 v2, 60, v2
	ds_store_b32 v2, v7
.LBB382_8:
	s_or_b32 exec_lo, exec_lo, s1
	v_mov_b32_e32 v2, 0
	s_mov_b32 s1, exec_lo
	s_waitcnt lgkmcnt(0)
	s_barrier
	buffer_gl0_inv
	v_cmpx_gt_u32_e32 16, v0
	s_cbranch_execz .LBB382_10
; %bb.9:
	ds_load_b32 v2, v1
.LBB382_10:
	s_or_b32 exec_lo, exec_lo, s1
	s_and_saveexec_b32 s0, vcc_lo
	s_cbranch_execz .LBB382_12
; %bb.11:
	s_waitcnt lgkmcnt(0)
	ds_bpermute_b32 v1, v3, v2
	s_waitcnt lgkmcnt(0)
	v_add_f32_e32 v1, v2, v1
	ds_bpermute_b32 v2, v4, v1
	s_waitcnt lgkmcnt(0)
	v_add_f32_e32 v1, v1, v2
	;; [unrolled: 3-line block ×4, first 2 shown]
.LBB382_12:
	s_or_b32 exec_lo, exec_lo, s0
	s_delay_alu instid0(SALU_CYCLE_1)
	s_mov_b32 s0, exec_lo
	v_cmpx_eq_u32_e32 0, v0
	s_cbranch_execz .LBB382_17
; %bb.13:
	s_cmp_lg_u32 s12, 1
	s_mov_b32 s15, -1
	s_cbranch_scc0 .LBB382_15
; %bb.14:
	s_mul_hi_u32 s1, s12, s2
	s_mul_i32 s0, s12, s2
	s_mov_b32 s15, 0
	s_lshl_b64 s[0:1], s[0:1], 2
	v_mov_b32_e32 v0, 0
	s_add_u32 s4, s4, s0
	s_addc_u32 s5, s5, s1
	s_lshl_b64 s[0:1], s[14:15], 2
	s_delay_alu instid0(SALU_CYCLE_1)
	s_add_u32 s0, s4, s0
	s_addc_u32 s1, s5, s1
	s_waitcnt lgkmcnt(0)
	global_store_b32 v0, v2, s[0:1]
.LBB382_15:
	s_and_not1_b32 vcc_lo, exec_lo, s15
	s_cbranch_vccnz .LBB382_17
; %bb.16:
	s_waitcnt lgkmcnt(0)
	v_cvt_f16_f32_e32 v0, v2
	s_lshl_b64 s[0:1], s[2:3], 1
	v_mov_b32_e32 v1, 0
	s_add_u32 s0, s6, s0
	s_addc_u32 s1, s7, s1
	global_store_b16 v1, v0, s[0:1]
.LBB382_17:
	s_nop 0
	s_sendmsg sendmsg(MSG_DEALLOC_VGPRS)
	s_endpgm
	.section	.rodata,"a",@progbits
	.p2align	6, 0x0
	.amdhsa_kernel _ZL23rocblas_dot_kernel_inc1ILb0ELi512ELi8ELb0EDF16_PKDF16_fEviT4_llS2_lliPT5_PT3_
		.amdhsa_group_segment_fixed_size 128
		.amdhsa_private_segment_fixed_size 0
		.amdhsa_kernarg_size 336
		.amdhsa_user_sgpr_count 14
		.amdhsa_user_sgpr_dispatch_ptr 0
		.amdhsa_user_sgpr_queue_ptr 0
		.amdhsa_user_sgpr_kernarg_segment_ptr 1
		.amdhsa_user_sgpr_dispatch_id 0
		.amdhsa_user_sgpr_private_segment_size 0
		.amdhsa_wavefront_size32 1
		.amdhsa_uses_dynamic_stack 0
		.amdhsa_enable_private_segment 0
		.amdhsa_system_sgpr_workgroup_id_x 1
		.amdhsa_system_sgpr_workgroup_id_y 0
		.amdhsa_system_sgpr_workgroup_id_z 1
		.amdhsa_system_sgpr_workgroup_info 0
		.amdhsa_system_vgpr_workitem_id 0
		.amdhsa_next_free_vgpr 9
		.amdhsa_next_free_sgpr 24
		.amdhsa_reserve_vcc 1
		.amdhsa_float_round_mode_32 0
		.amdhsa_float_round_mode_16_64 0
		.amdhsa_float_denorm_mode_32 3
		.amdhsa_float_denorm_mode_16_64 3
		.amdhsa_dx10_clamp 1
		.amdhsa_ieee_mode 1
		.amdhsa_fp16_overflow 0
		.amdhsa_workgroup_processor_mode 1
		.amdhsa_memory_ordered 1
		.amdhsa_forward_progress 0
		.amdhsa_shared_vgpr_count 0
		.amdhsa_exception_fp_ieee_invalid_op 0
		.amdhsa_exception_fp_denorm_src 0
		.amdhsa_exception_fp_ieee_div_zero 0
		.amdhsa_exception_fp_ieee_overflow 0
		.amdhsa_exception_fp_ieee_underflow 0
		.amdhsa_exception_fp_ieee_inexact 0
		.amdhsa_exception_int_div_zero 0
	.end_amdhsa_kernel
	.section	.text._ZL23rocblas_dot_kernel_inc1ILb0ELi512ELi8ELb0EDF16_PKDF16_fEviT4_llS2_lliPT5_PT3_,"axG",@progbits,_ZL23rocblas_dot_kernel_inc1ILb0ELi512ELi8ELb0EDF16_PKDF16_fEviT4_llS2_lliPT5_PT3_,comdat
.Lfunc_end382:
	.size	_ZL23rocblas_dot_kernel_inc1ILb0ELi512ELi8ELb0EDF16_PKDF16_fEviT4_llS2_lliPT5_PT3_, .Lfunc_end382-_ZL23rocblas_dot_kernel_inc1ILb0ELi512ELi8ELb0EDF16_PKDF16_fEviT4_llS2_lliPT5_PT3_
                                        ; -- End function
	.section	.AMDGPU.csdata,"",@progbits
; Kernel info:
; codeLenInByte = 956
; NumSgprs: 26
; NumVgprs: 9
; ScratchSize: 0
; MemoryBound: 0
; FloatMode: 240
; IeeeMode: 1
; LDSByteSize: 128 bytes/workgroup (compile time only)
; SGPRBlocks: 3
; VGPRBlocks: 1
; NumSGPRsForWavesPerEU: 26
; NumVGPRsForWavesPerEU: 9
; Occupancy: 16
; WaveLimiterHint : 0
; COMPUTE_PGM_RSRC2:SCRATCH_EN: 0
; COMPUTE_PGM_RSRC2:USER_SGPR: 14
; COMPUTE_PGM_RSRC2:TRAP_HANDLER: 0
; COMPUTE_PGM_RSRC2:TGID_X_EN: 1
; COMPUTE_PGM_RSRC2:TGID_Y_EN: 0
; COMPUTE_PGM_RSRC2:TGID_Z_EN: 1
; COMPUTE_PGM_RSRC2:TIDIG_COMP_CNT: 0
	.section	.text._ZL18rocblas_dot_kernelIiLb0ELi512ELi8ELb0EDF16_PKDF16_fEviT5_lT_lS2_lS3_liPT6_PT4_,"axG",@progbits,_ZL18rocblas_dot_kernelIiLb0ELi512ELi8ELb0EDF16_PKDF16_fEviT5_lT_lS2_lS3_liPT6_PT4_,comdat
	.globl	_ZL18rocblas_dot_kernelIiLb0ELi512ELi8ELb0EDF16_PKDF16_fEviT5_lT_lS2_lS3_liPT6_PT4_ ; -- Begin function _ZL18rocblas_dot_kernelIiLb0ELi512ELi8ELb0EDF16_PKDF16_fEviT5_lT_lS2_lS3_liPT6_PT4_
	.p2align	8
	.type	_ZL18rocblas_dot_kernelIiLb0ELi512ELi8ELb0EDF16_PKDF16_fEviT5_lT_lS2_lS3_liPT6_PT4_,@function
_ZL18rocblas_dot_kernelIiLb0ELi512ELi8ELb0EDF16_PKDF16_fEviT5_lT_lS2_lS3_liPT6_PT4_: ; @_ZL18rocblas_dot_kernelIiLb0ELi512ELi8ELb0EDF16_PKDF16_fEviT5_lT_lS2_lS3_liPT6_PT4_
; %bb.0:
	s_clause 0x2
	s_load_b32 s12, s[0:1], 0x60
	s_load_b32 s13, s[0:1], 0x0
	s_load_b128 s[4:7], s[0:1], 0x50
	v_lshl_or_b32 v1, s14, 9, v0
	v_mov_b32_e32 v6, 0
	s_mov_b32 s2, s15
	s_mov_b32 s3, 0
	s_mov_b32 s15, exec_lo
	s_waitcnt lgkmcnt(0)
	v_cmpx_gt_i32_e64 s13, v1
	s_cbranch_execz .LBB383_4
; %bb.1:
	s_clause 0x5
	s_load_b32 s17, s[0:1], 0x18
	s_load_b128 s[8:11], s[0:1], 0x20
	s_load_b128 s[20:23], s[0:1], 0x8
	s_load_b32 s26, s[0:1], 0x38
	s_load_b64 s[18:19], s[0:1], 0x40
	s_load_b64 s[0:1], s[0:1], 0x30
	s_lshl_b32 s16, s12, 9
	s_delay_alu instid0(SALU_CYCLE_1)
	v_add_nc_u32_e32 v5, s16, v1
	s_waitcnt lgkmcnt(0)
	v_mad_i64_i32 v[2:3], null, s17, v1, 0
	s_mul_i32 s9, s9, s2
	s_mul_hi_u32 s27, s8, s2
	v_mad_i64_i32 v[6:7], null, s26, v1, 0
	s_mul_i32 s8, s8, s2
	s_add_i32 s9, s27, s9
	s_lshl_b64 s[22:23], s[22:23], 1
	s_lshl_b64 s[8:9], s[8:9], 1
	s_add_u32 s20, s20, s22
	s_mul_hi_i32 s25, s17, s16
	s_mul_i32 s24, s17, s16
	s_mul_i32 s17, s19, s2
	s_mul_hi_u32 s19, s18, s2
	s_addc_u32 s21, s21, s23
	v_lshlrev_b64 v[1:2], 1, v[2:3]
	s_add_u32 s20, s20, s8
	s_mul_i32 s18, s18, s2
	s_addc_u32 s21, s21, s9
	s_add_i32 s19, s19, s17
	v_lshlrev_b64 v[3:4], 1, v[6:7]
	v_mov_b32_e32 v6, 0
	s_lshl_b64 s[0:1], s[0:1], 1
	s_lshl_b64 s[8:9], s[24:25], 1
	;; [unrolled: 1-line block ×3, first 2 shown]
	s_add_u32 s0, s10, s0
	v_add_co_u32 v1, vcc_lo, s20, v1
	s_addc_u32 s1, s11, s1
	s_add_u32 s0, s0, s18
	v_add_co_ci_u32_e32 v2, vcc_lo, s21, v2, vcc_lo
	s_addc_u32 s1, s1, s19
	v_add_co_u32 v3, vcc_lo, s0, v3
	v_add_co_ci_u32_e32 v4, vcc_lo, s1, v4, vcc_lo
	s_mul_hi_i32 s1, s26, s16
	s_mul_i32 s0, s26, s16
	s_mov_b32 s17, s3
	s_lshl_b64 s[10:11], s[0:1], 1
	s_mov_b32 s1, s3
	.p2align	6
.LBB383_2:                              ; =>This Inner Loop Header: Depth=1
	global_load_u16 v7, v[3:4], off
	global_load_u16 v8, v[1:2], off
	v_add_co_u32 v1, s0, v1, s8
	s_delay_alu instid0(VALU_DEP_1)
	v_add_co_ci_u32_e64 v2, s0, s9, v2, s0
	s_add_i32 s18, s17, 1
	v_cmp_le_i32_e32 vcc_lo, s13, v5
	v_add_co_u32 v3, s0, v3, s10
	s_cmp_gt_u32 s17, 6
	v_add_co_ci_u32_e64 v4, s0, s11, v4, s0
	s_cselect_b32 s0, -1, 0
	v_add_nc_u32_e32 v5, s16, v5
	s_or_b32 s0, s0, vcc_lo
	s_mov_b32 s17, s18
	s_and_b32 s0, exec_lo, s0
	s_delay_alu instid0(SALU_CYCLE_1)
	s_or_b32 s1, s0, s1
	s_waitcnt vmcnt(0)
	v_fma_mix_f32 v6, v7, v8, v6 op_sel_hi:[1,1,0]
	s_and_not1_b32 exec_lo, exec_lo, s1
	s_cbranch_execnz .LBB383_2
; %bb.3:
	s_or_b32 exec_lo, exec_lo, s1
.LBB383_4:
	s_delay_alu instid0(SALU_CYCLE_1) | instskip(SKIP_2) | instid1(VALU_DEP_2)
	s_or_b32 exec_lo, exec_lo, s15
	v_and_b32_e32 v2, 31, v0
	v_cmp_gt_u32_e32 vcc_lo, 32, v0
	v_lshlrev_b32_e32 v1, 2, v2
	s_and_saveexec_b32 s0, vcc_lo
	s_cbranch_execz .LBB383_6
; %bb.5:
	v_mov_b32_e32 v3, 0
	ds_store_b32 v1, v3
.LBB383_6:
	s_or_b32 exec_lo, exec_lo, s0
	v_mbcnt_lo_u32_b32 v7, -1, 0
	s_mov_b32 s1, exec_lo
	s_waitcnt lgkmcnt(0)
	s_barrier
	buffer_gl0_inv
	v_cmp_gt_u32_e64 s0, 16, v7
	s_delay_alu instid0(VALU_DEP_1) | instskip(SKIP_1) | instid1(VALU_DEP_2)
	v_cndmask_b32_e64 v3, 0, 1, s0
	v_cmp_gt_u32_e64 s0, 24, v7
	v_lshlrev_b32_e32 v3, 4, v3
	s_delay_alu instid0(VALU_DEP_1) | instskip(SKIP_3) | instid1(VALU_DEP_2)
	v_add_lshl_u32 v3, v3, v7, 2
	ds_bpermute_b32 v4, v3, v6
	v_cndmask_b32_e64 v3, 0, 1, s0
	v_cmp_gt_u32_e64 s0, 28, v7
	v_lshlrev_b32_e32 v3, 3, v3
	s_delay_alu instid0(VALU_DEP_1)
	v_add_lshl_u32 v3, v3, v7, 2
	s_waitcnt lgkmcnt(0)
	v_add_f32_e32 v5, v6, v4
	v_cndmask_b32_e64 v4, 0, 1, s0
	v_cmp_gt_u32_e64 s0, 30, v7
	ds_bpermute_b32 v6, v3, v5
	v_lshlrev_b32_e32 v4, 2, v4
	s_delay_alu instid0(VALU_DEP_1)
	v_add_lshl_u32 v4, v4, v7, 2
	s_waitcnt lgkmcnt(0)
	v_add_f32_e32 v6, v5, v6
	v_cndmask_b32_e64 v5, 0, 1, s0
	v_cmp_ne_u32_e64 s0, 31, v7
	ds_bpermute_b32 v8, v4, v6
	v_lshlrev_b32_e32 v5, 1, v5
	v_add_co_ci_u32_e64 v9, s0, 0, v7, s0
	s_delay_alu instid0(VALU_DEP_2)
	v_add_lshl_u32 v5, v5, v7, 2
	s_waitcnt lgkmcnt(0)
	v_add_f32_e32 v6, v6, v8
	ds_bpermute_b32 v8, v5, v6
	s_waitcnt lgkmcnt(0)
	v_dual_add_f32 v7, v6, v8 :: v_dual_lshlrev_b32 v6, 2, v9
	ds_bpermute_b32 v8, v6, v7
	v_cmpx_eq_u32_e32 0, v2
	s_cbranch_execz .LBB383_8
; %bb.7:
	v_lshrrev_b32_e32 v2, 3, v0
	s_waitcnt lgkmcnt(0)
	s_delay_alu instid0(VALU_DEP_1)
	v_dual_add_f32 v7, v7, v8 :: v_dual_and_b32 v2, 60, v2
	ds_store_b32 v2, v7
.LBB383_8:
	s_or_b32 exec_lo, exec_lo, s1
	v_mov_b32_e32 v2, 0
	s_mov_b32 s1, exec_lo
	s_waitcnt lgkmcnt(0)
	s_barrier
	buffer_gl0_inv
	v_cmpx_gt_u32_e32 16, v0
	s_cbranch_execz .LBB383_10
; %bb.9:
	ds_load_b32 v2, v1
.LBB383_10:
	s_or_b32 exec_lo, exec_lo, s1
	s_and_saveexec_b32 s0, vcc_lo
	s_cbranch_execz .LBB383_12
; %bb.11:
	s_waitcnt lgkmcnt(0)
	ds_bpermute_b32 v1, v3, v2
	s_waitcnt lgkmcnt(0)
	v_add_f32_e32 v1, v2, v1
	ds_bpermute_b32 v2, v4, v1
	s_waitcnt lgkmcnt(0)
	v_add_f32_e32 v1, v1, v2
	;; [unrolled: 3-line block ×4, first 2 shown]
.LBB383_12:
	s_or_b32 exec_lo, exec_lo, s0
	s_delay_alu instid0(SALU_CYCLE_1)
	s_mov_b32 s0, exec_lo
	v_cmpx_eq_u32_e32 0, v0
	s_cbranch_execz .LBB383_17
; %bb.13:
	s_cmp_lg_u32 s12, 1
	s_mov_b32 s15, -1
	s_cbranch_scc0 .LBB383_15
; %bb.14:
	s_mul_hi_u32 s1, s12, s2
	s_mul_i32 s0, s12, s2
	s_mov_b32 s15, 0
	s_lshl_b64 s[0:1], s[0:1], 2
	v_mov_b32_e32 v0, 0
	s_add_u32 s4, s4, s0
	s_addc_u32 s5, s5, s1
	s_lshl_b64 s[0:1], s[14:15], 2
	s_delay_alu instid0(SALU_CYCLE_1)
	s_add_u32 s0, s4, s0
	s_addc_u32 s1, s5, s1
	s_waitcnt lgkmcnt(0)
	global_store_b32 v0, v2, s[0:1]
.LBB383_15:
	s_and_not1_b32 vcc_lo, exec_lo, s15
	s_cbranch_vccnz .LBB383_17
; %bb.16:
	s_waitcnt lgkmcnt(0)
	v_cvt_f16_f32_e32 v0, v2
	s_lshl_b64 s[0:1], s[2:3], 1
	v_mov_b32_e32 v1, 0
	s_add_u32 s0, s6, s0
	s_addc_u32 s1, s7, s1
	global_store_b16 v1, v0, s[0:1]
.LBB383_17:
	s_nop 0
	s_sendmsg sendmsg(MSG_DEALLOC_VGPRS)
	s_endpgm
	.section	.rodata,"a",@progbits
	.p2align	6, 0x0
	.amdhsa_kernel _ZL18rocblas_dot_kernelIiLb0ELi512ELi8ELb0EDF16_PKDF16_fEviT5_lT_lS2_lS3_liPT6_PT4_
		.amdhsa_group_segment_fixed_size 128
		.amdhsa_private_segment_fixed_size 0
		.amdhsa_kernarg_size 352
		.amdhsa_user_sgpr_count 14
		.amdhsa_user_sgpr_dispatch_ptr 0
		.amdhsa_user_sgpr_queue_ptr 0
		.amdhsa_user_sgpr_kernarg_segment_ptr 1
		.amdhsa_user_sgpr_dispatch_id 0
		.amdhsa_user_sgpr_private_segment_size 0
		.amdhsa_wavefront_size32 1
		.amdhsa_uses_dynamic_stack 0
		.amdhsa_enable_private_segment 0
		.amdhsa_system_sgpr_workgroup_id_x 1
		.amdhsa_system_sgpr_workgroup_id_y 0
		.amdhsa_system_sgpr_workgroup_id_z 1
		.amdhsa_system_sgpr_workgroup_info 0
		.amdhsa_system_vgpr_workitem_id 0
		.amdhsa_next_free_vgpr 10
		.amdhsa_next_free_sgpr 28
		.amdhsa_reserve_vcc 1
		.amdhsa_float_round_mode_32 0
		.amdhsa_float_round_mode_16_64 0
		.amdhsa_float_denorm_mode_32 3
		.amdhsa_float_denorm_mode_16_64 3
		.amdhsa_dx10_clamp 1
		.amdhsa_ieee_mode 1
		.amdhsa_fp16_overflow 0
		.amdhsa_workgroup_processor_mode 1
		.amdhsa_memory_ordered 1
		.amdhsa_forward_progress 0
		.amdhsa_shared_vgpr_count 0
		.amdhsa_exception_fp_ieee_invalid_op 0
		.amdhsa_exception_fp_denorm_src 0
		.amdhsa_exception_fp_ieee_div_zero 0
		.amdhsa_exception_fp_ieee_overflow 0
		.amdhsa_exception_fp_ieee_underflow 0
		.amdhsa_exception_fp_ieee_inexact 0
		.amdhsa_exception_int_div_zero 0
	.end_amdhsa_kernel
	.section	.text._ZL18rocblas_dot_kernelIiLb0ELi512ELi8ELb0EDF16_PKDF16_fEviT5_lT_lS2_lS3_liPT6_PT4_,"axG",@progbits,_ZL18rocblas_dot_kernelIiLb0ELi512ELi8ELb0EDF16_PKDF16_fEviT5_lT_lS2_lS3_liPT6_PT4_,comdat
.Lfunc_end383:
	.size	_ZL18rocblas_dot_kernelIiLb0ELi512ELi8ELb0EDF16_PKDF16_fEviT5_lT_lS2_lS3_liPT6_PT4_, .Lfunc_end383-_ZL18rocblas_dot_kernelIiLb0ELi512ELi8ELb0EDF16_PKDF16_fEviT5_lT_lS2_lS3_liPT6_PT4_
                                        ; -- End function
	.section	.AMDGPU.csdata,"",@progbits
; Kernel info:
; codeLenInByte = 1020
; NumSgprs: 30
; NumVgprs: 10
; ScratchSize: 0
; MemoryBound: 0
; FloatMode: 240
; IeeeMode: 1
; LDSByteSize: 128 bytes/workgroup (compile time only)
; SGPRBlocks: 3
; VGPRBlocks: 1
; NumSGPRsForWavesPerEU: 30
; NumVGPRsForWavesPerEU: 10
; Occupancy: 16
; WaveLimiterHint : 0
; COMPUTE_PGM_RSRC2:SCRATCH_EN: 0
; COMPUTE_PGM_RSRC2:USER_SGPR: 14
; COMPUTE_PGM_RSRC2:TRAP_HANDLER: 0
; COMPUTE_PGM_RSRC2:TGID_X_EN: 1
; COMPUTE_PGM_RSRC2:TGID_Y_EN: 0
; COMPUTE_PGM_RSRC2:TGID_Z_EN: 1
; COMPUTE_PGM_RSRC2:TIDIG_COMP_CNT: 0
	.section	.text._ZL24rocblas_dot_kernel_magsqIiLb0ELi512ELi8ELb0EDF16_PKDF16_fEviT5_lT_liPT6_PT4_,"axG",@progbits,_ZL24rocblas_dot_kernel_magsqIiLb0ELi512ELi8ELb0EDF16_PKDF16_fEviT5_lT_liPT6_PT4_,comdat
	.globl	_ZL24rocblas_dot_kernel_magsqIiLb0ELi512ELi8ELb0EDF16_PKDF16_fEviT5_lT_liPT6_PT4_ ; -- Begin function _ZL24rocblas_dot_kernel_magsqIiLb0ELi512ELi8ELb0EDF16_PKDF16_fEviT5_lT_liPT6_PT4_
	.p2align	8
	.type	_ZL24rocblas_dot_kernel_magsqIiLb0ELi512ELi8ELb0EDF16_PKDF16_fEviT5_lT_liPT6_PT4_,@function
_ZL24rocblas_dot_kernel_magsqIiLb0ELi512ELi8ELb0EDF16_PKDF16_fEviT5_lT_liPT6_PT4_: ; @_ZL24rocblas_dot_kernel_magsqIiLb0ELi512ELi8ELb0EDF16_PKDF16_fEviT5_lT_liPT6_PT4_
; %bb.0:
	s_clause 0x2
	s_load_b32 s11, s[0:1], 0x0
	s_load_b128 s[4:7], s[0:1], 0x30
	s_load_b32 s10, s[0:1], 0x40
	v_lshl_or_b32 v1, s14, 9, v0
	v_mov_b32_e32 v3, 0
	s_mov_b32 s2, s15
	s_mov_b32 s3, 0
	s_mov_b32 s12, exec_lo
	s_waitcnt lgkmcnt(0)
	v_cmpx_gt_i32_e64 s11, v1
	s_cbranch_execz .LBB384_4
; %bb.1:
	s_clause 0x2
	s_load_b32 s13, s[0:1], 0x18
	s_load_b64 s[8:9], s[0:1], 0x20
	s_load_b128 s[16:19], s[0:1], 0x8
	s_lshl_b32 s1, s10, 9
	s_mov_b32 s15, s3
	v_add_nc_u32_e32 v4, s1, v1
	s_waitcnt lgkmcnt(0)
	v_mad_i64_i32 v[2:3], null, s13, v1, 0
	s_mul_i32 s0, s9, s2
	s_mul_hi_u32 s9, s8, s2
	s_mul_i32 s8, s8, s2
	s_add_i32 s9, s9, s0
	s_lshl_b64 s[18:19], s[18:19], 1
	s_lshl_b64 s[8:9], s[8:9], 1
	s_delay_alu instid0(VALU_DEP_1)
	v_lshlrev_b64 v[1:2], 1, v[2:3]
	v_mov_b32_e32 v3, 0
	s_add_u32 s0, s16, s18
	s_mul_hi_i32 s21, s13, s1
	s_mul_i32 s20, s13, s1
	s_addc_u32 s13, s17, s19
	s_add_u32 s0, s0, s8
	s_addc_u32 s8, s13, s9
	v_add_co_u32 v1, vcc_lo, s0, v1
	v_add_co_ci_u32_e32 v2, vcc_lo, s8, v2, vcc_lo
	s_lshl_b64 s[8:9], s[20:21], 1
	s_mov_b32 s13, s3
	.p2align	6
.LBB384_2:                              ; =>This Inner Loop Header: Depth=1
	global_load_u16 v5, v[1:2], off
	s_add_i32 s16, s15, 1
	v_cmp_le_i32_e32 vcc_lo, s11, v4
	v_add_co_u32 v1, s0, v1, s8
	s_cmp_gt_u32 s15, 6
	v_add_co_ci_u32_e64 v2, s0, s9, v2, s0
	s_cselect_b32 s0, -1, 0
	v_add_nc_u32_e32 v4, s1, v4
	s_or_b32 s0, s0, vcc_lo
	s_mov_b32 s15, s16
	s_and_b32 s0, exec_lo, s0
	s_delay_alu instid0(SALU_CYCLE_1)
	s_or_b32 s13, s0, s13
	s_waitcnt vmcnt(0)
	v_fma_mix_f32 v3, v5, v5, v3 op_sel_hi:[1,1,0]
	s_and_not1_b32 exec_lo, exec_lo, s13
	s_cbranch_execnz .LBB384_2
; %bb.3:
	s_or_b32 exec_lo, exec_lo, s13
.LBB384_4:
	s_delay_alu instid0(SALU_CYCLE_1) | instskip(SKIP_2) | instid1(VALU_DEP_2)
	s_or_b32 exec_lo, exec_lo, s12
	v_and_b32_e32 v2, 31, v0
	v_cmp_gt_u32_e32 vcc_lo, 32, v0
	v_lshlrev_b32_e32 v1, 2, v2
	s_and_saveexec_b32 s0, vcc_lo
	s_cbranch_execz .LBB384_6
; %bb.5:
	v_mov_b32_e32 v4, 0
	ds_store_b32 v1, v4
.LBB384_6:
	s_or_b32 exec_lo, exec_lo, s0
	v_mbcnt_lo_u32_b32 v6, -1, 0
	s_mov_b32 s1, exec_lo
	s_waitcnt lgkmcnt(0)
	s_barrier
	buffer_gl0_inv
	v_cmp_gt_u32_e64 s0, 16, v6
	s_delay_alu instid0(VALU_DEP_1) | instskip(SKIP_1) | instid1(VALU_DEP_2)
	v_cndmask_b32_e64 v4, 0, 1, s0
	v_cmp_gt_u32_e64 s0, 24, v6
	v_lshlrev_b32_e32 v4, 4, v4
	s_delay_alu instid0(VALU_DEP_1) | instskip(SKIP_4) | instid1(VALU_DEP_2)
	v_add_lshl_u32 v4, v4, v6, 2
	ds_bpermute_b32 v5, v4, v3
	v_cndmask_b32_e64 v4, 0, 1, s0
	v_cmp_gt_u32_e64 s0, 28, v6
	s_waitcnt lgkmcnt(0)
	v_dual_add_f32 v5, v3, v5 :: v_dual_lshlrev_b32 v4, 3, v4
	s_delay_alu instid0(VALU_DEP_2) | instskip(SKIP_1) | instid1(VALU_DEP_3)
	v_cndmask_b32_e64 v3, 0, 1, s0
	v_cmp_gt_u32_e64 s0, 30, v6
	v_add_lshl_u32 v4, v4, v6, 2
	s_delay_alu instid0(VALU_DEP_3)
	v_lshlrev_b32_e32 v3, 2, v3
	ds_bpermute_b32 v7, v4, v5
	v_add_lshl_u32 v3, v3, v6, 2
	s_waitcnt lgkmcnt(0)
	v_add_f32_e32 v7, v5, v7
	v_cndmask_b32_e64 v5, 0, 1, s0
	v_cmp_ne_u32_e64 s0, 31, v6
	ds_bpermute_b32 v8, v3, v7
	v_lshlrev_b32_e32 v5, 1, v5
	s_delay_alu instid0(VALU_DEP_1) | instskip(SKIP_2) | instid1(VALU_DEP_1)
	v_add_lshl_u32 v5, v5, v6, 2
	v_add_co_ci_u32_e64 v6, s0, 0, v6, s0
	s_waitcnt lgkmcnt(0)
	v_dual_add_f32 v7, v7, v8 :: v_dual_lshlrev_b32 v6, 2, v6
	ds_bpermute_b32 v8, v5, v7
	s_waitcnt lgkmcnt(0)
	v_add_f32_e32 v7, v7, v8
	ds_bpermute_b32 v8, v6, v7
	v_cmpx_eq_u32_e32 0, v2
	s_cbranch_execz .LBB384_8
; %bb.7:
	v_lshrrev_b32_e32 v2, 3, v0
	s_waitcnt lgkmcnt(0)
	s_delay_alu instid0(VALU_DEP_1)
	v_dual_add_f32 v7, v7, v8 :: v_dual_and_b32 v2, 60, v2
	ds_store_b32 v2, v7
.LBB384_8:
	s_or_b32 exec_lo, exec_lo, s1
	v_mov_b32_e32 v2, 0
	s_mov_b32 s1, exec_lo
	s_waitcnt lgkmcnt(0)
	s_barrier
	buffer_gl0_inv
	v_cmpx_gt_u32_e32 16, v0
	s_cbranch_execz .LBB384_10
; %bb.9:
	ds_load_b32 v2, v1
.LBB384_10:
	s_or_b32 exec_lo, exec_lo, s1
	s_and_saveexec_b32 s0, vcc_lo
	s_cbranch_execz .LBB384_12
; %bb.11:
	s_waitcnt lgkmcnt(0)
	ds_bpermute_b32 v1, v4, v2
	s_waitcnt lgkmcnt(0)
	v_add_f32_e32 v1, v2, v1
	ds_bpermute_b32 v2, v3, v1
	s_waitcnt lgkmcnt(0)
	v_add_f32_e32 v1, v1, v2
	;; [unrolled: 3-line block ×4, first 2 shown]
.LBB384_12:
	s_or_b32 exec_lo, exec_lo, s0
	s_delay_alu instid0(SALU_CYCLE_1)
	s_mov_b32 s0, exec_lo
	v_cmpx_eq_u32_e32 0, v0
	s_cbranch_execz .LBB384_17
; %bb.13:
	s_cmp_lg_u32 s10, 1
	s_mov_b32 s15, -1
	s_cbranch_scc0 .LBB384_15
; %bb.14:
	s_mul_hi_u32 s1, s10, s2
	s_mul_i32 s0, s10, s2
	s_mov_b32 s15, 0
	s_lshl_b64 s[0:1], s[0:1], 2
	v_mov_b32_e32 v0, 0
	s_add_u32 s4, s4, s0
	s_addc_u32 s5, s5, s1
	s_lshl_b64 s[0:1], s[14:15], 2
	s_delay_alu instid0(SALU_CYCLE_1)
	s_add_u32 s0, s4, s0
	s_addc_u32 s1, s5, s1
	s_waitcnt lgkmcnt(0)
	global_store_b32 v0, v2, s[0:1]
.LBB384_15:
	s_and_not1_b32 vcc_lo, exec_lo, s15
	s_cbranch_vccnz .LBB384_17
; %bb.16:
	s_waitcnt lgkmcnt(0)
	v_cvt_f16_f32_e32 v0, v2
	s_lshl_b64 s[0:1], s[2:3], 1
	v_mov_b32_e32 v1, 0
	s_add_u32 s0, s6, s0
	s_addc_u32 s1, s7, s1
	global_store_b16 v1, v0, s[0:1]
.LBB384_17:
	s_nop 0
	s_sendmsg sendmsg(MSG_DEALLOC_VGPRS)
	s_endpgm
	.section	.rodata,"a",@progbits
	.p2align	6, 0x0
	.amdhsa_kernel _ZL24rocblas_dot_kernel_magsqIiLb0ELi512ELi8ELb0EDF16_PKDF16_fEviT5_lT_liPT6_PT4_
		.amdhsa_group_segment_fixed_size 128
		.amdhsa_private_segment_fixed_size 0
		.amdhsa_kernarg_size 320
		.amdhsa_user_sgpr_count 14
		.amdhsa_user_sgpr_dispatch_ptr 0
		.amdhsa_user_sgpr_queue_ptr 0
		.amdhsa_user_sgpr_kernarg_segment_ptr 1
		.amdhsa_user_sgpr_dispatch_id 0
		.amdhsa_user_sgpr_private_segment_size 0
		.amdhsa_wavefront_size32 1
		.amdhsa_uses_dynamic_stack 0
		.amdhsa_enable_private_segment 0
		.amdhsa_system_sgpr_workgroup_id_x 1
		.amdhsa_system_sgpr_workgroup_id_y 0
		.amdhsa_system_sgpr_workgroup_id_z 1
		.amdhsa_system_sgpr_workgroup_info 0
		.amdhsa_system_vgpr_workitem_id 0
		.amdhsa_next_free_vgpr 9
		.amdhsa_next_free_sgpr 22
		.amdhsa_reserve_vcc 1
		.amdhsa_float_round_mode_32 0
		.amdhsa_float_round_mode_16_64 0
		.amdhsa_float_denorm_mode_32 3
		.amdhsa_float_denorm_mode_16_64 3
		.amdhsa_dx10_clamp 1
		.amdhsa_ieee_mode 1
		.amdhsa_fp16_overflow 0
		.amdhsa_workgroup_processor_mode 1
		.amdhsa_memory_ordered 1
		.amdhsa_forward_progress 0
		.amdhsa_shared_vgpr_count 0
		.amdhsa_exception_fp_ieee_invalid_op 0
		.amdhsa_exception_fp_denorm_src 0
		.amdhsa_exception_fp_ieee_div_zero 0
		.amdhsa_exception_fp_ieee_overflow 0
		.amdhsa_exception_fp_ieee_underflow 0
		.amdhsa_exception_fp_ieee_inexact 0
		.amdhsa_exception_int_div_zero 0
	.end_amdhsa_kernel
	.section	.text._ZL24rocblas_dot_kernel_magsqIiLb0ELi512ELi8ELb0EDF16_PKDF16_fEviT5_lT_liPT6_PT4_,"axG",@progbits,_ZL24rocblas_dot_kernel_magsqIiLb0ELi512ELi8ELb0EDF16_PKDF16_fEviT5_lT_liPT6_PT4_,comdat
.Lfunc_end384:
	.size	_ZL24rocblas_dot_kernel_magsqIiLb0ELi512ELi8ELb0EDF16_PKDF16_fEviT5_lT_liPT6_PT4_, .Lfunc_end384-_ZL24rocblas_dot_kernel_magsqIiLb0ELi512ELi8ELb0EDF16_PKDF16_fEviT5_lT_liPT6_PT4_
                                        ; -- End function
	.section	.AMDGPU.csdata,"",@progbits
; Kernel info:
; codeLenInByte = 888
; NumSgprs: 24
; NumVgprs: 9
; ScratchSize: 0
; MemoryBound: 0
; FloatMode: 240
; IeeeMode: 1
; LDSByteSize: 128 bytes/workgroup (compile time only)
; SGPRBlocks: 2
; VGPRBlocks: 1
; NumSGPRsForWavesPerEU: 24
; NumVGPRsForWavesPerEU: 9
; Occupancy: 16
; WaveLimiterHint : 0
; COMPUTE_PGM_RSRC2:SCRATCH_EN: 0
; COMPUTE_PGM_RSRC2:USER_SGPR: 14
; COMPUTE_PGM_RSRC2:TRAP_HANDLER: 0
; COMPUTE_PGM_RSRC2:TGID_X_EN: 1
; COMPUTE_PGM_RSRC2:TGID_Y_EN: 0
; COMPUTE_PGM_RSRC2:TGID_Z_EN: 1
; COMPUTE_PGM_RSRC2:TIDIG_COMP_CNT: 0
	.section	.text._ZL28rocblas_dot_batched_4_kernelIiLi32ELi4ELb0EffPKDF16_EviT5_lT_lS2_lS3_liPT4_,"axG",@progbits,_ZL28rocblas_dot_batched_4_kernelIiLi32ELi4ELb0EffPKDF16_EviT5_lT_lS2_lS3_liPT4_,comdat
	.globl	_ZL28rocblas_dot_batched_4_kernelIiLi32ELi4ELb0EffPKDF16_EviT5_lT_lS2_lS3_liPT4_ ; -- Begin function _ZL28rocblas_dot_batched_4_kernelIiLi32ELi4ELb0EffPKDF16_EviT5_lT_lS2_lS3_liPT4_
	.p2align	8
	.type	_ZL28rocblas_dot_batched_4_kernelIiLi32ELi4ELb0EffPKDF16_EviT5_lT_lS2_lS3_liPT4_,@function
_ZL28rocblas_dot_batched_4_kernelIiLi32ELi4ELb0EffPKDF16_EviT5_lT_lS2_lS3_liPT4_: ; @_ZL28rocblas_dot_batched_4_kernelIiLi32ELi4ELb0EffPKDF16_EviT5_lT_lS2_lS3_liPT4_
; %bb.0:
	s_load_b32 s2, s[0:1], 0x48
	v_bfe_u32 v1, v0, 10, 10
	s_delay_alu instid0(VALU_DEP_1) | instskip(SKIP_1) | instid1(VALU_DEP_1)
	v_lshl_add_u32 v1, s15, 2, v1
	s_waitcnt lgkmcnt(0)
	v_cmp_gt_u32_e32 vcc_lo, s2, v1
	s_and_saveexec_b32 s2, vcc_lo
	s_cbranch_execz .LBB385_7
; %bb.1:
	s_clause 0x1
	s_load_b32 s12, s[0:1], 0x0
	s_load_b64 s[2:3], s[0:1], 0x50
	v_mov_b32_e32 v2, 0
	v_and_b32_e32 v0, 0x3ff, v0
	s_mov_b32 s13, exec_lo
	s_delay_alu instid0(VALU_DEP_2) | instskip(SKIP_1) | instid1(VALU_DEP_2)
	v_mov_b32_e32 v7, v2
	s_waitcnt lgkmcnt(0)
	v_cmpx_gt_i32_e64 s12, v0
	s_cbranch_execz .LBB385_5
; %bb.2:
	s_clause 0x5
	s_load_b128 s[4:7], s[0:1], 0x20
	s_load_b64 s[14:15], s[0:1], 0x40
	s_load_b32 s16, s[0:1], 0x18
	s_load_b32 s18, s[0:1], 0x38
	s_load_b128 s[8:11], s[0:1], 0x8
	s_load_b64 s[0:1], s[0:1], 0x30
	s_waitcnt lgkmcnt(0)
	v_mad_u64_u32 v[3:4], null, s4, v1, 0
	v_mad_u64_u32 v[5:6], null, s14, v1, 0
	v_mad_i64_i32 v[8:9], null, s16, v0, 0
	s_ashr_i32 s17, s16, 31
	s_ashr_i32 s19, s18, 31
	s_delay_alu instid0(VALU_DEP_2) | instskip(SKIP_1) | instid1(VALU_DEP_3)
	v_mad_u64_u32 v[10:11], null, s5, v1, v[4:5]
	v_mov_b32_e32 v7, 0
	v_lshlrev_b64 v[8:9], 1, v[8:9]
	s_lshl_b64 s[4:5], s[10:11], 1
	s_delay_alu instid0(SALU_CYCLE_1) | instskip(SKIP_1) | instid1(VALU_DEP_3)
	s_add_u32 s8, s8, s4
	s_addc_u32 s9, s9, s5
	v_mov_b32_e32 v4, v10
	v_mad_u64_u32 v[11:12], null, s15, v1, v[6:7]
	v_mad_i64_i32 v[12:13], null, s18, v0, 0
	s_delay_alu instid0(VALU_DEP_3) | instskip(SKIP_3) | instid1(VALU_DEP_3)
	v_lshlrev_b64 v[3:4], 1, v[3:4]
	s_lshl_b64 s[0:1], s[0:1], 1
	s_lshl_b64 s[4:5], s[16:17], 6
	s_add_u32 s0, s6, s0
	v_mov_b32_e32 v6, v11
	s_addc_u32 s1, s7, s1
	s_delay_alu instid0(VALU_DEP_3) | instskip(SKIP_1) | instid1(VALU_DEP_3)
	v_lshlrev_b64 v[10:11], 1, v[12:13]
	v_add_co_u32 v3, vcc_lo, v8, v3
	v_lshlrev_b64 v[5:6], 1, v[5:6]
	v_add_co_ci_u32_e32 v4, vcc_lo, v9, v4, vcc_lo
	v_mov_b32_e32 v8, v0
	s_lshl_b64 s[6:7], s[18:19], 6
	s_delay_alu instid0(VALU_DEP_3) | instskip(NEXT) | instid1(VALU_DEP_4)
	v_add_co_u32 v5, vcc_lo, v10, v5
	v_add_co_ci_u32_e32 v6, vcc_lo, v11, v6, vcc_lo
	v_add_co_u32 v3, vcc_lo, s8, v3
	v_add_co_ci_u32_e32 v4, vcc_lo, s9, v4, vcc_lo
	s_delay_alu instid0(VALU_DEP_4) | instskip(NEXT) | instid1(VALU_DEP_4)
	v_add_co_u32 v5, vcc_lo, s0, v5
	v_add_co_ci_u32_e32 v6, vcc_lo, s1, v6, vcc_lo
	s_mov_b32 s1, 0
	.p2align	6
.LBB385_3:                              ; =>This Inner Loop Header: Depth=1
	global_load_u16 v9, v[3:4], off
	global_load_u16 v10, v[5:6], off
	v_add_nc_u32_e32 v8, 32, v8
	v_add_co_u32 v3, vcc_lo, v3, s4
	v_add_co_ci_u32_e32 v4, vcc_lo, s5, v4, vcc_lo
	v_add_co_u32 v5, vcc_lo, v5, s6
	s_delay_alu instid0(VALU_DEP_4) | instskip(SKIP_1) | instid1(VALU_DEP_2)
	v_cmp_le_i32_e64 s0, s12, v8
	v_add_co_ci_u32_e32 v6, vcc_lo, s7, v6, vcc_lo
	s_or_b32 s1, s0, s1
	s_waitcnt vmcnt(0)
	v_fma_mix_f32 v7, v9, v10, v7 op_sel_hi:[1,1,0]
	s_and_not1_b32 exec_lo, exec_lo, s1
	s_cbranch_execnz .LBB385_3
; %bb.4:
	s_or_b32 exec_lo, exec_lo, s1
.LBB385_5:
	s_delay_alu instid0(SALU_CYCLE_1)
	s_or_b32 exec_lo, exec_lo, s13
	v_mbcnt_lo_u32_b32 v3, -1, 0
	s_barrier
	buffer_gl0_inv
	v_cmp_gt_u32_e32 vcc_lo, 16, v3
	v_cndmask_b32_e64 v4, 0, 1, vcc_lo
	v_cmp_gt_u32_e32 vcc_lo, 24, v3
	s_delay_alu instid0(VALU_DEP_2) | instskip(SKIP_2) | instid1(VALU_DEP_3)
	v_lshlrev_b32_e32 v4, 4, v4
	v_cndmask_b32_e64 v5, 0, 1, vcc_lo
	v_cmp_gt_u32_e32 vcc_lo, 28, v3
	v_add_lshl_u32 v4, v4, v3, 2
	v_cndmask_b32_e64 v6, 0, 1, vcc_lo
	v_cmp_gt_u32_e32 vcc_lo, 30, v3
	ds_bpermute_b32 v4, v4, v7
	v_lshlrev_b32_e32 v5, 3, v5
	v_lshlrev_b32_e32 v6, 2, v6
	s_delay_alu instid0(VALU_DEP_1)
	v_add_lshl_u32 v6, v6, v3, 2
	s_waitcnt lgkmcnt(0)
	v_add_f32_e32 v4, v7, v4
	v_add_lshl_u32 v5, v5, v3, 2
	ds_bpermute_b32 v5, v5, v4
	s_waitcnt lgkmcnt(0)
	v_add_f32_e32 v4, v4, v5
	ds_bpermute_b32 v5, v6, v4
	v_cndmask_b32_e64 v6, 0, 1, vcc_lo
	v_cmp_ne_u32_e32 vcc_lo, 31, v3
	s_delay_alu instid0(VALU_DEP_2) | instskip(NEXT) | instid1(VALU_DEP_1)
	v_lshlrev_b32_e32 v6, 1, v6
	v_add_lshl_u32 v6, v6, v3, 2
	s_waitcnt lgkmcnt(0)
	v_add_f32_e32 v4, v4, v5
	ds_bpermute_b32 v5, v6, v4
	v_add_co_ci_u32_e32 v6, vcc_lo, 0, v3, vcc_lo
	v_cmp_eq_u32_e32 vcc_lo, 0, v0
	s_waitcnt lgkmcnt(0)
	s_delay_alu instid0(VALU_DEP_2)
	v_dual_add_f32 v3, v4, v5 :: v_dual_lshlrev_b32 v4, 2, v6
	ds_bpermute_b32 v4, v4, v3
	s_and_b32 exec_lo, exec_lo, vcc_lo
	s_cbranch_execz .LBB385_7
; %bb.6:
	v_lshlrev_b64 v[0:1], 2, v[1:2]
	s_waitcnt lgkmcnt(0)
	v_add_f32_e32 v2, v3, v4
	s_delay_alu instid0(VALU_DEP_2) | instskip(NEXT) | instid1(VALU_DEP_3)
	v_add_co_u32 v0, vcc_lo, s2, v0
	v_add_co_ci_u32_e32 v1, vcc_lo, s3, v1, vcc_lo
	global_store_b32 v[0:1], v2, off
.LBB385_7:
	s_nop 0
	s_sendmsg sendmsg(MSG_DEALLOC_VGPRS)
	s_endpgm
	.section	.rodata,"a",@progbits
	.p2align	6, 0x0
	.amdhsa_kernel _ZL28rocblas_dot_batched_4_kernelIiLi32ELi4ELb0EffPKDF16_EviT5_lT_lS2_lS3_liPT4_
		.amdhsa_group_segment_fixed_size 0
		.amdhsa_private_segment_fixed_size 0
		.amdhsa_kernarg_size 88
		.amdhsa_user_sgpr_count 15
		.amdhsa_user_sgpr_dispatch_ptr 0
		.amdhsa_user_sgpr_queue_ptr 0
		.amdhsa_user_sgpr_kernarg_segment_ptr 1
		.amdhsa_user_sgpr_dispatch_id 0
		.amdhsa_user_sgpr_private_segment_size 0
		.amdhsa_wavefront_size32 1
		.amdhsa_uses_dynamic_stack 0
		.amdhsa_enable_private_segment 0
		.amdhsa_system_sgpr_workgroup_id_x 1
		.amdhsa_system_sgpr_workgroup_id_y 0
		.amdhsa_system_sgpr_workgroup_id_z 0
		.amdhsa_system_sgpr_workgroup_info 0
		.amdhsa_system_vgpr_workitem_id 1
		.amdhsa_next_free_vgpr 14
		.amdhsa_next_free_sgpr 20
		.amdhsa_reserve_vcc 1
		.amdhsa_float_round_mode_32 0
		.amdhsa_float_round_mode_16_64 0
		.amdhsa_float_denorm_mode_32 3
		.amdhsa_float_denorm_mode_16_64 3
		.amdhsa_dx10_clamp 1
		.amdhsa_ieee_mode 1
		.amdhsa_fp16_overflow 0
		.amdhsa_workgroup_processor_mode 1
		.amdhsa_memory_ordered 1
		.amdhsa_forward_progress 0
		.amdhsa_shared_vgpr_count 0
		.amdhsa_exception_fp_ieee_invalid_op 0
		.amdhsa_exception_fp_denorm_src 0
		.amdhsa_exception_fp_ieee_div_zero 0
		.amdhsa_exception_fp_ieee_overflow 0
		.amdhsa_exception_fp_ieee_underflow 0
		.amdhsa_exception_fp_ieee_inexact 0
		.amdhsa_exception_int_div_zero 0
	.end_amdhsa_kernel
	.section	.text._ZL28rocblas_dot_batched_4_kernelIiLi32ELi4ELb0EffPKDF16_EviT5_lT_lS2_lS3_liPT4_,"axG",@progbits,_ZL28rocblas_dot_batched_4_kernelIiLi32ELi4ELb0EffPKDF16_EviT5_lT_lS2_lS3_liPT4_,comdat
.Lfunc_end385:
	.size	_ZL28rocblas_dot_batched_4_kernelIiLi32ELi4ELb0EffPKDF16_EviT5_lT_lS2_lS3_liPT4_, .Lfunc_end385-_ZL28rocblas_dot_batched_4_kernelIiLi32ELi4ELb0EffPKDF16_EviT5_lT_lS2_lS3_liPT4_
                                        ; -- End function
	.section	.AMDGPU.csdata,"",@progbits
; Kernel info:
; codeLenInByte = 744
; NumSgprs: 22
; NumVgprs: 14
; ScratchSize: 0
; MemoryBound: 0
; FloatMode: 240
; IeeeMode: 1
; LDSByteSize: 0 bytes/workgroup (compile time only)
; SGPRBlocks: 2
; VGPRBlocks: 1
; NumSGPRsForWavesPerEU: 22
; NumVGPRsForWavesPerEU: 14
; Occupancy: 16
; WaveLimiterHint : 0
; COMPUTE_PGM_RSRC2:SCRATCH_EN: 0
; COMPUTE_PGM_RSRC2:USER_SGPR: 15
; COMPUTE_PGM_RSRC2:TRAP_HANDLER: 0
; COMPUTE_PGM_RSRC2:TGID_X_EN: 1
; COMPUTE_PGM_RSRC2:TGID_Y_EN: 0
; COMPUTE_PGM_RSRC2:TGID_Z_EN: 0
; COMPUTE_PGM_RSRC2:TIDIG_COMP_CNT: 1
	.section	.text._ZL28rocblas_dot_batched_4_kernelIiLi64ELi4ELb0EffPKDF16_EviT5_lT_lS2_lS3_liPT4_,"axG",@progbits,_ZL28rocblas_dot_batched_4_kernelIiLi64ELi4ELb0EffPKDF16_EviT5_lT_lS2_lS3_liPT4_,comdat
	.globl	_ZL28rocblas_dot_batched_4_kernelIiLi64ELi4ELb0EffPKDF16_EviT5_lT_lS2_lS3_liPT4_ ; -- Begin function _ZL28rocblas_dot_batched_4_kernelIiLi64ELi4ELb0EffPKDF16_EviT5_lT_lS2_lS3_liPT4_
	.p2align	8
	.type	_ZL28rocblas_dot_batched_4_kernelIiLi64ELi4ELb0EffPKDF16_EviT5_lT_lS2_lS3_liPT4_,@function
_ZL28rocblas_dot_batched_4_kernelIiLi64ELi4ELb0EffPKDF16_EviT5_lT_lS2_lS3_liPT4_: ; @_ZL28rocblas_dot_batched_4_kernelIiLi64ELi4ELb0EffPKDF16_EviT5_lT_lS2_lS3_liPT4_
; %bb.0:
	s_load_b32 s2, s[0:1], 0x48
	v_bfe_u32 v1, v0, 10, 10
	s_delay_alu instid0(VALU_DEP_1) | instskip(SKIP_1) | instid1(VALU_DEP_1)
	v_lshl_add_u32 v1, s15, 2, v1
	s_waitcnt lgkmcnt(0)
	v_cmp_gt_u32_e32 vcc_lo, s2, v1
	s_and_saveexec_b32 s2, vcc_lo
	s_cbranch_execz .LBB386_7
; %bb.1:
	s_clause 0x1
	s_load_b32 s12, s[0:1], 0x0
	s_load_b64 s[2:3], s[0:1], 0x50
	v_mov_b32_e32 v2, 0
	v_and_b32_e32 v0, 0x3ff, v0
	s_mov_b32 s13, exec_lo
	s_delay_alu instid0(VALU_DEP_2) | instskip(SKIP_1) | instid1(VALU_DEP_2)
	v_mov_b32_e32 v7, v2
	s_waitcnt lgkmcnt(0)
	v_cmpx_gt_i32_e64 s12, v0
	s_cbranch_execz .LBB386_5
; %bb.2:
	s_clause 0x5
	s_load_b128 s[4:7], s[0:1], 0x20
	s_load_b64 s[14:15], s[0:1], 0x40
	s_load_b32 s16, s[0:1], 0x18
	s_load_b32 s18, s[0:1], 0x38
	s_load_b128 s[8:11], s[0:1], 0x8
	s_load_b64 s[0:1], s[0:1], 0x30
	s_waitcnt lgkmcnt(0)
	v_mad_u64_u32 v[3:4], null, s4, v1, 0
	v_mad_u64_u32 v[5:6], null, s14, v1, 0
	v_mad_i64_i32 v[8:9], null, s16, v0, 0
	s_ashr_i32 s17, s16, 31
	s_ashr_i32 s19, s18, 31
	s_delay_alu instid0(VALU_DEP_2) | instskip(SKIP_1) | instid1(VALU_DEP_3)
	v_mad_u64_u32 v[10:11], null, s5, v1, v[4:5]
	v_mov_b32_e32 v7, 0
	v_lshlrev_b64 v[8:9], 1, v[8:9]
	s_lshl_b64 s[4:5], s[10:11], 1
	s_delay_alu instid0(SALU_CYCLE_1) | instskip(SKIP_1) | instid1(VALU_DEP_3)
	s_add_u32 s8, s8, s4
	s_addc_u32 s9, s9, s5
	v_mov_b32_e32 v4, v10
	v_mad_u64_u32 v[11:12], null, s15, v1, v[6:7]
	v_mad_i64_i32 v[12:13], null, s18, v0, 0
	s_delay_alu instid0(VALU_DEP_3) | instskip(SKIP_3) | instid1(VALU_DEP_3)
	v_lshlrev_b64 v[3:4], 1, v[3:4]
	s_lshl_b64 s[0:1], s[0:1], 1
	s_lshl_b64 s[4:5], s[16:17], 7
	s_add_u32 s0, s6, s0
	v_mov_b32_e32 v6, v11
	s_addc_u32 s1, s7, s1
	s_delay_alu instid0(VALU_DEP_3) | instskip(SKIP_1) | instid1(VALU_DEP_3)
	v_lshlrev_b64 v[10:11], 1, v[12:13]
	v_add_co_u32 v3, vcc_lo, v8, v3
	v_lshlrev_b64 v[5:6], 1, v[5:6]
	v_add_co_ci_u32_e32 v4, vcc_lo, v9, v4, vcc_lo
	v_mov_b32_e32 v8, v0
	s_lshl_b64 s[6:7], s[18:19], 7
	s_delay_alu instid0(VALU_DEP_3) | instskip(NEXT) | instid1(VALU_DEP_4)
	v_add_co_u32 v5, vcc_lo, v10, v5
	v_add_co_ci_u32_e32 v6, vcc_lo, v11, v6, vcc_lo
	v_add_co_u32 v3, vcc_lo, s8, v3
	v_add_co_ci_u32_e32 v4, vcc_lo, s9, v4, vcc_lo
	s_delay_alu instid0(VALU_DEP_4) | instskip(NEXT) | instid1(VALU_DEP_4)
	v_add_co_u32 v5, vcc_lo, s0, v5
	v_add_co_ci_u32_e32 v6, vcc_lo, s1, v6, vcc_lo
	s_mov_b32 s1, 0
	.p2align	6
.LBB386_3:                              ; =>This Inner Loop Header: Depth=1
	global_load_u16 v9, v[3:4], off
	global_load_u16 v10, v[5:6], off
	v_add_nc_u32_e32 v8, 64, v8
	v_add_co_u32 v3, vcc_lo, v3, s4
	v_add_co_ci_u32_e32 v4, vcc_lo, s5, v4, vcc_lo
	v_add_co_u32 v5, vcc_lo, v5, s6
	s_delay_alu instid0(VALU_DEP_4) | instskip(SKIP_1) | instid1(VALU_DEP_2)
	v_cmp_le_i32_e64 s0, s12, v8
	v_add_co_ci_u32_e32 v6, vcc_lo, s7, v6, vcc_lo
	s_or_b32 s1, s0, s1
	s_waitcnt vmcnt(0)
	v_fma_mix_f32 v7, v9, v10, v7 op_sel_hi:[1,1,0]
	s_and_not1_b32 exec_lo, exec_lo, s1
	s_cbranch_execnz .LBB386_3
; %bb.4:
	s_or_b32 exec_lo, exec_lo, s1
.LBB386_5:
	s_delay_alu instid0(SALU_CYCLE_1)
	s_or_b32 exec_lo, exec_lo, s13
	v_mbcnt_lo_u32_b32 v3, -1, 0
	s_barrier
	buffer_gl0_inv
	v_lshlrev_b32_e32 v4, 2, v3
	v_cmp_gt_u32_e32 vcc_lo, 16, v3
	ds_bpermute_b32 v4, v4, v7
	v_cndmask_b32_e64 v5, 0, 1, vcc_lo
	v_cmp_gt_u32_e32 vcc_lo, 24, v3
	s_delay_alu instid0(VALU_DEP_2) | instskip(SKIP_2) | instid1(VALU_DEP_2)
	v_lshlrev_b32_e32 v5, 4, v5
	v_cndmask_b32_e64 v6, 0, 1, vcc_lo
	v_cmp_gt_u32_e32 vcc_lo, 28, v3
	v_lshlrev_b32_e32 v6, 3, v6
	s_delay_alu instid0(VALU_DEP_1)
	v_add_lshl_u32 v6, v6, v3, 2
	s_waitcnt lgkmcnt(0)
	v_add_f32_e32 v4, v7, v4
	v_add_lshl_u32 v5, v5, v3, 2
	ds_bpermute_b32 v5, v5, v4
	s_waitcnt lgkmcnt(0)
	v_add_f32_e32 v4, v4, v5
	ds_bpermute_b32 v5, v6, v4
	v_cndmask_b32_e64 v6, 0, 1, vcc_lo
	v_cmp_gt_u32_e32 vcc_lo, 30, v3
	s_delay_alu instid0(VALU_DEP_2) | instskip(NEXT) | instid1(VALU_DEP_1)
	v_lshlrev_b32_e32 v6, 2, v6
	v_add_lshl_u32 v6, v6, v3, 2
	s_waitcnt lgkmcnt(0)
	v_add_f32_e32 v4, v4, v5
	ds_bpermute_b32 v5, v6, v4
	v_cndmask_b32_e64 v6, 0, 1, vcc_lo
	v_cmp_ne_u32_e32 vcc_lo, 31, v3
	s_delay_alu instid0(VALU_DEP_2) | instskip(NEXT) | instid1(VALU_DEP_1)
	v_lshlrev_b32_e32 v6, 1, v6
	v_add_lshl_u32 v6, v6, v3, 2
	s_waitcnt lgkmcnt(0)
	v_add_f32_e32 v4, v4, v5
	ds_bpermute_b32 v5, v6, v4
	v_add_co_ci_u32_e32 v6, vcc_lo, 0, v3, vcc_lo
	v_cmp_eq_u32_e32 vcc_lo, 0, v0
	s_waitcnt lgkmcnt(0)
	s_delay_alu instid0(VALU_DEP_2)
	v_dual_add_f32 v3, v4, v5 :: v_dual_lshlrev_b32 v4, 2, v6
	ds_bpermute_b32 v4, v4, v3
	s_and_b32 exec_lo, exec_lo, vcc_lo
	s_cbranch_execz .LBB386_7
; %bb.6:
	v_lshlrev_b64 v[0:1], 2, v[1:2]
	s_waitcnt lgkmcnt(0)
	v_add_f32_e32 v2, v3, v4
	s_delay_alu instid0(VALU_DEP_2) | instskip(NEXT) | instid1(VALU_DEP_3)
	v_add_co_u32 v0, vcc_lo, s2, v0
	v_add_co_ci_u32_e32 v1, vcc_lo, s3, v1, vcc_lo
	global_store_b32 v[0:1], v2, off
.LBB386_7:
	s_nop 0
	s_sendmsg sendmsg(MSG_DEALLOC_VGPRS)
	s_endpgm
	.section	.rodata,"a",@progbits
	.p2align	6, 0x0
	.amdhsa_kernel _ZL28rocblas_dot_batched_4_kernelIiLi64ELi4ELb0EffPKDF16_EviT5_lT_lS2_lS3_liPT4_
		.amdhsa_group_segment_fixed_size 0
		.amdhsa_private_segment_fixed_size 0
		.amdhsa_kernarg_size 88
		.amdhsa_user_sgpr_count 15
		.amdhsa_user_sgpr_dispatch_ptr 0
		.amdhsa_user_sgpr_queue_ptr 0
		.amdhsa_user_sgpr_kernarg_segment_ptr 1
		.amdhsa_user_sgpr_dispatch_id 0
		.amdhsa_user_sgpr_private_segment_size 0
		.amdhsa_wavefront_size32 1
		.amdhsa_uses_dynamic_stack 0
		.amdhsa_enable_private_segment 0
		.amdhsa_system_sgpr_workgroup_id_x 1
		.amdhsa_system_sgpr_workgroup_id_y 0
		.amdhsa_system_sgpr_workgroup_id_z 0
		.amdhsa_system_sgpr_workgroup_info 0
		.amdhsa_system_vgpr_workitem_id 1
		.amdhsa_next_free_vgpr 14
		.amdhsa_next_free_sgpr 20
		.amdhsa_reserve_vcc 1
		.amdhsa_float_round_mode_32 0
		.amdhsa_float_round_mode_16_64 0
		.amdhsa_float_denorm_mode_32 3
		.amdhsa_float_denorm_mode_16_64 3
		.amdhsa_dx10_clamp 1
		.amdhsa_ieee_mode 1
		.amdhsa_fp16_overflow 0
		.amdhsa_workgroup_processor_mode 1
		.amdhsa_memory_ordered 1
		.amdhsa_forward_progress 0
		.amdhsa_shared_vgpr_count 0
		.amdhsa_exception_fp_ieee_invalid_op 0
		.amdhsa_exception_fp_denorm_src 0
		.amdhsa_exception_fp_ieee_div_zero 0
		.amdhsa_exception_fp_ieee_overflow 0
		.amdhsa_exception_fp_ieee_underflow 0
		.amdhsa_exception_fp_ieee_inexact 0
		.amdhsa_exception_int_div_zero 0
	.end_amdhsa_kernel
	.section	.text._ZL28rocblas_dot_batched_4_kernelIiLi64ELi4ELb0EffPKDF16_EviT5_lT_lS2_lS3_liPT4_,"axG",@progbits,_ZL28rocblas_dot_batched_4_kernelIiLi64ELi4ELb0EffPKDF16_EviT5_lT_lS2_lS3_liPT4_,comdat
.Lfunc_end386:
	.size	_ZL28rocblas_dot_batched_4_kernelIiLi64ELi4ELb0EffPKDF16_EviT5_lT_lS2_lS3_liPT4_, .Lfunc_end386-_ZL28rocblas_dot_batched_4_kernelIiLi64ELi4ELb0EffPKDF16_EviT5_lT_lS2_lS3_liPT4_
                                        ; -- End function
	.section	.AMDGPU.csdata,"",@progbits
; Kernel info:
; codeLenInByte = 768
; NumSgprs: 22
; NumVgprs: 14
; ScratchSize: 0
; MemoryBound: 0
; FloatMode: 240
; IeeeMode: 1
; LDSByteSize: 0 bytes/workgroup (compile time only)
; SGPRBlocks: 2
; VGPRBlocks: 1
; NumSGPRsForWavesPerEU: 22
; NumVGPRsForWavesPerEU: 14
; Occupancy: 16
; WaveLimiterHint : 0
; COMPUTE_PGM_RSRC2:SCRATCH_EN: 0
; COMPUTE_PGM_RSRC2:USER_SGPR: 15
; COMPUTE_PGM_RSRC2:TRAP_HANDLER: 0
; COMPUTE_PGM_RSRC2:TGID_X_EN: 1
; COMPUTE_PGM_RSRC2:TGID_Y_EN: 0
; COMPUTE_PGM_RSRC2:TGID_Z_EN: 0
; COMPUTE_PGM_RSRC2:TIDIG_COMP_CNT: 1
	.section	.text._ZL18rocblas_dot_kernelIiLb1ELi1024ELi32ELb0EfPKDF16_fEviT5_lT_lS2_lS3_liPT6_PT4_,"axG",@progbits,_ZL18rocblas_dot_kernelIiLb1ELi1024ELi32ELb0EfPKDF16_fEviT5_lT_lS2_lS3_liPT6_PT4_,comdat
	.globl	_ZL18rocblas_dot_kernelIiLb1ELi1024ELi32ELb0EfPKDF16_fEviT5_lT_lS2_lS3_liPT6_PT4_ ; -- Begin function _ZL18rocblas_dot_kernelIiLb1ELi1024ELi32ELb0EfPKDF16_fEviT5_lT_lS2_lS3_liPT6_PT4_
	.p2align	8
	.type	_ZL18rocblas_dot_kernelIiLb1ELi1024ELi32ELb0EfPKDF16_fEviT5_lT_lS2_lS3_liPT6_PT4_,@function
_ZL18rocblas_dot_kernelIiLb1ELi1024ELi32ELb0EfPKDF16_fEviT5_lT_lS2_lS3_liPT6_PT4_: ; @_ZL18rocblas_dot_kernelIiLb1ELi1024ELi32ELb0EfPKDF16_fEviT5_lT_lS2_lS3_liPT6_PT4_
; %bb.0:
	s_clause 0x1
	s_load_b32 s10, s[0:1], 0x0
	s_load_b64 s[2:3], s[0:1], 0x58
	v_mov_b32_e32 v5, 0
	s_mov_b32 s8, s15
	s_mov_b32 s9, 0
	s_mov_b32 s11, exec_lo
	s_waitcnt lgkmcnt(0)
	v_cmpx_gt_i32_e64 s10, v0
	s_cbranch_execz .LBB387_4
; %bb.1:
	s_clause 0x6
	s_load_b32 s20, s[0:1], 0x60
	s_load_b128 s[4:7], s[0:1], 0x20
	s_load_b32 s22, s[0:1], 0x18
	s_load_b128 s[12:15], s[0:1], 0x8
	s_load_b64 s[16:17], s[0:1], 0x40
	s_load_b32 s23, s[0:1], 0x38
	s_load_b64 s[18:19], s[0:1], 0x30
	v_mov_b32_e32 v5, 0
	s_waitcnt lgkmcnt(0)
	s_lshl_b32 s1, s20, 10
	s_mul_i32 s0, s5, s8
	v_mad_i64_i32 v[1:2], null, s22, v0, 0
	s_mul_hi_u32 s5, s4, s8
	s_mul_i32 s4, s4, s8
	v_mad_i64_i32 v[3:4], null, s23, v0, 0
	s_add_i32 s5, s5, s0
	s_lshl_b64 s[14:15], s[14:15], 1
	s_delay_alu instid0(VALU_DEP_2)
	v_lshlrev_b64 v[1:2], 1, v[1:2]
	s_lshl_b64 s[4:5], s[4:5], 1
	s_add_u32 s0, s12, s14
	s_addc_u32 s12, s13, s15
	s_mul_i32 s17, s17, s8
	s_mul_hi_u32 s24, s16, s8
	s_add_u32 s0, s0, s4
	s_mul_i32 s16, s16, s8
	s_mul_hi_i32 s21, s22, s1
	s_mul_i32 s20, s22, s1
	s_addc_u32 s12, s12, s5
	s_add_i32 s17, s24, s17
	v_add_co_u32 v1, vcc_lo, s0, v1
	s_lshl_b64 s[14:15], s[18:19], 1
	v_lshlrev_b64 v[3:4], 1, v[3:4]
	s_lshl_b64 s[4:5], s[20:21], 1
	v_add_co_ci_u32_e32 v2, vcc_lo, s12, v2, vcc_lo
	s_lshl_b64 s[12:13], s[16:17], 1
	s_add_u32 s0, s6, s14
	s_addc_u32 s6, s7, s15
	s_add_u32 s0, s0, s12
	s_addc_u32 s6, s6, s13
	v_add_co_u32 v3, vcc_lo, s0, v3
	v_or_b32_e32 v6, s1, v0
	v_add_co_ci_u32_e32 v4, vcc_lo, s6, v4, vcc_lo
	s_mul_hi_i32 s7, s23, s1
	s_mul_i32 s6, s23, s1
	s_mov_b32 s12, s9
	s_lshl_b64 s[6:7], s[6:7], 1
	s_mov_b32 s13, s9
	.p2align	6
.LBB387_2:                              ; =>This Inner Loop Header: Depth=1
	global_load_u16 v7, v[3:4], off
	global_load_u16 v8, v[1:2], off
	v_add_co_u32 v1, s0, v1, s4
	s_delay_alu instid0(VALU_DEP_1)
	v_add_co_ci_u32_e64 v2, s0, s5, v2, s0
	s_add_i32 s14, s13, 1
	v_cmp_le_i32_e32 vcc_lo, s10, v6
	v_add_co_u32 v3, s0, v3, s6
	s_cmp_gt_u32 s13, 30
	v_add_co_ci_u32_e64 v4, s0, s7, v4, s0
	s_cselect_b32 s0, -1, 0
	v_add_nc_u32_e32 v6, s1, v6
	s_or_b32 s0, s0, vcc_lo
	s_mov_b32 s13, s14
	s_and_b32 s0, exec_lo, s0
	s_delay_alu instid0(SALU_CYCLE_1)
	s_or_b32 s12, s0, s12
	s_waitcnt vmcnt(0)
	v_fma_mix_f32 v5, v7, v8, v5 op_sel_hi:[1,1,0]
	s_and_not1_b32 exec_lo, exec_lo, s12
	s_cbranch_execnz .LBB387_2
; %bb.3:
	s_or_b32 exec_lo, exec_lo, s12
.LBB387_4:
	s_delay_alu instid0(SALU_CYCLE_1) | instskip(SKIP_2) | instid1(VALU_DEP_2)
	s_or_b32 exec_lo, exec_lo, s11
	v_and_b32_e32 v7, 31, v0
	v_cmp_gt_u32_e32 vcc_lo, 32, v0
	v_lshlrev_b32_e32 v1, 2, v7
	s_and_saveexec_b32 s0, vcc_lo
	s_cbranch_execz .LBB387_6
; %bb.5:
	v_mov_b32_e32 v2, 0
	ds_store_b32 v1, v2
.LBB387_6:
	s_or_b32 exec_lo, exec_lo, s0
	v_mbcnt_lo_u32_b32 v6, -1, 0
	s_mov_b32 s1, exec_lo
	s_waitcnt lgkmcnt(0)
	s_barrier
	buffer_gl0_inv
	v_cmp_gt_u32_e64 s0, 16, v6
	s_delay_alu instid0(VALU_DEP_1) | instskip(SKIP_1) | instid1(VALU_DEP_2)
	v_cndmask_b32_e64 v2, 0, 1, s0
	v_cmp_gt_u32_e64 s0, 24, v6
	v_lshlrev_b32_e32 v2, 4, v2
	s_delay_alu instid0(VALU_DEP_2) | instskip(SKIP_1) | instid1(VALU_DEP_3)
	v_cndmask_b32_e64 v3, 0, 1, s0
	v_cmp_gt_u32_e64 s0, 28, v6
	v_add_lshl_u32 v2, v2, v6, 2
	ds_bpermute_b32 v4, v2, v5
	s_waitcnt lgkmcnt(0)
	v_add_f32_e32 v5, v5, v4
	v_lshlrev_b32_e32 v3, 3, v3
	v_cndmask_b32_e64 v4, 0, 1, s0
	v_cmp_gt_u32_e64 s0, 30, v6
	s_delay_alu instid0(VALU_DEP_3) | instskip(NEXT) | instid1(VALU_DEP_3)
	v_add_lshl_u32 v3, v3, v6, 2
	v_lshlrev_b32_e32 v4, 2, v4
	ds_bpermute_b32 v8, v3, v5
	v_add_lshl_u32 v4, v4, v6, 2
	s_waitcnt lgkmcnt(0)
	v_add_f32_e32 v8, v5, v8
	v_cndmask_b32_e64 v5, 0, 1, s0
	v_cmp_ne_u32_e64 s0, 31, v6
	ds_bpermute_b32 v9, v4, v8
	v_lshlrev_b32_e32 v5, 1, v5
	s_delay_alu instid0(VALU_DEP_1) | instskip(SKIP_1) | instid1(VALU_DEP_1)
	v_add_lshl_u32 v5, v5, v6, 2
	v_add_co_ci_u32_e64 v6, s0, 0, v6, s0
	v_lshlrev_b32_e32 v6, 2, v6
	s_waitcnt lgkmcnt(0)
	v_add_f32_e32 v8, v8, v9
	ds_bpermute_b32 v9, v5, v8
	s_waitcnt lgkmcnt(0)
	v_add_f32_e32 v8, v8, v9
	ds_bpermute_b32 v9, v6, v8
	v_cmpx_eq_u32_e32 0, v7
	s_cbranch_execz .LBB387_8
; %bb.7:
	v_lshrrev_b32_e32 v7, 3, v0
	s_waitcnt lgkmcnt(0)
	s_delay_alu instid0(VALU_DEP_1)
	v_dual_add_f32 v8, v8, v9 :: v_dual_and_b32 v7, 0x7c, v7
	ds_store_b32 v7, v8
.LBB387_8:
	s_or_b32 exec_lo, exec_lo, s1
	v_mov_b32_e32 v7, 0
	s_waitcnt lgkmcnt(0)
	s_barrier
	buffer_gl0_inv
	s_and_saveexec_b32 s0, vcc_lo
	s_cbranch_execz .LBB387_10
; %bb.9:
	ds_load_b32 v7, v1
.LBB387_10:
	s_or_b32 exec_lo, exec_lo, s0
	s_and_saveexec_b32 s0, vcc_lo
	s_cbranch_execz .LBB387_12
; %bb.11:
	s_waitcnt lgkmcnt(0)
	ds_bpermute_b32 v1, v2, v7
	s_waitcnt lgkmcnt(0)
	v_add_f32_e32 v1, v7, v1
	ds_bpermute_b32 v2, v3, v1
	s_waitcnt lgkmcnt(0)
	v_add_f32_e32 v1, v1, v2
	;; [unrolled: 3-line block ×5, first 2 shown]
.LBB387_12:
	s_or_b32 exec_lo, exec_lo, s0
	s_delay_alu instid0(SALU_CYCLE_1)
	s_mov_b32 s0, exec_lo
	v_cmpx_eq_u32_e32 0, v0
	s_cbranch_execz .LBB387_14
; %bb.13:
	s_lshl_b64 s[0:1], s[8:9], 2
	v_mov_b32_e32 v0, 0
	s_add_u32 s0, s2, s0
	s_addc_u32 s1, s3, s1
	s_waitcnt lgkmcnt(0)
	global_store_b32 v0, v7, s[0:1]
.LBB387_14:
	s_nop 0
	s_sendmsg sendmsg(MSG_DEALLOC_VGPRS)
	s_endpgm
	.section	.rodata,"a",@progbits
	.p2align	6, 0x0
	.amdhsa_kernel _ZL18rocblas_dot_kernelIiLb1ELi1024ELi32ELb0EfPKDF16_fEviT5_lT_lS2_lS3_liPT6_PT4_
		.amdhsa_group_segment_fixed_size 128
		.amdhsa_private_segment_fixed_size 0
		.amdhsa_kernarg_size 352
		.amdhsa_user_sgpr_count 14
		.amdhsa_user_sgpr_dispatch_ptr 0
		.amdhsa_user_sgpr_queue_ptr 0
		.amdhsa_user_sgpr_kernarg_segment_ptr 1
		.amdhsa_user_sgpr_dispatch_id 0
		.amdhsa_user_sgpr_private_segment_size 0
		.amdhsa_wavefront_size32 1
		.amdhsa_uses_dynamic_stack 0
		.amdhsa_enable_private_segment 0
		.amdhsa_system_sgpr_workgroup_id_x 1
		.amdhsa_system_sgpr_workgroup_id_y 0
		.amdhsa_system_sgpr_workgroup_id_z 1
		.amdhsa_system_sgpr_workgroup_info 0
		.amdhsa_system_vgpr_workitem_id 0
		.amdhsa_next_free_vgpr 10
		.amdhsa_next_free_sgpr 25
		.amdhsa_reserve_vcc 1
		.amdhsa_float_round_mode_32 0
		.amdhsa_float_round_mode_16_64 0
		.amdhsa_float_denorm_mode_32 3
		.amdhsa_float_denorm_mode_16_64 3
		.amdhsa_dx10_clamp 1
		.amdhsa_ieee_mode 1
		.amdhsa_fp16_overflow 0
		.amdhsa_workgroup_processor_mode 1
		.amdhsa_memory_ordered 1
		.amdhsa_forward_progress 0
		.amdhsa_shared_vgpr_count 0
		.amdhsa_exception_fp_ieee_invalid_op 0
		.amdhsa_exception_fp_denorm_src 0
		.amdhsa_exception_fp_ieee_div_zero 0
		.amdhsa_exception_fp_ieee_overflow 0
		.amdhsa_exception_fp_ieee_underflow 0
		.amdhsa_exception_fp_ieee_inexact 0
		.amdhsa_exception_int_div_zero 0
	.end_amdhsa_kernel
	.section	.text._ZL18rocblas_dot_kernelIiLb1ELi1024ELi32ELb0EfPKDF16_fEviT5_lT_lS2_lS3_liPT6_PT4_,"axG",@progbits,_ZL18rocblas_dot_kernelIiLb1ELi1024ELi32ELb0EfPKDF16_fEviT5_lT_lS2_lS3_liPT6_PT4_,comdat
.Lfunc_end387:
	.size	_ZL18rocblas_dot_kernelIiLb1ELi1024ELi32ELb0EfPKDF16_fEviT5_lT_lS2_lS3_liPT6_PT4_, .Lfunc_end387-_ZL18rocblas_dot_kernelIiLb1ELi1024ELi32ELb0EfPKDF16_fEviT5_lT_lS2_lS3_liPT6_PT4_
                                        ; -- End function
	.section	.AMDGPU.csdata,"",@progbits
; Kernel info:
; codeLenInByte = 944
; NumSgprs: 27
; NumVgprs: 10
; ScratchSize: 0
; MemoryBound: 0
; FloatMode: 240
; IeeeMode: 1
; LDSByteSize: 128 bytes/workgroup (compile time only)
; SGPRBlocks: 3
; VGPRBlocks: 1
; NumSGPRsForWavesPerEU: 27
; NumVGPRsForWavesPerEU: 10
; Occupancy: 16
; WaveLimiterHint : 0
; COMPUTE_PGM_RSRC2:SCRATCH_EN: 0
; COMPUTE_PGM_RSRC2:USER_SGPR: 14
; COMPUTE_PGM_RSRC2:TRAP_HANDLER: 0
; COMPUTE_PGM_RSRC2:TGID_X_EN: 1
; COMPUTE_PGM_RSRC2:TGID_Y_EN: 0
; COMPUTE_PGM_RSRC2:TGID_Z_EN: 1
; COMPUTE_PGM_RSRC2:TIDIG_COMP_CNT: 0
	.section	.text._ZL24rocblas_dot_kernel_magsqIiLb1ELi1024ELi32ELb0EfPKDF16_fEviT5_lT_liPT6_PT4_,"axG",@progbits,_ZL24rocblas_dot_kernel_magsqIiLb1ELi1024ELi32ELb0EfPKDF16_fEviT5_lT_liPT6_PT4_,comdat
	.globl	_ZL24rocblas_dot_kernel_magsqIiLb1ELi1024ELi32ELb0EfPKDF16_fEviT5_lT_liPT6_PT4_ ; -- Begin function _ZL24rocblas_dot_kernel_magsqIiLb1ELi1024ELi32ELb0EfPKDF16_fEviT5_lT_liPT6_PT4_
	.p2align	8
	.type	_ZL24rocblas_dot_kernel_magsqIiLb1ELi1024ELi32ELb0EfPKDF16_fEviT5_lT_liPT6_PT4_,@function
_ZL24rocblas_dot_kernel_magsqIiLb1ELi1024ELi32ELb0EfPKDF16_fEviT5_lT_liPT6_PT4_: ; @_ZL24rocblas_dot_kernel_magsqIiLb1ELi1024ELi32ELb0EfPKDF16_fEviT5_lT_liPT6_PT4_
; %bb.0:
	s_clause 0x1
	s_load_b32 s8, s[0:1], 0x0
	s_load_b64 s[2:3], s[0:1], 0x38
	v_mov_b32_e32 v3, 0
	s_mov_b32 s4, s15
	s_mov_b32 s5, 0
	s_mov_b32 s9, exec_lo
	s_waitcnt lgkmcnt(0)
	v_cmpx_gt_i32_e64 s8, v0
	s_cbranch_execz .LBB388_4
; %bb.1:
	s_clause 0x3
	s_load_b32 s10, s[0:1], 0x40
	s_load_b64 s[6:7], s[0:1], 0x20
	s_load_b32 s16, s[0:1], 0x18
	s_load_b128 s[12:15], s[0:1], 0x8
	v_mov_b32_e32 v3, 0
	s_waitcnt lgkmcnt(0)
	s_lshl_b32 s1, s10, 10
	s_mul_i32 s0, s7, s4
	v_mad_i64_i32 v[1:2], null, s16, v0, 0
	s_mul_hi_u32 s7, s6, s4
	s_mul_i32 s6, s6, s4
	s_add_i32 s7, s7, s0
	s_lshl_b64 s[10:11], s[14:15], 1
	s_lshl_b64 s[6:7], s[6:7], 1
	s_add_u32 s0, s12, s10
	s_delay_alu instid0(VALU_DEP_1)
	v_lshlrev_b64 v[1:2], 1, v[1:2]
	s_addc_u32 s10, s13, s11
	s_add_u32 s0, s0, s6
	s_addc_u32 s6, s10, s7
	v_or_b32_e32 v4, s1, v0
	s_mul_hi_i32 s15, s16, s1
	v_add_co_u32 v1, vcc_lo, s0, v1
	v_add_co_ci_u32_e32 v2, vcc_lo, s6, v2, vcc_lo
	s_mul_i32 s14, s16, s1
	s_mov_b32 s10, s5
	s_lshl_b64 s[6:7], s[14:15], 1
	s_mov_b32 s11, s5
	.p2align	6
.LBB388_2:                              ; =>This Inner Loop Header: Depth=1
	global_load_u16 v5, v[1:2], off
	s_add_i32 s12, s11, 1
	v_cmp_le_i32_e32 vcc_lo, s8, v4
	v_add_co_u32 v1, s0, v1, s6
	s_cmp_gt_u32 s11, 30
	v_add_co_ci_u32_e64 v2, s0, s7, v2, s0
	s_cselect_b32 s0, -1, 0
	v_add_nc_u32_e32 v4, s1, v4
	s_or_b32 s0, s0, vcc_lo
	s_mov_b32 s11, s12
	s_and_b32 s0, exec_lo, s0
	s_delay_alu instid0(SALU_CYCLE_1)
	s_or_b32 s10, s0, s10
	s_waitcnt vmcnt(0)
	v_fma_mix_f32 v3, v5, v5, v3 op_sel_hi:[1,1,0]
	s_and_not1_b32 exec_lo, exec_lo, s10
	s_cbranch_execnz .LBB388_2
; %bb.3:
	s_or_b32 exec_lo, exec_lo, s10
.LBB388_4:
	s_delay_alu instid0(SALU_CYCLE_1) | instskip(SKIP_2) | instid1(VALU_DEP_2)
	s_or_b32 exec_lo, exec_lo, s9
	v_and_b32_e32 v7, 31, v0
	v_cmp_gt_u32_e32 vcc_lo, 32, v0
	v_lshlrev_b32_e32 v1, 2, v7
	s_and_saveexec_b32 s0, vcc_lo
	s_cbranch_execz .LBB388_6
; %bb.5:
	v_mov_b32_e32 v2, 0
	ds_store_b32 v1, v2
.LBB388_6:
	s_or_b32 exec_lo, exec_lo, s0
	v_mbcnt_lo_u32_b32 v6, -1, 0
	s_mov_b32 s1, exec_lo
	s_waitcnt lgkmcnt(0)
	s_barrier
	buffer_gl0_inv
	v_cmp_gt_u32_e64 s0, 16, v6
	s_delay_alu instid0(VALU_DEP_1) | instskip(SKIP_1) | instid1(VALU_DEP_2)
	v_cndmask_b32_e64 v2, 0, 1, s0
	v_cmp_gt_u32_e64 s0, 24, v6
	v_lshlrev_b32_e32 v2, 4, v2
	s_delay_alu instid0(VALU_DEP_2) | instskip(SKIP_1) | instid1(VALU_DEP_3)
	v_cndmask_b32_e64 v4, 0, 1, s0
	v_cmp_gt_u32_e64 s0, 28, v6
	v_add_lshl_u32 v2, v2, v6, 2
	s_delay_alu instid0(VALU_DEP_3)
	v_lshlrev_b32_e32 v4, 3, v4
	ds_bpermute_b32 v5, v2, v3
	v_add_lshl_u32 v4, v4, v6, 2
	s_waitcnt lgkmcnt(0)
	v_add_f32_e32 v5, v3, v5
	v_cndmask_b32_e64 v3, 0, 1, s0
	v_cmp_gt_u32_e64 s0, 30, v6
	ds_bpermute_b32 v8, v4, v5
	s_waitcnt lgkmcnt(0)
	v_dual_add_f32 v8, v5, v8 :: v_dual_lshlrev_b32 v3, 2, v3
	s_delay_alu instid0(VALU_DEP_1) | instskip(SKIP_4) | instid1(VALU_DEP_1)
	v_add_lshl_u32 v3, v3, v6, 2
	v_cndmask_b32_e64 v5, 0, 1, s0
	v_cmp_ne_u32_e64 s0, 31, v6
	ds_bpermute_b32 v9, v3, v8
	v_lshlrev_b32_e32 v5, 1, v5
	v_add_lshl_u32 v5, v5, v6, 2
	v_add_co_ci_u32_e64 v6, s0, 0, v6, s0
	s_delay_alu instid0(VALU_DEP_1)
	v_lshlrev_b32_e32 v6, 2, v6
	s_waitcnt lgkmcnt(0)
	v_add_f32_e32 v8, v8, v9
	ds_bpermute_b32 v9, v5, v8
	s_waitcnt lgkmcnt(0)
	v_add_f32_e32 v8, v8, v9
	ds_bpermute_b32 v9, v6, v8
	v_cmpx_eq_u32_e32 0, v7
	s_cbranch_execz .LBB388_8
; %bb.7:
	v_lshrrev_b32_e32 v7, 3, v0
	s_waitcnt lgkmcnt(0)
	s_delay_alu instid0(VALU_DEP_1)
	v_dual_add_f32 v8, v8, v9 :: v_dual_and_b32 v7, 0x7c, v7
	ds_store_b32 v7, v8
.LBB388_8:
	s_or_b32 exec_lo, exec_lo, s1
	v_mov_b32_e32 v7, 0
	s_waitcnt lgkmcnt(0)
	s_barrier
	buffer_gl0_inv
	s_and_saveexec_b32 s0, vcc_lo
	s_cbranch_execz .LBB388_10
; %bb.9:
	ds_load_b32 v7, v1
.LBB388_10:
	s_or_b32 exec_lo, exec_lo, s0
	s_and_saveexec_b32 s0, vcc_lo
	s_cbranch_execz .LBB388_12
; %bb.11:
	s_waitcnt lgkmcnt(0)
	ds_bpermute_b32 v1, v2, v7
	s_waitcnt lgkmcnt(0)
	v_add_f32_e32 v1, v7, v1
	ds_bpermute_b32 v2, v4, v1
	s_waitcnt lgkmcnt(0)
	v_add_f32_e32 v1, v1, v2
	;; [unrolled: 3-line block ×5, first 2 shown]
.LBB388_12:
	s_or_b32 exec_lo, exec_lo, s0
	s_delay_alu instid0(SALU_CYCLE_1)
	s_mov_b32 s0, exec_lo
	v_cmpx_eq_u32_e32 0, v0
	s_cbranch_execz .LBB388_14
; %bb.13:
	s_lshl_b64 s[0:1], s[4:5], 2
	v_mov_b32_e32 v0, 0
	s_add_u32 s0, s2, s0
	s_addc_u32 s1, s3, s1
	s_waitcnt lgkmcnt(0)
	global_store_b32 v0, v7, s[0:1]
.LBB388_14:
	s_nop 0
	s_sendmsg sendmsg(MSG_DEALLOC_VGPRS)
	s_endpgm
	.section	.rodata,"a",@progbits
	.p2align	6, 0x0
	.amdhsa_kernel _ZL24rocblas_dot_kernel_magsqIiLb1ELi1024ELi32ELb0EfPKDF16_fEviT5_lT_liPT6_PT4_
		.amdhsa_group_segment_fixed_size 128
		.amdhsa_private_segment_fixed_size 0
		.amdhsa_kernarg_size 320
		.amdhsa_user_sgpr_count 14
		.amdhsa_user_sgpr_dispatch_ptr 0
		.amdhsa_user_sgpr_queue_ptr 0
		.amdhsa_user_sgpr_kernarg_segment_ptr 1
		.amdhsa_user_sgpr_dispatch_id 0
		.amdhsa_user_sgpr_private_segment_size 0
		.amdhsa_wavefront_size32 1
		.amdhsa_uses_dynamic_stack 0
		.amdhsa_enable_private_segment 0
		.amdhsa_system_sgpr_workgroup_id_x 1
		.amdhsa_system_sgpr_workgroup_id_y 0
		.amdhsa_system_sgpr_workgroup_id_z 1
		.amdhsa_system_sgpr_workgroup_info 0
		.amdhsa_system_vgpr_workitem_id 0
		.amdhsa_next_free_vgpr 10
		.amdhsa_next_free_sgpr 17
		.amdhsa_reserve_vcc 1
		.amdhsa_float_round_mode_32 0
		.amdhsa_float_round_mode_16_64 0
		.amdhsa_float_denorm_mode_32 3
		.amdhsa_float_denorm_mode_16_64 3
		.amdhsa_dx10_clamp 1
		.amdhsa_ieee_mode 1
		.amdhsa_fp16_overflow 0
		.amdhsa_workgroup_processor_mode 1
		.amdhsa_memory_ordered 1
		.amdhsa_forward_progress 0
		.amdhsa_shared_vgpr_count 0
		.amdhsa_exception_fp_ieee_invalid_op 0
		.amdhsa_exception_fp_denorm_src 0
		.amdhsa_exception_fp_ieee_div_zero 0
		.amdhsa_exception_fp_ieee_overflow 0
		.amdhsa_exception_fp_ieee_underflow 0
		.amdhsa_exception_fp_ieee_inexact 0
		.amdhsa_exception_int_div_zero 0
	.end_amdhsa_kernel
	.section	.text._ZL24rocblas_dot_kernel_magsqIiLb1ELi1024ELi32ELb0EfPKDF16_fEviT5_lT_liPT6_PT4_,"axG",@progbits,_ZL24rocblas_dot_kernel_magsqIiLb1ELi1024ELi32ELb0EfPKDF16_fEviT5_lT_liPT6_PT4_,comdat
.Lfunc_end388:
	.size	_ZL24rocblas_dot_kernel_magsqIiLb1ELi1024ELi32ELb0EfPKDF16_fEviT5_lT_liPT6_PT4_, .Lfunc_end388-_ZL24rocblas_dot_kernel_magsqIiLb1ELi1024ELi32ELb0EfPKDF16_fEviT5_lT_liPT6_PT4_
                                        ; -- End function
	.section	.AMDGPU.csdata,"",@progbits
; Kernel info:
; codeLenInByte = 816
; NumSgprs: 19
; NumVgprs: 10
; ScratchSize: 0
; MemoryBound: 0
; FloatMode: 240
; IeeeMode: 1
; LDSByteSize: 128 bytes/workgroup (compile time only)
; SGPRBlocks: 2
; VGPRBlocks: 1
; NumSGPRsForWavesPerEU: 19
; NumVGPRsForWavesPerEU: 10
; Occupancy: 16
; WaveLimiterHint : 0
; COMPUTE_PGM_RSRC2:SCRATCH_EN: 0
; COMPUTE_PGM_RSRC2:USER_SGPR: 14
; COMPUTE_PGM_RSRC2:TRAP_HANDLER: 0
; COMPUTE_PGM_RSRC2:TGID_X_EN: 1
; COMPUTE_PGM_RSRC2:TGID_Y_EN: 0
; COMPUTE_PGM_RSRC2:TGID_Z_EN: 1
; COMPUTE_PGM_RSRC2:TIDIG_COMP_CNT: 0
	.section	.text._ZL38rocblas_dot_kernel_gfx942_float_doubleIiLi1024EfPKDF16_fEviT2_lT_lS2_lS3_lPT3_PT1_,"axG",@progbits,_ZL38rocblas_dot_kernel_gfx942_float_doubleIiLi1024EfPKDF16_fEviT2_lT_lS2_lS3_lPT3_PT1_,comdat
	.globl	_ZL38rocblas_dot_kernel_gfx942_float_doubleIiLi1024EfPKDF16_fEviT2_lT_lS2_lS3_lPT3_PT1_ ; -- Begin function _ZL38rocblas_dot_kernel_gfx942_float_doubleIiLi1024EfPKDF16_fEviT2_lT_lS2_lS3_lPT3_PT1_
	.p2align	8
	.type	_ZL38rocblas_dot_kernel_gfx942_float_doubleIiLi1024EfPKDF16_fEviT2_lT_lS2_lS3_lPT3_PT1_,@function
_ZL38rocblas_dot_kernel_gfx942_float_doubleIiLi1024EfPKDF16_fEviT2_lT_lS2_lS3_lPT3_PT1_: ; @_ZL38rocblas_dot_kernel_gfx942_float_doubleIiLi1024EfPKDF16_fEviT2_lT_lS2_lS3_lPT3_PT1_
; %bb.0:
	s_endpgm
	.section	.rodata,"a",@progbits
	.p2align	6, 0x0
	.amdhsa_kernel _ZL38rocblas_dot_kernel_gfx942_float_doubleIiLi1024EfPKDF16_fEviT2_lT_lS2_lS3_lPT3_PT1_
		.amdhsa_group_segment_fixed_size 0
		.amdhsa_private_segment_fixed_size 0
		.amdhsa_kernarg_size 88
		.amdhsa_user_sgpr_count 15
		.amdhsa_user_sgpr_dispatch_ptr 0
		.amdhsa_user_sgpr_queue_ptr 0
		.amdhsa_user_sgpr_kernarg_segment_ptr 1
		.amdhsa_user_sgpr_dispatch_id 0
		.amdhsa_user_sgpr_private_segment_size 0
		.amdhsa_wavefront_size32 1
		.amdhsa_uses_dynamic_stack 0
		.amdhsa_enable_private_segment 0
		.amdhsa_system_sgpr_workgroup_id_x 1
		.amdhsa_system_sgpr_workgroup_id_y 0
		.amdhsa_system_sgpr_workgroup_id_z 0
		.amdhsa_system_sgpr_workgroup_info 0
		.amdhsa_system_vgpr_workitem_id 0
		.amdhsa_next_free_vgpr 1
		.amdhsa_next_free_sgpr 1
		.amdhsa_reserve_vcc 0
		.amdhsa_float_round_mode_32 0
		.amdhsa_float_round_mode_16_64 0
		.amdhsa_float_denorm_mode_32 3
		.amdhsa_float_denorm_mode_16_64 3
		.amdhsa_dx10_clamp 1
		.amdhsa_ieee_mode 1
		.amdhsa_fp16_overflow 0
		.amdhsa_workgroup_processor_mode 1
		.amdhsa_memory_ordered 1
		.amdhsa_forward_progress 0
		.amdhsa_shared_vgpr_count 0
		.amdhsa_exception_fp_ieee_invalid_op 0
		.amdhsa_exception_fp_denorm_src 0
		.amdhsa_exception_fp_ieee_div_zero 0
		.amdhsa_exception_fp_ieee_overflow 0
		.amdhsa_exception_fp_ieee_underflow 0
		.amdhsa_exception_fp_ieee_inexact 0
		.amdhsa_exception_int_div_zero 0
	.end_amdhsa_kernel
	.section	.text._ZL38rocblas_dot_kernel_gfx942_float_doubleIiLi1024EfPKDF16_fEviT2_lT_lS2_lS3_lPT3_PT1_,"axG",@progbits,_ZL38rocblas_dot_kernel_gfx942_float_doubleIiLi1024EfPKDF16_fEviT2_lT_lS2_lS3_lPT3_PT1_,comdat
.Lfunc_end389:
	.size	_ZL38rocblas_dot_kernel_gfx942_float_doubleIiLi1024EfPKDF16_fEviT2_lT_lS2_lS3_lPT3_PT1_, .Lfunc_end389-_ZL38rocblas_dot_kernel_gfx942_float_doubleIiLi1024EfPKDF16_fEviT2_lT_lS2_lS3_lPT3_PT1_
                                        ; -- End function
	.section	.AMDGPU.csdata,"",@progbits
; Kernel info:
; codeLenInByte = 4
; NumSgprs: 0
; NumVgprs: 0
; ScratchSize: 0
; MemoryBound: 0
; FloatMode: 240
; IeeeMode: 1
; LDSByteSize: 0 bytes/workgroup (compile time only)
; SGPRBlocks: 0
; VGPRBlocks: 0
; NumSGPRsForWavesPerEU: 1
; NumVGPRsForWavesPerEU: 1
; Occupancy: 16
; WaveLimiterHint : 0
; COMPUTE_PGM_RSRC2:SCRATCH_EN: 0
; COMPUTE_PGM_RSRC2:USER_SGPR: 15
; COMPUTE_PGM_RSRC2:TRAP_HANDLER: 0
; COMPUTE_PGM_RSRC2:TGID_X_EN: 1
; COMPUTE_PGM_RSRC2:TGID_Y_EN: 0
; COMPUTE_PGM_RSRC2:TGID_Z_EN: 0
; COMPUTE_PGM_RSRC2:TIDIG_COMP_CNT: 0
	.section	.text._ZL18rocblas_dot_kernelIiLb0ELi512ELi4ELb0EfPKDF16_fEviT5_lT_lS2_lS3_liPT6_PT4_,"axG",@progbits,_ZL18rocblas_dot_kernelIiLb0ELi512ELi4ELb0EfPKDF16_fEviT5_lT_lS2_lS3_liPT6_PT4_,comdat
	.globl	_ZL18rocblas_dot_kernelIiLb0ELi512ELi4ELb0EfPKDF16_fEviT5_lT_lS2_lS3_liPT6_PT4_ ; -- Begin function _ZL18rocblas_dot_kernelIiLb0ELi512ELi4ELb0EfPKDF16_fEviT5_lT_lS2_lS3_liPT6_PT4_
	.p2align	8
	.type	_ZL18rocblas_dot_kernelIiLb0ELi512ELi4ELb0EfPKDF16_fEviT5_lT_lS2_lS3_liPT6_PT4_,@function
_ZL18rocblas_dot_kernelIiLb0ELi512ELi4ELb0EfPKDF16_fEviT5_lT_lS2_lS3_liPT6_PT4_: ; @_ZL18rocblas_dot_kernelIiLb0ELi512ELi4ELb0EfPKDF16_fEviT5_lT_lS2_lS3_liPT6_PT4_
; %bb.0:
	s_clause 0x2
	s_load_b32 s12, s[0:1], 0x60
	s_load_b32 s13, s[0:1], 0x0
	s_load_b128 s[4:7], s[0:1], 0x50
	v_lshl_or_b32 v1, s14, 9, v0
	v_mov_b32_e32 v6, 0
	s_mov_b32 s2, s15
	s_mov_b32 s3, 0
	s_mov_b32 s15, exec_lo
	s_waitcnt lgkmcnt(0)
	v_cmpx_gt_i32_e64 s13, v1
	s_cbranch_execz .LBB390_4
; %bb.1:
	s_clause 0x5
	s_load_b32 s17, s[0:1], 0x18
	s_load_b128 s[8:11], s[0:1], 0x20
	s_load_b128 s[20:23], s[0:1], 0x8
	s_load_b32 s26, s[0:1], 0x38
	s_load_b64 s[18:19], s[0:1], 0x40
	s_load_b64 s[0:1], s[0:1], 0x30
	s_lshl_b32 s16, s12, 9
	s_delay_alu instid0(SALU_CYCLE_1)
	v_add_nc_u32_e32 v5, s16, v1
	s_waitcnt lgkmcnt(0)
	v_mad_i64_i32 v[2:3], null, s17, v1, 0
	s_mul_i32 s9, s9, s2
	s_mul_hi_u32 s27, s8, s2
	v_mad_i64_i32 v[6:7], null, s26, v1, 0
	s_mul_i32 s8, s8, s2
	s_add_i32 s9, s27, s9
	s_lshl_b64 s[22:23], s[22:23], 1
	s_lshl_b64 s[8:9], s[8:9], 1
	s_add_u32 s20, s20, s22
	s_mul_hi_i32 s25, s17, s16
	s_mul_i32 s24, s17, s16
	s_mul_i32 s17, s19, s2
	s_mul_hi_u32 s19, s18, s2
	s_addc_u32 s21, s21, s23
	v_lshlrev_b64 v[1:2], 1, v[2:3]
	s_add_u32 s20, s20, s8
	s_mul_i32 s18, s18, s2
	s_addc_u32 s21, s21, s9
	s_add_i32 s19, s19, s17
	v_lshlrev_b64 v[3:4], 1, v[6:7]
	v_mov_b32_e32 v6, 0
	s_lshl_b64 s[0:1], s[0:1], 1
	s_lshl_b64 s[8:9], s[24:25], 1
	;; [unrolled: 1-line block ×3, first 2 shown]
	s_add_u32 s0, s10, s0
	v_add_co_u32 v1, vcc_lo, s20, v1
	s_addc_u32 s1, s11, s1
	s_add_u32 s0, s0, s18
	v_add_co_ci_u32_e32 v2, vcc_lo, s21, v2, vcc_lo
	s_addc_u32 s1, s1, s19
	v_add_co_u32 v3, vcc_lo, s0, v3
	v_add_co_ci_u32_e32 v4, vcc_lo, s1, v4, vcc_lo
	s_mul_hi_i32 s1, s26, s16
	s_mul_i32 s0, s26, s16
	s_mov_b32 s17, s3
	s_lshl_b64 s[10:11], s[0:1], 1
	s_mov_b32 s1, s3
	.p2align	6
.LBB390_2:                              ; =>This Inner Loop Header: Depth=1
	global_load_u16 v7, v[3:4], off
	global_load_u16 v8, v[1:2], off
	v_add_co_u32 v1, s0, v1, s8
	s_delay_alu instid0(VALU_DEP_1)
	v_add_co_ci_u32_e64 v2, s0, s9, v2, s0
	s_add_i32 s18, s17, 1
	v_cmp_le_i32_e32 vcc_lo, s13, v5
	v_add_co_u32 v3, s0, v3, s10
	s_cmp_gt_u32 s17, 2
	v_add_co_ci_u32_e64 v4, s0, s11, v4, s0
	s_cselect_b32 s0, -1, 0
	v_add_nc_u32_e32 v5, s16, v5
	s_or_b32 s0, s0, vcc_lo
	s_mov_b32 s17, s18
	s_and_b32 s0, exec_lo, s0
	s_delay_alu instid0(SALU_CYCLE_1)
	s_or_b32 s1, s0, s1
	s_waitcnt vmcnt(0)
	v_fma_mix_f32 v6, v7, v8, v6 op_sel_hi:[1,1,0]
	s_and_not1_b32 exec_lo, exec_lo, s1
	s_cbranch_execnz .LBB390_2
; %bb.3:
	s_or_b32 exec_lo, exec_lo, s1
.LBB390_4:
	s_delay_alu instid0(SALU_CYCLE_1) | instskip(SKIP_2) | instid1(VALU_DEP_2)
	s_or_b32 exec_lo, exec_lo, s15
	v_and_b32_e32 v2, 31, v0
	v_cmp_gt_u32_e32 vcc_lo, 32, v0
	v_lshlrev_b32_e32 v1, 2, v2
	s_and_saveexec_b32 s0, vcc_lo
	s_cbranch_execz .LBB390_6
; %bb.5:
	v_mov_b32_e32 v3, 0
	ds_store_b32 v1, v3
.LBB390_6:
	s_or_b32 exec_lo, exec_lo, s0
	v_mbcnt_lo_u32_b32 v7, -1, 0
	s_mov_b32 s1, exec_lo
	s_waitcnt lgkmcnt(0)
	s_barrier
	buffer_gl0_inv
	v_cmp_gt_u32_e64 s0, 16, v7
	s_delay_alu instid0(VALU_DEP_1) | instskip(SKIP_1) | instid1(VALU_DEP_2)
	v_cndmask_b32_e64 v3, 0, 1, s0
	v_cmp_gt_u32_e64 s0, 24, v7
	v_lshlrev_b32_e32 v3, 4, v3
	s_delay_alu instid0(VALU_DEP_1) | instskip(SKIP_3) | instid1(VALU_DEP_2)
	v_add_lshl_u32 v3, v3, v7, 2
	ds_bpermute_b32 v4, v3, v6
	v_cndmask_b32_e64 v3, 0, 1, s0
	v_cmp_gt_u32_e64 s0, 28, v7
	v_lshlrev_b32_e32 v3, 3, v3
	s_delay_alu instid0(VALU_DEP_1)
	v_add_lshl_u32 v3, v3, v7, 2
	s_waitcnt lgkmcnt(0)
	v_add_f32_e32 v5, v6, v4
	v_cndmask_b32_e64 v4, 0, 1, s0
	v_cmp_gt_u32_e64 s0, 30, v7
	ds_bpermute_b32 v6, v3, v5
	v_lshlrev_b32_e32 v4, 2, v4
	s_delay_alu instid0(VALU_DEP_1)
	v_add_lshl_u32 v4, v4, v7, 2
	s_waitcnt lgkmcnt(0)
	v_add_f32_e32 v6, v5, v6
	v_cndmask_b32_e64 v5, 0, 1, s0
	v_cmp_ne_u32_e64 s0, 31, v7
	ds_bpermute_b32 v8, v4, v6
	v_lshlrev_b32_e32 v5, 1, v5
	v_add_co_ci_u32_e64 v9, s0, 0, v7, s0
	s_delay_alu instid0(VALU_DEP_2)
	v_add_lshl_u32 v5, v5, v7, 2
	s_waitcnt lgkmcnt(0)
	v_add_f32_e32 v6, v6, v8
	ds_bpermute_b32 v8, v5, v6
	s_waitcnt lgkmcnt(0)
	v_dual_add_f32 v7, v6, v8 :: v_dual_lshlrev_b32 v6, 2, v9
	ds_bpermute_b32 v8, v6, v7
	v_cmpx_eq_u32_e32 0, v2
	s_cbranch_execz .LBB390_8
; %bb.7:
	v_lshrrev_b32_e32 v2, 3, v0
	s_waitcnt lgkmcnt(0)
	s_delay_alu instid0(VALU_DEP_1)
	v_dual_add_f32 v7, v7, v8 :: v_dual_and_b32 v2, 60, v2
	ds_store_b32 v2, v7
.LBB390_8:
	s_or_b32 exec_lo, exec_lo, s1
	v_mov_b32_e32 v2, 0
	s_mov_b32 s1, exec_lo
	s_waitcnt lgkmcnt(0)
	s_barrier
	buffer_gl0_inv
	v_cmpx_gt_u32_e32 16, v0
	s_cbranch_execz .LBB390_10
; %bb.9:
	ds_load_b32 v2, v1
.LBB390_10:
	s_or_b32 exec_lo, exec_lo, s1
	s_and_saveexec_b32 s0, vcc_lo
	s_cbranch_execz .LBB390_12
; %bb.11:
	s_waitcnt lgkmcnt(0)
	ds_bpermute_b32 v1, v3, v2
	s_waitcnt lgkmcnt(0)
	v_add_f32_e32 v1, v2, v1
	ds_bpermute_b32 v2, v4, v1
	s_waitcnt lgkmcnt(0)
	v_add_f32_e32 v1, v1, v2
	;; [unrolled: 3-line block ×4, first 2 shown]
.LBB390_12:
	s_or_b32 exec_lo, exec_lo, s0
	s_delay_alu instid0(SALU_CYCLE_1)
	s_mov_b32 s0, exec_lo
	v_cmpx_eq_u32_e32 0, v0
	s_cbranch_execz .LBB390_18
; %bb.13:
	s_cmp_lg_u32 s12, 1
	s_cbranch_scc0 .LBB390_15
; %bb.14:
	s_mul_hi_u32 s1, s12, s2
	s_mul_i32 s0, s12, s2
	s_mov_b32 s15, 0
	s_lshl_b64 s[0:1], s[0:1], 2
	s_delay_alu instid0(SALU_CYCLE_1) | instskip(SKIP_2) | instid1(SALU_CYCLE_1)
	s_add_u32 s4, s4, s0
	s_addc_u32 s5, s5, s1
	s_lshl_b64 s[0:1], s[14:15], 2
	s_add_u32 s0, s4, s0
	s_addc_u32 s1, s5, s1
	s_cbranch_execz .LBB390_16
	s_branch .LBB390_17
.LBB390_15:
                                        ; implicit-def: $sgpr0_sgpr1
.LBB390_16:
	s_lshl_b64 s[0:1], s[2:3], 2
	s_delay_alu instid0(SALU_CYCLE_1)
	s_add_u32 s0, s6, s0
	s_addc_u32 s1, s7, s1
.LBB390_17:
	v_mov_b32_e32 v0, 0
	s_waitcnt lgkmcnt(0)
	global_store_b32 v0, v2, s[0:1]
.LBB390_18:
	s_nop 0
	s_sendmsg sendmsg(MSG_DEALLOC_VGPRS)
	s_endpgm
	.section	.rodata,"a",@progbits
	.p2align	6, 0x0
	.amdhsa_kernel _ZL18rocblas_dot_kernelIiLb0ELi512ELi4ELb0EfPKDF16_fEviT5_lT_lS2_lS3_liPT6_PT4_
		.amdhsa_group_segment_fixed_size 128
		.amdhsa_private_segment_fixed_size 0
		.amdhsa_kernarg_size 352
		.amdhsa_user_sgpr_count 14
		.amdhsa_user_sgpr_dispatch_ptr 0
		.amdhsa_user_sgpr_queue_ptr 0
		.amdhsa_user_sgpr_kernarg_segment_ptr 1
		.amdhsa_user_sgpr_dispatch_id 0
		.amdhsa_user_sgpr_private_segment_size 0
		.amdhsa_wavefront_size32 1
		.amdhsa_uses_dynamic_stack 0
		.amdhsa_enable_private_segment 0
		.amdhsa_system_sgpr_workgroup_id_x 1
		.amdhsa_system_sgpr_workgroup_id_y 0
		.amdhsa_system_sgpr_workgroup_id_z 1
		.amdhsa_system_sgpr_workgroup_info 0
		.amdhsa_system_vgpr_workitem_id 0
		.amdhsa_next_free_vgpr 10
		.amdhsa_next_free_sgpr 28
		.amdhsa_reserve_vcc 1
		.amdhsa_float_round_mode_32 0
		.amdhsa_float_round_mode_16_64 0
		.amdhsa_float_denorm_mode_32 3
		.amdhsa_float_denorm_mode_16_64 3
		.amdhsa_dx10_clamp 1
		.amdhsa_ieee_mode 1
		.amdhsa_fp16_overflow 0
		.amdhsa_workgroup_processor_mode 1
		.amdhsa_memory_ordered 1
		.amdhsa_forward_progress 0
		.amdhsa_shared_vgpr_count 0
		.amdhsa_exception_fp_ieee_invalid_op 0
		.amdhsa_exception_fp_denorm_src 0
		.amdhsa_exception_fp_ieee_div_zero 0
		.amdhsa_exception_fp_ieee_overflow 0
		.amdhsa_exception_fp_ieee_underflow 0
		.amdhsa_exception_fp_ieee_inexact 0
		.amdhsa_exception_int_div_zero 0
	.end_amdhsa_kernel
	.section	.text._ZL18rocblas_dot_kernelIiLb0ELi512ELi4ELb0EfPKDF16_fEviT5_lT_lS2_lS3_liPT6_PT4_,"axG",@progbits,_ZL18rocblas_dot_kernelIiLb0ELi512ELi4ELb0EfPKDF16_fEviT5_lT_lS2_lS3_liPT6_PT4_,comdat
.Lfunc_end390:
	.size	_ZL18rocblas_dot_kernelIiLb0ELi512ELi4ELb0EfPKDF16_fEviT5_lT_lS2_lS3_liPT6_PT4_, .Lfunc_end390-_ZL18rocblas_dot_kernelIiLb0ELi512ELi4ELb0EfPKDF16_fEviT5_lT_lS2_lS3_liPT6_PT4_
                                        ; -- End function
	.section	.AMDGPU.csdata,"",@progbits
; Kernel info:
; codeLenInByte = 1000
; NumSgprs: 30
; NumVgprs: 10
; ScratchSize: 0
; MemoryBound: 0
; FloatMode: 240
; IeeeMode: 1
; LDSByteSize: 128 bytes/workgroup (compile time only)
; SGPRBlocks: 3
; VGPRBlocks: 1
; NumSGPRsForWavesPerEU: 30
; NumVGPRsForWavesPerEU: 10
; Occupancy: 16
; WaveLimiterHint : 0
; COMPUTE_PGM_RSRC2:SCRATCH_EN: 0
; COMPUTE_PGM_RSRC2:USER_SGPR: 14
; COMPUTE_PGM_RSRC2:TRAP_HANDLER: 0
; COMPUTE_PGM_RSRC2:TGID_X_EN: 1
; COMPUTE_PGM_RSRC2:TGID_Y_EN: 0
; COMPUTE_PGM_RSRC2:TGID_Z_EN: 1
; COMPUTE_PGM_RSRC2:TIDIG_COMP_CNT: 0
	.section	.text._ZL24rocblas_dot_kernel_magsqIiLb0ELi512ELi4ELb0EfPKDF16_fEviT5_lT_liPT6_PT4_,"axG",@progbits,_ZL24rocblas_dot_kernel_magsqIiLb0ELi512ELi4ELb0EfPKDF16_fEviT5_lT_liPT6_PT4_,comdat
	.globl	_ZL24rocblas_dot_kernel_magsqIiLb0ELi512ELi4ELb0EfPKDF16_fEviT5_lT_liPT6_PT4_ ; -- Begin function _ZL24rocblas_dot_kernel_magsqIiLb0ELi512ELi4ELb0EfPKDF16_fEviT5_lT_liPT6_PT4_
	.p2align	8
	.type	_ZL24rocblas_dot_kernel_magsqIiLb0ELi512ELi4ELb0EfPKDF16_fEviT5_lT_liPT6_PT4_,@function
_ZL24rocblas_dot_kernel_magsqIiLb0ELi512ELi4ELb0EfPKDF16_fEviT5_lT_liPT6_PT4_: ; @_ZL24rocblas_dot_kernel_magsqIiLb0ELi512ELi4ELb0EfPKDF16_fEviT5_lT_liPT6_PT4_
; %bb.0:
	s_clause 0x2
	s_load_b32 s11, s[0:1], 0x0
	s_load_b128 s[4:7], s[0:1], 0x30
	s_load_b32 s10, s[0:1], 0x40
	v_lshl_or_b32 v1, s14, 9, v0
	v_mov_b32_e32 v3, 0
	s_mov_b32 s2, s15
	s_mov_b32 s3, 0
	s_mov_b32 s12, exec_lo
	s_waitcnt lgkmcnt(0)
	v_cmpx_gt_i32_e64 s11, v1
	s_cbranch_execz .LBB391_4
; %bb.1:
	s_clause 0x2
	s_load_b32 s13, s[0:1], 0x18
	s_load_b64 s[8:9], s[0:1], 0x20
	s_load_b128 s[16:19], s[0:1], 0x8
	s_lshl_b32 s1, s10, 9
	s_mov_b32 s15, s3
	v_add_nc_u32_e32 v4, s1, v1
	s_waitcnt lgkmcnt(0)
	v_mad_i64_i32 v[2:3], null, s13, v1, 0
	s_mul_i32 s0, s9, s2
	s_mul_hi_u32 s9, s8, s2
	s_mul_i32 s8, s8, s2
	s_add_i32 s9, s9, s0
	s_lshl_b64 s[18:19], s[18:19], 1
	s_lshl_b64 s[8:9], s[8:9], 1
	s_delay_alu instid0(VALU_DEP_1)
	v_lshlrev_b64 v[1:2], 1, v[2:3]
	v_mov_b32_e32 v3, 0
	s_add_u32 s0, s16, s18
	s_mul_hi_i32 s21, s13, s1
	s_mul_i32 s20, s13, s1
	s_addc_u32 s13, s17, s19
	s_add_u32 s0, s0, s8
	s_addc_u32 s8, s13, s9
	v_add_co_u32 v1, vcc_lo, s0, v1
	v_add_co_ci_u32_e32 v2, vcc_lo, s8, v2, vcc_lo
	s_lshl_b64 s[8:9], s[20:21], 1
	s_mov_b32 s13, s3
	.p2align	6
.LBB391_2:                              ; =>This Inner Loop Header: Depth=1
	global_load_u16 v5, v[1:2], off
	s_add_i32 s16, s15, 1
	v_cmp_le_i32_e32 vcc_lo, s11, v4
	v_add_co_u32 v1, s0, v1, s8
	s_cmp_gt_u32 s15, 2
	v_add_co_ci_u32_e64 v2, s0, s9, v2, s0
	s_cselect_b32 s0, -1, 0
	v_add_nc_u32_e32 v4, s1, v4
	s_or_b32 s0, s0, vcc_lo
	s_mov_b32 s15, s16
	s_and_b32 s0, exec_lo, s0
	s_delay_alu instid0(SALU_CYCLE_1)
	s_or_b32 s13, s0, s13
	s_waitcnt vmcnt(0)
	v_fma_mix_f32 v3, v5, v5, v3 op_sel_hi:[1,1,0]
	s_and_not1_b32 exec_lo, exec_lo, s13
	s_cbranch_execnz .LBB391_2
; %bb.3:
	s_or_b32 exec_lo, exec_lo, s13
.LBB391_4:
	s_delay_alu instid0(SALU_CYCLE_1) | instskip(SKIP_2) | instid1(VALU_DEP_2)
	s_or_b32 exec_lo, exec_lo, s12
	v_and_b32_e32 v2, 31, v0
	v_cmp_gt_u32_e32 vcc_lo, 32, v0
	v_lshlrev_b32_e32 v1, 2, v2
	s_and_saveexec_b32 s0, vcc_lo
	s_cbranch_execz .LBB391_6
; %bb.5:
	v_mov_b32_e32 v4, 0
	ds_store_b32 v1, v4
.LBB391_6:
	s_or_b32 exec_lo, exec_lo, s0
	v_mbcnt_lo_u32_b32 v6, -1, 0
	s_mov_b32 s1, exec_lo
	s_waitcnt lgkmcnt(0)
	s_barrier
	buffer_gl0_inv
	v_cmp_gt_u32_e64 s0, 16, v6
	s_delay_alu instid0(VALU_DEP_1) | instskip(SKIP_1) | instid1(VALU_DEP_2)
	v_cndmask_b32_e64 v4, 0, 1, s0
	v_cmp_gt_u32_e64 s0, 24, v6
	v_lshlrev_b32_e32 v4, 4, v4
	s_delay_alu instid0(VALU_DEP_1) | instskip(SKIP_4) | instid1(VALU_DEP_2)
	v_add_lshl_u32 v4, v4, v6, 2
	ds_bpermute_b32 v5, v4, v3
	v_cndmask_b32_e64 v4, 0, 1, s0
	v_cmp_gt_u32_e64 s0, 28, v6
	s_waitcnt lgkmcnt(0)
	v_dual_add_f32 v5, v3, v5 :: v_dual_lshlrev_b32 v4, 3, v4
	s_delay_alu instid0(VALU_DEP_2) | instskip(SKIP_1) | instid1(VALU_DEP_3)
	v_cndmask_b32_e64 v3, 0, 1, s0
	v_cmp_gt_u32_e64 s0, 30, v6
	v_add_lshl_u32 v4, v4, v6, 2
	s_delay_alu instid0(VALU_DEP_3)
	v_lshlrev_b32_e32 v3, 2, v3
	ds_bpermute_b32 v7, v4, v5
	v_add_lshl_u32 v3, v3, v6, 2
	s_waitcnt lgkmcnt(0)
	v_add_f32_e32 v7, v5, v7
	v_cndmask_b32_e64 v5, 0, 1, s0
	v_cmp_ne_u32_e64 s0, 31, v6
	ds_bpermute_b32 v8, v3, v7
	v_lshlrev_b32_e32 v5, 1, v5
	s_delay_alu instid0(VALU_DEP_1) | instskip(SKIP_2) | instid1(VALU_DEP_1)
	v_add_lshl_u32 v5, v5, v6, 2
	v_add_co_ci_u32_e64 v6, s0, 0, v6, s0
	s_waitcnt lgkmcnt(0)
	v_dual_add_f32 v7, v7, v8 :: v_dual_lshlrev_b32 v6, 2, v6
	ds_bpermute_b32 v8, v5, v7
	s_waitcnt lgkmcnt(0)
	v_add_f32_e32 v7, v7, v8
	ds_bpermute_b32 v8, v6, v7
	v_cmpx_eq_u32_e32 0, v2
	s_cbranch_execz .LBB391_8
; %bb.7:
	v_lshrrev_b32_e32 v2, 3, v0
	s_waitcnt lgkmcnt(0)
	s_delay_alu instid0(VALU_DEP_1)
	v_dual_add_f32 v7, v7, v8 :: v_dual_and_b32 v2, 60, v2
	ds_store_b32 v2, v7
.LBB391_8:
	s_or_b32 exec_lo, exec_lo, s1
	v_mov_b32_e32 v2, 0
	s_mov_b32 s1, exec_lo
	s_waitcnt lgkmcnt(0)
	s_barrier
	buffer_gl0_inv
	v_cmpx_gt_u32_e32 16, v0
	s_cbranch_execz .LBB391_10
; %bb.9:
	ds_load_b32 v2, v1
.LBB391_10:
	s_or_b32 exec_lo, exec_lo, s1
	s_and_saveexec_b32 s0, vcc_lo
	s_cbranch_execz .LBB391_12
; %bb.11:
	s_waitcnt lgkmcnt(0)
	ds_bpermute_b32 v1, v4, v2
	s_waitcnt lgkmcnt(0)
	v_add_f32_e32 v1, v2, v1
	ds_bpermute_b32 v2, v3, v1
	s_waitcnt lgkmcnt(0)
	v_add_f32_e32 v1, v1, v2
	;; [unrolled: 3-line block ×4, first 2 shown]
.LBB391_12:
	s_or_b32 exec_lo, exec_lo, s0
	s_delay_alu instid0(SALU_CYCLE_1)
	s_mov_b32 s0, exec_lo
	v_cmpx_eq_u32_e32 0, v0
	s_cbranch_execz .LBB391_18
; %bb.13:
	s_cmp_lg_u32 s10, 1
	s_cbranch_scc0 .LBB391_15
; %bb.14:
	s_mul_hi_u32 s1, s10, s2
	s_mul_i32 s0, s10, s2
	s_mov_b32 s15, 0
	s_lshl_b64 s[0:1], s[0:1], 2
	s_delay_alu instid0(SALU_CYCLE_1) | instskip(SKIP_2) | instid1(SALU_CYCLE_1)
	s_add_u32 s4, s4, s0
	s_addc_u32 s5, s5, s1
	s_lshl_b64 s[0:1], s[14:15], 2
	s_add_u32 s0, s4, s0
	s_addc_u32 s1, s5, s1
	s_cbranch_execz .LBB391_16
	s_branch .LBB391_17
.LBB391_15:
                                        ; implicit-def: $sgpr0_sgpr1
.LBB391_16:
	s_lshl_b64 s[0:1], s[2:3], 2
	s_delay_alu instid0(SALU_CYCLE_1)
	s_add_u32 s0, s6, s0
	s_addc_u32 s1, s7, s1
.LBB391_17:
	v_mov_b32_e32 v0, 0
	s_waitcnt lgkmcnt(0)
	global_store_b32 v0, v2, s[0:1]
.LBB391_18:
	s_nop 0
	s_sendmsg sendmsg(MSG_DEALLOC_VGPRS)
	s_endpgm
	.section	.rodata,"a",@progbits
	.p2align	6, 0x0
	.amdhsa_kernel _ZL24rocblas_dot_kernel_magsqIiLb0ELi512ELi4ELb0EfPKDF16_fEviT5_lT_liPT6_PT4_
		.amdhsa_group_segment_fixed_size 128
		.amdhsa_private_segment_fixed_size 0
		.amdhsa_kernarg_size 320
		.amdhsa_user_sgpr_count 14
		.amdhsa_user_sgpr_dispatch_ptr 0
		.amdhsa_user_sgpr_queue_ptr 0
		.amdhsa_user_sgpr_kernarg_segment_ptr 1
		.amdhsa_user_sgpr_dispatch_id 0
		.amdhsa_user_sgpr_private_segment_size 0
		.amdhsa_wavefront_size32 1
		.amdhsa_uses_dynamic_stack 0
		.amdhsa_enable_private_segment 0
		.amdhsa_system_sgpr_workgroup_id_x 1
		.amdhsa_system_sgpr_workgroup_id_y 0
		.amdhsa_system_sgpr_workgroup_id_z 1
		.amdhsa_system_sgpr_workgroup_info 0
		.amdhsa_system_vgpr_workitem_id 0
		.amdhsa_next_free_vgpr 9
		.amdhsa_next_free_sgpr 22
		.amdhsa_reserve_vcc 1
		.amdhsa_float_round_mode_32 0
		.amdhsa_float_round_mode_16_64 0
		.amdhsa_float_denorm_mode_32 3
		.amdhsa_float_denorm_mode_16_64 3
		.amdhsa_dx10_clamp 1
		.amdhsa_ieee_mode 1
		.amdhsa_fp16_overflow 0
		.amdhsa_workgroup_processor_mode 1
		.amdhsa_memory_ordered 1
		.amdhsa_forward_progress 0
		.amdhsa_shared_vgpr_count 0
		.amdhsa_exception_fp_ieee_invalid_op 0
		.amdhsa_exception_fp_denorm_src 0
		.amdhsa_exception_fp_ieee_div_zero 0
		.amdhsa_exception_fp_ieee_overflow 0
		.amdhsa_exception_fp_ieee_underflow 0
		.amdhsa_exception_fp_ieee_inexact 0
		.amdhsa_exception_int_div_zero 0
	.end_amdhsa_kernel
	.section	.text._ZL24rocblas_dot_kernel_magsqIiLb0ELi512ELi4ELb0EfPKDF16_fEviT5_lT_liPT6_PT4_,"axG",@progbits,_ZL24rocblas_dot_kernel_magsqIiLb0ELi512ELi4ELb0EfPKDF16_fEviT5_lT_liPT6_PT4_,comdat
.Lfunc_end391:
	.size	_ZL24rocblas_dot_kernel_magsqIiLb0ELi512ELi4ELb0EfPKDF16_fEviT5_lT_liPT6_PT4_, .Lfunc_end391-_ZL24rocblas_dot_kernel_magsqIiLb0ELi512ELi4ELb0EfPKDF16_fEviT5_lT_liPT6_PT4_
                                        ; -- End function
	.section	.AMDGPU.csdata,"",@progbits
; Kernel info:
; codeLenInByte = 868
; NumSgprs: 24
; NumVgprs: 9
; ScratchSize: 0
; MemoryBound: 0
; FloatMode: 240
; IeeeMode: 1
; LDSByteSize: 128 bytes/workgroup (compile time only)
; SGPRBlocks: 2
; VGPRBlocks: 1
; NumSGPRsForWavesPerEU: 24
; NumVGPRsForWavesPerEU: 9
; Occupancy: 16
; WaveLimiterHint : 0
; COMPUTE_PGM_RSRC2:SCRATCH_EN: 0
; COMPUTE_PGM_RSRC2:USER_SGPR: 14
; COMPUTE_PGM_RSRC2:TRAP_HANDLER: 0
; COMPUTE_PGM_RSRC2:TGID_X_EN: 1
; COMPUTE_PGM_RSRC2:TGID_Y_EN: 0
; COMPUTE_PGM_RSRC2:TGID_Z_EN: 1
; COMPUTE_PGM_RSRC2:TIDIG_COMP_CNT: 0
	.section	.text._ZL30rocblas_reduction_kernel_part2ILi512ELi8E25rocblas_finalize_identityfDF16_EviPT2_PT3_,"axG",@progbits,_ZL30rocblas_reduction_kernel_part2ILi512ELi8E25rocblas_finalize_identityfDF16_EviPT2_PT3_,comdat
	.globl	_ZL30rocblas_reduction_kernel_part2ILi512ELi8E25rocblas_finalize_identityfDF16_EviPT2_PT3_ ; -- Begin function _ZL30rocblas_reduction_kernel_part2ILi512ELi8E25rocblas_finalize_identityfDF16_EviPT2_PT3_
	.p2align	8
	.type	_ZL30rocblas_reduction_kernel_part2ILi512ELi8E25rocblas_finalize_identityfDF16_EviPT2_PT3_,@function
_ZL30rocblas_reduction_kernel_part2ILi512ELi8E25rocblas_finalize_identityfDF16_EviPT2_PT3_: ; @_ZL30rocblas_reduction_kernel_part2ILi512ELi8E25rocblas_finalize_identityfDF16_EviPT2_PT3_
; %bb.0:
	s_clause 0x1
	s_load_b32 s10, s[0:1], 0x0
	s_load_b128 s[4:7], s[0:1], 0x8
	v_dual_mov_b32 v3, 0 :: v_dual_lshlrev_b32 v4, 3, v0
	s_mov_b32 s2, s15
	s_mov_b32 s3, 0
	s_mov_b32 s11, exec_lo
	s_waitcnt lgkmcnt(0)
	s_ashr_i32 s0, s10, 31
	s_mul_hi_u32 s8, s10, s15
	s_lshr_b32 s1, s0, 29
	s_mul_i32 s0, s0, s15
	s_add_i32 s1, s10, s1
	s_add_i32 s9, s8, s0
	s_and_b32 s1, s1, -8
	s_mul_i32 s8, s10, s15
	v_cmpx_gt_i32_e64 s1, v4
	s_cbranch_execz .LBB392_4
; %bb.1:
	v_lshlrev_b32_e32 v1, 5, v0
	s_lshl_b64 s[12:13], s[8:9], 2
	v_mov_b32_e32 v3, 0
	s_add_u32 s0, s4, s12
	s_addc_u32 s12, s5, s13
	v_add_co_u32 v1, s0, s0, v1
	s_delay_alu instid0(VALU_DEP_1) | instskip(SKIP_1) | instid1(VALU_DEP_2)
	v_add_co_ci_u32_e64 v2, null, s12, 0, s0
	s_mov_b32 s12, s3
	v_add_co_u32 v1, vcc_lo, v1, 28
	s_delay_alu instid0(VALU_DEP_2)
	v_add_co_ci_u32_e32 v2, vcc_lo, 0, v2, vcc_lo
	.p2align	6
.LBB392_2:                              ; =>This Inner Loop Header: Depth=1
	s_clause 0x1
	global_load_b128 v[5:8], v[1:2], off offset:-28
	global_load_b128 v[9:12], v[1:2], off offset:-12
	v_add_co_u32 v1, vcc_lo, 0x4000, v1
	v_add_co_ci_u32_e32 v2, vcc_lo, 0, v2, vcc_lo
	v_add_nc_u32_e32 v4, 0x1000, v4
	s_delay_alu instid0(VALU_DEP_1) | instskip(NEXT) | instid1(VALU_DEP_1)
	v_cmp_le_i32_e64 s0, s1, v4
	s_or_b32 s12, s0, s12
	s_waitcnt vmcnt(1)
	v_add_f32_e32 v3, v3, v5
	s_delay_alu instid0(VALU_DEP_1) | instskip(NEXT) | instid1(VALU_DEP_1)
	v_add_f32_e32 v3, v3, v6
	v_add_f32_e32 v3, v3, v7
	s_delay_alu instid0(VALU_DEP_1) | instskip(SKIP_1) | instid1(VALU_DEP_1)
	v_add_f32_e32 v3, v3, v8
	s_waitcnt vmcnt(0)
	v_add_f32_e32 v3, v3, v9
	s_delay_alu instid0(VALU_DEP_1) | instskip(NEXT) | instid1(VALU_DEP_1)
	v_add_f32_e32 v3, v3, v10
	v_add_f32_e32 v3, v3, v11
	s_delay_alu instid0(VALU_DEP_1)
	v_add_f32_e32 v3, v3, v12
	s_and_not1_b32 exec_lo, exec_lo, s12
	s_cbranch_execnz .LBB392_2
; %bb.3:
	s_or_b32 exec_lo, exec_lo, s12
.LBB392_4:
	s_delay_alu instid0(SALU_CYCLE_1) | instskip(SKIP_1) | instid1(SALU_CYCLE_1)
	s_or_b32 exec_lo, exec_lo, s11
	s_sub_i32 s0, s10, s1
	v_cmp_gt_u32_e32 vcc_lo, s0, v0
	s_and_saveexec_b32 s0, vcc_lo
	s_cbranch_execz .LBB392_6
; %bb.5:
	v_xad_u32 v1, v0, -1, s10
	v_mov_b32_e32 v2, 0
	s_lshl_b64 s[8:9], s[8:9], 2
	s_delay_alu instid0(SALU_CYCLE_1) | instskip(SKIP_1) | instid1(VALU_DEP_1)
	s_add_u32 s1, s4, s8
	s_addc_u32 s4, s5, s9
	v_lshlrev_b64 v[1:2], 2, v[1:2]
	s_delay_alu instid0(VALU_DEP_1) | instskip(NEXT) | instid1(VALU_DEP_2)
	v_add_co_u32 v1, vcc_lo, s1, v1
	v_add_co_ci_u32_e32 v2, vcc_lo, s4, v2, vcc_lo
	global_load_b32 v1, v[1:2], off
	s_waitcnt vmcnt(0)
	v_add_f32_e32 v3, v3, v1
.LBB392_6:
	s_or_b32 exec_lo, exec_lo, s0
	v_and_b32_e32 v5, 31, v0
	v_cmp_gt_u32_e32 vcc_lo, 32, v0
	s_delay_alu instid0(VALU_DEP_2)
	v_lshlrev_b32_e32 v1, 2, v5
	s_and_saveexec_b32 s0, vcc_lo
	s_cbranch_execz .LBB392_8
; %bb.7:
	v_mov_b32_e32 v2, 0
	ds_store_b32 v1, v2
.LBB392_8:
	s_or_b32 exec_lo, exec_lo, s0
	v_mbcnt_lo_u32_b32 v6, -1, 0
	s_mov_b32 s1, exec_lo
	s_waitcnt lgkmcnt(0)
	s_barrier
	buffer_gl0_inv
	v_cmp_gt_u32_e64 s0, 16, v6
	s_delay_alu instid0(VALU_DEP_1) | instskip(SKIP_1) | instid1(VALU_DEP_2)
	v_cndmask_b32_e64 v2, 0, 1, s0
	v_cmp_gt_u32_e64 s0, 24, v6
	v_lshlrev_b32_e32 v2, 4, v2
	s_delay_alu instid0(VALU_DEP_1) | instskip(SKIP_3) | instid1(VALU_DEP_2)
	v_add_lshl_u32 v2, v2, v6, 2
	ds_bpermute_b32 v4, v2, v3
	v_cndmask_b32_e64 v2, 0, 1, s0
	v_cmp_gt_u32_e64 s0, 28, v6
	v_lshlrev_b32_e32 v2, 3, v2
	s_delay_alu instid0(VALU_DEP_1) | instskip(SKIP_4) | instid1(VALU_DEP_2)
	v_add_lshl_u32 v2, v2, v6, 2
	s_waitcnt lgkmcnt(0)
	v_add_f32_e32 v4, v3, v4
	v_cndmask_b32_e64 v3, 0, 1, s0
	v_cmp_gt_u32_e64 s0, 30, v6
	v_lshlrev_b32_e32 v3, 2, v3
	ds_bpermute_b32 v7, v2, v4
	v_add_lshl_u32 v3, v3, v6, 2
	s_waitcnt lgkmcnt(0)
	v_add_f32_e32 v7, v4, v7
	v_cndmask_b32_e64 v4, 0, 1, s0
	v_cmp_ne_u32_e64 s0, 31, v6
	ds_bpermute_b32 v8, v3, v7
	v_lshlrev_b32_e32 v4, 1, v4
	s_delay_alu instid0(VALU_DEP_1) | instskip(SKIP_2) | instid1(VALU_DEP_1)
	v_add_lshl_u32 v4, v4, v6, 2
	v_add_co_ci_u32_e64 v6, s0, 0, v6, s0
	s_waitcnt lgkmcnt(0)
	v_dual_add_f32 v7, v7, v8 :: v_dual_lshlrev_b32 v6, 2, v6
	ds_bpermute_b32 v8, v4, v7
	s_waitcnt lgkmcnt(0)
	v_add_f32_e32 v7, v7, v8
	ds_bpermute_b32 v8, v6, v7
	v_cmpx_eq_u32_e32 0, v5
	s_cbranch_execz .LBB392_10
; %bb.9:
	v_lshrrev_b32_e32 v5, 3, v0
	s_waitcnt lgkmcnt(0)
	v_add_f32_e32 v7, v7, v8
	s_delay_alu instid0(VALU_DEP_2)
	v_and_b32_e32 v5, 60, v5
	ds_store_b32 v5, v7
.LBB392_10:
	s_or_b32 exec_lo, exec_lo, s1
	v_mov_b32_e32 v5, 0
	s_mov_b32 s1, exec_lo
	s_waitcnt lgkmcnt(0)
	s_barrier
	buffer_gl0_inv
	v_cmpx_gt_u32_e32 16, v0
	s_cbranch_execz .LBB392_12
; %bb.11:
	ds_load_b32 v5, v1
.LBB392_12:
	s_or_b32 exec_lo, exec_lo, s1
	s_and_saveexec_b32 s0, vcc_lo
	s_cbranch_execz .LBB392_14
; %bb.13:
	s_waitcnt lgkmcnt(0)
	ds_bpermute_b32 v1, v2, v5
	s_waitcnt lgkmcnt(0)
	v_add_f32_e32 v1, v5, v1
	ds_bpermute_b32 v2, v3, v1
	s_waitcnt lgkmcnt(0)
	v_add_f32_e32 v1, v1, v2
	ds_bpermute_b32 v2, v4, v1
	s_waitcnt lgkmcnt(0)
	v_add_f32_e32 v1, v1, v2
	ds_bpermute_b32 v2, v6, v1
	s_waitcnt lgkmcnt(0)
	v_add_f32_e32 v5, v1, v2
.LBB392_14:
	s_or_b32 exec_lo, exec_lo, s0
	s_delay_alu instid0(SALU_CYCLE_1)
	s_mov_b32 s0, exec_lo
	v_cmpx_eq_u32_e32 0, v0
	s_cbranch_execz .LBB392_16
; %bb.15:
	s_lshl_b64 s[0:1], s[2:3], 1
	v_mov_b32_e32 v0, 0
	s_waitcnt lgkmcnt(0)
	v_cvt_f16_f32_e32 v1, v5
	s_add_u32 s0, s6, s0
	s_addc_u32 s1, s7, s1
	global_store_b16 v0, v1, s[0:1]
.LBB392_16:
	s_nop 0
	s_sendmsg sendmsg(MSG_DEALLOC_VGPRS)
	s_endpgm
	.section	.rodata,"a",@progbits
	.p2align	6, 0x0
	.amdhsa_kernel _ZL30rocblas_reduction_kernel_part2ILi512ELi8E25rocblas_finalize_identityfDF16_EviPT2_PT3_
		.amdhsa_group_segment_fixed_size 128
		.amdhsa_private_segment_fixed_size 0
		.amdhsa_kernarg_size 24
		.amdhsa_user_sgpr_count 15
		.amdhsa_user_sgpr_dispatch_ptr 0
		.amdhsa_user_sgpr_queue_ptr 0
		.amdhsa_user_sgpr_kernarg_segment_ptr 1
		.amdhsa_user_sgpr_dispatch_id 0
		.amdhsa_user_sgpr_private_segment_size 0
		.amdhsa_wavefront_size32 1
		.amdhsa_uses_dynamic_stack 0
		.amdhsa_enable_private_segment 0
		.amdhsa_system_sgpr_workgroup_id_x 1
		.amdhsa_system_sgpr_workgroup_id_y 0
		.amdhsa_system_sgpr_workgroup_id_z 0
		.amdhsa_system_sgpr_workgroup_info 0
		.amdhsa_system_vgpr_workitem_id 0
		.amdhsa_next_free_vgpr 13
		.amdhsa_next_free_sgpr 16
		.amdhsa_reserve_vcc 1
		.amdhsa_float_round_mode_32 0
		.amdhsa_float_round_mode_16_64 0
		.amdhsa_float_denorm_mode_32 3
		.amdhsa_float_denorm_mode_16_64 3
		.amdhsa_dx10_clamp 1
		.amdhsa_ieee_mode 1
		.amdhsa_fp16_overflow 0
		.amdhsa_workgroup_processor_mode 1
		.amdhsa_memory_ordered 1
		.amdhsa_forward_progress 0
		.amdhsa_shared_vgpr_count 0
		.amdhsa_exception_fp_ieee_invalid_op 0
		.amdhsa_exception_fp_denorm_src 0
		.amdhsa_exception_fp_ieee_div_zero 0
		.amdhsa_exception_fp_ieee_overflow 0
		.amdhsa_exception_fp_ieee_underflow 0
		.amdhsa_exception_fp_ieee_inexact 0
		.amdhsa_exception_int_div_zero 0
	.end_amdhsa_kernel
	.section	.text._ZL30rocblas_reduction_kernel_part2ILi512ELi8E25rocblas_finalize_identityfDF16_EviPT2_PT3_,"axG",@progbits,_ZL30rocblas_reduction_kernel_part2ILi512ELi8E25rocblas_finalize_identityfDF16_EviPT2_PT3_,comdat
.Lfunc_end392:
	.size	_ZL30rocblas_reduction_kernel_part2ILi512ELi8E25rocblas_finalize_identityfDF16_EviPT2_PT3_, .Lfunc_end392-_ZL30rocblas_reduction_kernel_part2ILi512ELi8E25rocblas_finalize_identityfDF16_EviPT2_PT3_
                                        ; -- End function
	.section	.AMDGPU.csdata,"",@progbits
; Kernel info:
; codeLenInByte = 884
; NumSgprs: 18
; NumVgprs: 13
; ScratchSize: 0
; MemoryBound: 0
; FloatMode: 240
; IeeeMode: 1
; LDSByteSize: 128 bytes/workgroup (compile time only)
; SGPRBlocks: 2
; VGPRBlocks: 1
; NumSGPRsForWavesPerEU: 18
; NumVGPRsForWavesPerEU: 13
; Occupancy: 16
; WaveLimiterHint : 0
; COMPUTE_PGM_RSRC2:SCRATCH_EN: 0
; COMPUTE_PGM_RSRC2:USER_SGPR: 15
; COMPUTE_PGM_RSRC2:TRAP_HANDLER: 0
; COMPUTE_PGM_RSRC2:TGID_X_EN: 1
; COMPUTE_PGM_RSRC2:TGID_Y_EN: 0
; COMPUTE_PGM_RSRC2:TGID_Z_EN: 0
; COMPUTE_PGM_RSRC2:TIDIG_COMP_CNT: 0
	.section	.text._ZL28rocblas_dot_batched_4_kernelIlLi32ELi4ELb0EfDF16_PKDF16_EviT5_lT_lS2_lS3_liPT4_,"axG",@progbits,_ZL28rocblas_dot_batched_4_kernelIlLi32ELi4ELb0EfDF16_PKDF16_EviT5_lT_lS2_lS3_liPT4_,comdat
	.globl	_ZL28rocblas_dot_batched_4_kernelIlLi32ELi4ELb0EfDF16_PKDF16_EviT5_lT_lS2_lS3_liPT4_ ; -- Begin function _ZL28rocblas_dot_batched_4_kernelIlLi32ELi4ELb0EfDF16_PKDF16_EviT5_lT_lS2_lS3_liPT4_
	.p2align	8
	.type	_ZL28rocblas_dot_batched_4_kernelIlLi32ELi4ELb0EfDF16_PKDF16_EviT5_lT_lS2_lS3_liPT4_,@function
_ZL28rocblas_dot_batched_4_kernelIlLi32ELi4ELb0EfDF16_PKDF16_EviT5_lT_lS2_lS3_liPT4_: ; @_ZL28rocblas_dot_batched_4_kernelIlLi32ELi4ELb0EfDF16_PKDF16_EviT5_lT_lS2_lS3_liPT4_
; %bb.0:
	s_load_b32 s2, s[0:1], 0x48
	v_bfe_u32 v1, v0, 10, 10
	s_delay_alu instid0(VALU_DEP_1) | instskip(SKIP_1) | instid1(VALU_DEP_1)
	v_lshl_add_u32 v1, s15, 2, v1
	s_waitcnt lgkmcnt(0)
	v_cmp_gt_u32_e32 vcc_lo, s2, v1
	s_and_saveexec_b32 s2, vcc_lo
	s_cbranch_execz .LBB393_7
; %bb.1:
	s_clause 0x1
	s_load_b32 s16, s[0:1], 0x0
	s_load_b64 s[2:3], s[0:1], 0x50
	v_mov_b32_e32 v2, 0
	v_and_b32_e32 v0, 0x3ff, v0
	s_mov_b32 s17, exec_lo
	s_delay_alu instid0(VALU_DEP_2) | instskip(SKIP_1) | instid1(VALU_DEP_2)
	v_mov_b32_e32 v7, v2
	s_waitcnt lgkmcnt(0)
	v_cmpx_gt_i32_e64 s16, v0
	s_cbranch_execz .LBB393_5
; %bb.2:
	s_clause 0x3
	s_load_b128 s[12:15], s[0:1], 0x10
	s_load_b256 s[4:11], s[0:1], 0x20
	s_load_b64 s[18:19], s[0:1], 0x40
	s_load_b64 s[0:1], s[0:1], 0x8
	s_waitcnt lgkmcnt(0)
	v_mad_u64_u32 v[3:4], null, s14, v0, 0
	v_mad_u64_u32 v[5:6], null, s4, v1, 0
	;; [unrolled: 1-line block ×4, first 2 shown]
	s_lshl_b64 s[12:13], s[12:13], 1
	s_delay_alu instid0(VALU_DEP_3) | instskip(SKIP_4) | instid1(VALU_DEP_2)
	v_mad_u64_u32 v[12:13], null, s15, v0, v[4:5]
	v_mov_b32_e32 v7, 0
	s_add_u32 s12, s0, s12
	s_addc_u32 s13, s1, s13
	s_lshl_b64 s[0:1], s[8:9], 1
	v_mov_b32_e32 v4, v12
	v_mad_u64_u32 v[13:14], null, s5, v1, v[6:7]
	v_mad_u64_u32 v[14:15], null, s11, v0, v[9:10]
	;; [unrolled: 1-line block ×3, first 2 shown]
	s_delay_alu instid0(VALU_DEP_4) | instskip(SKIP_1) | instid1(VALU_DEP_4)
	v_lshlrev_b64 v[3:4], 1, v[3:4]
	s_lshl_b64 s[4:5], s[14:15], 6
	v_mov_b32_e32 v6, v13
	s_add_u32 s0, s6, s0
	s_delay_alu instid0(VALU_DEP_4) | instskip(SKIP_1) | instid1(VALU_DEP_4)
	v_mov_b32_e32 v9, v14
	s_addc_u32 s1, s7, s1
	v_mov_b32_e32 v11, v15
	v_lshlrev_b64 v[5:6], 1, v[5:6]
	s_lshl_b64 s[6:7], s[10:11], 6
	v_lshlrev_b64 v[8:9], 1, v[8:9]
	s_delay_alu instid0(VALU_DEP_3) | instskip(NEXT) | instid1(VALU_DEP_3)
	v_lshlrev_b64 v[10:11], 1, v[10:11]
	v_add_co_u32 v3, vcc_lo, v3, v5
	s_delay_alu instid0(VALU_DEP_4) | instskip(NEXT) | instid1(VALU_DEP_3)
	v_add_co_ci_u32_e32 v4, vcc_lo, v4, v6, vcc_lo
	v_add_co_u32 v5, vcc_lo, v8, v10
	v_mov_b32_e32 v8, v0
	v_add_co_ci_u32_e32 v6, vcc_lo, v9, v11, vcc_lo
	v_add_co_u32 v3, vcc_lo, s12, v3
	v_add_co_ci_u32_e32 v4, vcc_lo, s13, v4, vcc_lo
	v_add_co_u32 v5, vcc_lo, s0, v5
	s_delay_alu instid0(VALU_DEP_4)
	v_add_co_ci_u32_e32 v6, vcc_lo, s1, v6, vcc_lo
	s_mov_b32 s1, 0
	.p2align	6
.LBB393_3:                              ; =>This Inner Loop Header: Depth=1
	global_load_u16 v9, v[3:4], off
	global_load_u16 v10, v[5:6], off
	v_add_nc_u32_e32 v8, 32, v8
	v_add_co_u32 v3, vcc_lo, v3, s4
	v_add_co_ci_u32_e32 v4, vcc_lo, s5, v4, vcc_lo
	v_add_co_u32 v5, vcc_lo, v5, s6
	s_delay_alu instid0(VALU_DEP_4) | instskip(SKIP_1) | instid1(VALU_DEP_2)
	v_cmp_le_i32_e64 s0, s16, v8
	v_add_co_ci_u32_e32 v6, vcc_lo, s7, v6, vcc_lo
	s_or_b32 s1, s0, s1
	s_waitcnt vmcnt(0)
	v_fma_mix_f32 v7, v9, v10, v7 op_sel_hi:[1,1,0]
	s_and_not1_b32 exec_lo, exec_lo, s1
	s_cbranch_execnz .LBB393_3
; %bb.4:
	s_or_b32 exec_lo, exec_lo, s1
.LBB393_5:
	s_delay_alu instid0(SALU_CYCLE_1)
	s_or_b32 exec_lo, exec_lo, s17
	v_mbcnt_lo_u32_b32 v3, -1, 0
	s_barrier
	buffer_gl0_inv
	v_cmp_gt_u32_e32 vcc_lo, 16, v3
	v_cndmask_b32_e64 v4, 0, 1, vcc_lo
	v_cmp_gt_u32_e32 vcc_lo, 24, v3
	s_delay_alu instid0(VALU_DEP_2) | instskip(SKIP_2) | instid1(VALU_DEP_3)
	v_lshlrev_b32_e32 v4, 4, v4
	v_cndmask_b32_e64 v5, 0, 1, vcc_lo
	v_cmp_gt_u32_e32 vcc_lo, 28, v3
	v_add_lshl_u32 v4, v4, v3, 2
	v_cndmask_b32_e64 v6, 0, 1, vcc_lo
	v_cmp_gt_u32_e32 vcc_lo, 30, v3
	ds_bpermute_b32 v4, v4, v7
	v_lshlrev_b32_e32 v5, 3, v5
	v_lshlrev_b32_e32 v6, 2, v6
	s_delay_alu instid0(VALU_DEP_1)
	v_add_lshl_u32 v6, v6, v3, 2
	s_waitcnt lgkmcnt(0)
	v_add_f32_e32 v4, v7, v4
	v_add_lshl_u32 v5, v5, v3, 2
	ds_bpermute_b32 v5, v5, v4
	s_waitcnt lgkmcnt(0)
	v_add_f32_e32 v4, v4, v5
	ds_bpermute_b32 v5, v6, v4
	v_cndmask_b32_e64 v6, 0, 1, vcc_lo
	v_cmp_ne_u32_e32 vcc_lo, 31, v3
	s_delay_alu instid0(VALU_DEP_2) | instskip(NEXT) | instid1(VALU_DEP_1)
	v_lshlrev_b32_e32 v6, 1, v6
	v_add_lshl_u32 v6, v6, v3, 2
	s_waitcnt lgkmcnt(0)
	v_add_f32_e32 v4, v4, v5
	ds_bpermute_b32 v5, v6, v4
	v_add_co_ci_u32_e32 v6, vcc_lo, 0, v3, vcc_lo
	v_cmp_eq_u32_e32 vcc_lo, 0, v0
	s_waitcnt lgkmcnt(0)
	s_delay_alu instid0(VALU_DEP_2)
	v_dual_add_f32 v3, v4, v5 :: v_dual_lshlrev_b32 v4, 2, v6
	ds_bpermute_b32 v4, v4, v3
	s_and_b32 exec_lo, exec_lo, vcc_lo
	s_cbranch_execz .LBB393_7
; %bb.6:
	v_lshlrev_b64 v[0:1], 1, v[1:2]
	s_waitcnt lgkmcnt(0)
	v_add_f32_e32 v2, v3, v4
	s_delay_alu instid0(VALU_DEP_1) | instskip(NEXT) | instid1(VALU_DEP_3)
	v_cvt_f16_f32_e32 v2, v2
	v_add_co_u32 v0, vcc_lo, s2, v0
	s_delay_alu instid0(VALU_DEP_4)
	v_add_co_ci_u32_e32 v1, vcc_lo, s3, v1, vcc_lo
	global_store_b16 v[0:1], v2, off
.LBB393_7:
	s_nop 0
	s_sendmsg sendmsg(MSG_DEALLOC_VGPRS)
	s_endpgm
	.section	.rodata,"a",@progbits
	.p2align	6, 0x0
	.amdhsa_kernel _ZL28rocblas_dot_batched_4_kernelIlLi32ELi4ELb0EfDF16_PKDF16_EviT5_lT_lS2_lS3_liPT4_
		.amdhsa_group_segment_fixed_size 0
		.amdhsa_private_segment_fixed_size 0
		.amdhsa_kernarg_size 88
		.amdhsa_user_sgpr_count 15
		.amdhsa_user_sgpr_dispatch_ptr 0
		.amdhsa_user_sgpr_queue_ptr 0
		.amdhsa_user_sgpr_kernarg_segment_ptr 1
		.amdhsa_user_sgpr_dispatch_id 0
		.amdhsa_user_sgpr_private_segment_size 0
		.amdhsa_wavefront_size32 1
		.amdhsa_uses_dynamic_stack 0
		.amdhsa_enable_private_segment 0
		.amdhsa_system_sgpr_workgroup_id_x 1
		.amdhsa_system_sgpr_workgroup_id_y 0
		.amdhsa_system_sgpr_workgroup_id_z 0
		.amdhsa_system_sgpr_workgroup_info 0
		.amdhsa_system_vgpr_workitem_id 1
		.amdhsa_next_free_vgpr 17
		.amdhsa_next_free_sgpr 20
		.amdhsa_reserve_vcc 1
		.amdhsa_float_round_mode_32 0
		.amdhsa_float_round_mode_16_64 0
		.amdhsa_float_denorm_mode_32 3
		.amdhsa_float_denorm_mode_16_64 3
		.amdhsa_dx10_clamp 1
		.amdhsa_ieee_mode 1
		.amdhsa_fp16_overflow 0
		.amdhsa_workgroup_processor_mode 1
		.amdhsa_memory_ordered 1
		.amdhsa_forward_progress 0
		.amdhsa_shared_vgpr_count 0
		.amdhsa_exception_fp_ieee_invalid_op 0
		.amdhsa_exception_fp_denorm_src 0
		.amdhsa_exception_fp_ieee_div_zero 0
		.amdhsa_exception_fp_ieee_overflow 0
		.amdhsa_exception_fp_ieee_underflow 0
		.amdhsa_exception_fp_ieee_inexact 0
		.amdhsa_exception_int_div_zero 0
	.end_amdhsa_kernel
	.section	.text._ZL28rocblas_dot_batched_4_kernelIlLi32ELi4ELb0EfDF16_PKDF16_EviT5_lT_lS2_lS3_liPT4_,"axG",@progbits,_ZL28rocblas_dot_batched_4_kernelIlLi32ELi4ELb0EfDF16_PKDF16_EviT5_lT_lS2_lS3_liPT4_,comdat
.Lfunc_end393:
	.size	_ZL28rocblas_dot_batched_4_kernelIlLi32ELi4ELb0EfDF16_PKDF16_EviT5_lT_lS2_lS3_liPT4_, .Lfunc_end393-_ZL28rocblas_dot_batched_4_kernelIlLi32ELi4ELb0EfDF16_PKDF16_EviT5_lT_lS2_lS3_liPT4_
                                        ; -- End function
	.section	.AMDGPU.csdata,"",@progbits
; Kernel info:
; codeLenInByte = 752
; NumSgprs: 22
; NumVgprs: 17
; ScratchSize: 0
; MemoryBound: 0
; FloatMode: 240
; IeeeMode: 1
; LDSByteSize: 0 bytes/workgroup (compile time only)
; SGPRBlocks: 2
; VGPRBlocks: 2
; NumSGPRsForWavesPerEU: 22
; NumVGPRsForWavesPerEU: 17
; Occupancy: 16
; WaveLimiterHint : 0
; COMPUTE_PGM_RSRC2:SCRATCH_EN: 0
; COMPUTE_PGM_RSRC2:USER_SGPR: 15
; COMPUTE_PGM_RSRC2:TRAP_HANDLER: 0
; COMPUTE_PGM_RSRC2:TGID_X_EN: 1
; COMPUTE_PGM_RSRC2:TGID_Y_EN: 0
; COMPUTE_PGM_RSRC2:TGID_Z_EN: 0
; COMPUTE_PGM_RSRC2:TIDIG_COMP_CNT: 1
	.section	.text._ZL28rocblas_dot_batched_4_kernelIlLi64ELi4ELb0EfDF16_PKDF16_EviT5_lT_lS2_lS3_liPT4_,"axG",@progbits,_ZL28rocblas_dot_batched_4_kernelIlLi64ELi4ELb0EfDF16_PKDF16_EviT5_lT_lS2_lS3_liPT4_,comdat
	.globl	_ZL28rocblas_dot_batched_4_kernelIlLi64ELi4ELb0EfDF16_PKDF16_EviT5_lT_lS2_lS3_liPT4_ ; -- Begin function _ZL28rocblas_dot_batched_4_kernelIlLi64ELi4ELb0EfDF16_PKDF16_EviT5_lT_lS2_lS3_liPT4_
	.p2align	8
	.type	_ZL28rocblas_dot_batched_4_kernelIlLi64ELi4ELb0EfDF16_PKDF16_EviT5_lT_lS2_lS3_liPT4_,@function
_ZL28rocblas_dot_batched_4_kernelIlLi64ELi4ELb0EfDF16_PKDF16_EviT5_lT_lS2_lS3_liPT4_: ; @_ZL28rocblas_dot_batched_4_kernelIlLi64ELi4ELb0EfDF16_PKDF16_EviT5_lT_lS2_lS3_liPT4_
; %bb.0:
	s_load_b32 s2, s[0:1], 0x48
	v_bfe_u32 v1, v0, 10, 10
	s_delay_alu instid0(VALU_DEP_1) | instskip(SKIP_1) | instid1(VALU_DEP_1)
	v_lshl_add_u32 v1, s15, 2, v1
	s_waitcnt lgkmcnt(0)
	v_cmp_gt_u32_e32 vcc_lo, s2, v1
	s_and_saveexec_b32 s2, vcc_lo
	s_cbranch_execz .LBB394_7
; %bb.1:
	s_clause 0x1
	s_load_b32 s16, s[0:1], 0x0
	s_load_b64 s[2:3], s[0:1], 0x50
	v_mov_b32_e32 v2, 0
	v_and_b32_e32 v0, 0x3ff, v0
	s_mov_b32 s17, exec_lo
	s_delay_alu instid0(VALU_DEP_2) | instskip(SKIP_1) | instid1(VALU_DEP_2)
	v_mov_b32_e32 v7, v2
	s_waitcnt lgkmcnt(0)
	v_cmpx_gt_i32_e64 s16, v0
	s_cbranch_execz .LBB394_5
; %bb.2:
	s_clause 0x3
	s_load_b128 s[12:15], s[0:1], 0x10
	s_load_b256 s[4:11], s[0:1], 0x20
	s_load_b64 s[18:19], s[0:1], 0x40
	s_load_b64 s[0:1], s[0:1], 0x8
	s_waitcnt lgkmcnt(0)
	v_mad_u64_u32 v[3:4], null, s14, v0, 0
	v_mad_u64_u32 v[5:6], null, s4, v1, 0
	;; [unrolled: 1-line block ×4, first 2 shown]
	s_lshl_b64 s[12:13], s[12:13], 1
	s_delay_alu instid0(VALU_DEP_3) | instskip(SKIP_4) | instid1(VALU_DEP_2)
	v_mad_u64_u32 v[12:13], null, s15, v0, v[4:5]
	v_mov_b32_e32 v7, 0
	s_add_u32 s12, s0, s12
	s_addc_u32 s13, s1, s13
	s_lshl_b64 s[0:1], s[8:9], 1
	v_mov_b32_e32 v4, v12
	v_mad_u64_u32 v[13:14], null, s5, v1, v[6:7]
	v_mad_u64_u32 v[14:15], null, s11, v0, v[9:10]
	;; [unrolled: 1-line block ×3, first 2 shown]
	s_delay_alu instid0(VALU_DEP_4) | instskip(SKIP_1) | instid1(VALU_DEP_4)
	v_lshlrev_b64 v[3:4], 1, v[3:4]
	s_lshl_b64 s[4:5], s[14:15], 7
	v_mov_b32_e32 v6, v13
	s_add_u32 s0, s6, s0
	s_delay_alu instid0(VALU_DEP_4) | instskip(SKIP_1) | instid1(VALU_DEP_4)
	v_mov_b32_e32 v9, v14
	s_addc_u32 s1, s7, s1
	v_mov_b32_e32 v11, v15
	v_lshlrev_b64 v[5:6], 1, v[5:6]
	s_lshl_b64 s[6:7], s[10:11], 7
	v_lshlrev_b64 v[8:9], 1, v[8:9]
	s_delay_alu instid0(VALU_DEP_3) | instskip(NEXT) | instid1(VALU_DEP_3)
	v_lshlrev_b64 v[10:11], 1, v[10:11]
	v_add_co_u32 v3, vcc_lo, v3, v5
	s_delay_alu instid0(VALU_DEP_4) | instskip(NEXT) | instid1(VALU_DEP_3)
	v_add_co_ci_u32_e32 v4, vcc_lo, v4, v6, vcc_lo
	v_add_co_u32 v5, vcc_lo, v8, v10
	v_mov_b32_e32 v8, v0
	v_add_co_ci_u32_e32 v6, vcc_lo, v9, v11, vcc_lo
	v_add_co_u32 v3, vcc_lo, s12, v3
	v_add_co_ci_u32_e32 v4, vcc_lo, s13, v4, vcc_lo
	v_add_co_u32 v5, vcc_lo, s0, v5
	s_delay_alu instid0(VALU_DEP_4)
	v_add_co_ci_u32_e32 v6, vcc_lo, s1, v6, vcc_lo
	s_mov_b32 s1, 0
	.p2align	6
.LBB394_3:                              ; =>This Inner Loop Header: Depth=1
	global_load_u16 v9, v[3:4], off
	global_load_u16 v10, v[5:6], off
	v_add_nc_u32_e32 v8, 64, v8
	v_add_co_u32 v3, vcc_lo, v3, s4
	v_add_co_ci_u32_e32 v4, vcc_lo, s5, v4, vcc_lo
	v_add_co_u32 v5, vcc_lo, v5, s6
	s_delay_alu instid0(VALU_DEP_4) | instskip(SKIP_1) | instid1(VALU_DEP_2)
	v_cmp_le_i32_e64 s0, s16, v8
	v_add_co_ci_u32_e32 v6, vcc_lo, s7, v6, vcc_lo
	s_or_b32 s1, s0, s1
	s_waitcnt vmcnt(0)
	v_fma_mix_f32 v7, v9, v10, v7 op_sel_hi:[1,1,0]
	s_and_not1_b32 exec_lo, exec_lo, s1
	s_cbranch_execnz .LBB394_3
; %bb.4:
	s_or_b32 exec_lo, exec_lo, s1
.LBB394_5:
	s_delay_alu instid0(SALU_CYCLE_1)
	s_or_b32 exec_lo, exec_lo, s17
	v_mbcnt_lo_u32_b32 v3, -1, 0
	s_barrier
	buffer_gl0_inv
	v_lshlrev_b32_e32 v4, 2, v3
	v_cmp_gt_u32_e32 vcc_lo, 16, v3
	ds_bpermute_b32 v4, v4, v7
	v_cndmask_b32_e64 v5, 0, 1, vcc_lo
	v_cmp_gt_u32_e32 vcc_lo, 24, v3
	s_delay_alu instid0(VALU_DEP_2) | instskip(SKIP_2) | instid1(VALU_DEP_2)
	v_lshlrev_b32_e32 v5, 4, v5
	v_cndmask_b32_e64 v6, 0, 1, vcc_lo
	v_cmp_gt_u32_e32 vcc_lo, 28, v3
	v_lshlrev_b32_e32 v6, 3, v6
	s_delay_alu instid0(VALU_DEP_1)
	v_add_lshl_u32 v6, v6, v3, 2
	s_waitcnt lgkmcnt(0)
	v_add_f32_e32 v4, v7, v4
	v_add_lshl_u32 v5, v5, v3, 2
	ds_bpermute_b32 v5, v5, v4
	s_waitcnt lgkmcnt(0)
	v_add_f32_e32 v4, v4, v5
	ds_bpermute_b32 v5, v6, v4
	v_cndmask_b32_e64 v6, 0, 1, vcc_lo
	v_cmp_gt_u32_e32 vcc_lo, 30, v3
	s_delay_alu instid0(VALU_DEP_2) | instskip(NEXT) | instid1(VALU_DEP_1)
	v_lshlrev_b32_e32 v6, 2, v6
	v_add_lshl_u32 v6, v6, v3, 2
	s_waitcnt lgkmcnt(0)
	v_add_f32_e32 v4, v4, v5
	ds_bpermute_b32 v5, v6, v4
	v_cndmask_b32_e64 v6, 0, 1, vcc_lo
	v_cmp_ne_u32_e32 vcc_lo, 31, v3
	s_delay_alu instid0(VALU_DEP_2) | instskip(NEXT) | instid1(VALU_DEP_1)
	v_lshlrev_b32_e32 v6, 1, v6
	v_add_lshl_u32 v6, v6, v3, 2
	s_waitcnt lgkmcnt(0)
	v_add_f32_e32 v4, v4, v5
	ds_bpermute_b32 v5, v6, v4
	v_add_co_ci_u32_e32 v6, vcc_lo, 0, v3, vcc_lo
	v_cmp_eq_u32_e32 vcc_lo, 0, v0
	s_waitcnt lgkmcnt(0)
	s_delay_alu instid0(VALU_DEP_2)
	v_dual_add_f32 v3, v4, v5 :: v_dual_lshlrev_b32 v4, 2, v6
	ds_bpermute_b32 v4, v4, v3
	s_and_b32 exec_lo, exec_lo, vcc_lo
	s_cbranch_execz .LBB394_7
; %bb.6:
	v_lshlrev_b64 v[0:1], 1, v[1:2]
	s_waitcnt lgkmcnt(0)
	v_add_f32_e32 v2, v3, v4
	s_delay_alu instid0(VALU_DEP_1) | instskip(NEXT) | instid1(VALU_DEP_3)
	v_cvt_f16_f32_e32 v2, v2
	v_add_co_u32 v0, vcc_lo, s2, v0
	s_delay_alu instid0(VALU_DEP_4)
	v_add_co_ci_u32_e32 v1, vcc_lo, s3, v1, vcc_lo
	global_store_b16 v[0:1], v2, off
.LBB394_7:
	s_nop 0
	s_sendmsg sendmsg(MSG_DEALLOC_VGPRS)
	s_endpgm
	.section	.rodata,"a",@progbits
	.p2align	6, 0x0
	.amdhsa_kernel _ZL28rocblas_dot_batched_4_kernelIlLi64ELi4ELb0EfDF16_PKDF16_EviT5_lT_lS2_lS3_liPT4_
		.amdhsa_group_segment_fixed_size 0
		.amdhsa_private_segment_fixed_size 0
		.amdhsa_kernarg_size 88
		.amdhsa_user_sgpr_count 15
		.amdhsa_user_sgpr_dispatch_ptr 0
		.amdhsa_user_sgpr_queue_ptr 0
		.amdhsa_user_sgpr_kernarg_segment_ptr 1
		.amdhsa_user_sgpr_dispatch_id 0
		.amdhsa_user_sgpr_private_segment_size 0
		.amdhsa_wavefront_size32 1
		.amdhsa_uses_dynamic_stack 0
		.amdhsa_enable_private_segment 0
		.amdhsa_system_sgpr_workgroup_id_x 1
		.amdhsa_system_sgpr_workgroup_id_y 0
		.amdhsa_system_sgpr_workgroup_id_z 0
		.amdhsa_system_sgpr_workgroup_info 0
		.amdhsa_system_vgpr_workitem_id 1
		.amdhsa_next_free_vgpr 17
		.amdhsa_next_free_sgpr 20
		.amdhsa_reserve_vcc 1
		.amdhsa_float_round_mode_32 0
		.amdhsa_float_round_mode_16_64 0
		.amdhsa_float_denorm_mode_32 3
		.amdhsa_float_denorm_mode_16_64 3
		.amdhsa_dx10_clamp 1
		.amdhsa_ieee_mode 1
		.amdhsa_fp16_overflow 0
		.amdhsa_workgroup_processor_mode 1
		.amdhsa_memory_ordered 1
		.amdhsa_forward_progress 0
		.amdhsa_shared_vgpr_count 0
		.amdhsa_exception_fp_ieee_invalid_op 0
		.amdhsa_exception_fp_denorm_src 0
		.amdhsa_exception_fp_ieee_div_zero 0
		.amdhsa_exception_fp_ieee_overflow 0
		.amdhsa_exception_fp_ieee_underflow 0
		.amdhsa_exception_fp_ieee_inexact 0
		.amdhsa_exception_int_div_zero 0
	.end_amdhsa_kernel
	.section	.text._ZL28rocblas_dot_batched_4_kernelIlLi64ELi4ELb0EfDF16_PKDF16_EviT5_lT_lS2_lS3_liPT4_,"axG",@progbits,_ZL28rocblas_dot_batched_4_kernelIlLi64ELi4ELb0EfDF16_PKDF16_EviT5_lT_lS2_lS3_liPT4_,comdat
.Lfunc_end394:
	.size	_ZL28rocblas_dot_batched_4_kernelIlLi64ELi4ELb0EfDF16_PKDF16_EviT5_lT_lS2_lS3_liPT4_, .Lfunc_end394-_ZL28rocblas_dot_batched_4_kernelIlLi64ELi4ELb0EfDF16_PKDF16_EviT5_lT_lS2_lS3_liPT4_
                                        ; -- End function
	.section	.AMDGPU.csdata,"",@progbits
; Kernel info:
; codeLenInByte = 776
; NumSgprs: 22
; NumVgprs: 17
; ScratchSize: 0
; MemoryBound: 0
; FloatMode: 240
; IeeeMode: 1
; LDSByteSize: 0 bytes/workgroup (compile time only)
; SGPRBlocks: 2
; VGPRBlocks: 2
; NumSGPRsForWavesPerEU: 22
; NumVGPRsForWavesPerEU: 17
; Occupancy: 16
; WaveLimiterHint : 0
; COMPUTE_PGM_RSRC2:SCRATCH_EN: 0
; COMPUTE_PGM_RSRC2:USER_SGPR: 15
; COMPUTE_PGM_RSRC2:TRAP_HANDLER: 0
; COMPUTE_PGM_RSRC2:TGID_X_EN: 1
; COMPUTE_PGM_RSRC2:TGID_Y_EN: 0
; COMPUTE_PGM_RSRC2:TGID_Z_EN: 0
; COMPUTE_PGM_RSRC2:TIDIG_COMP_CNT: 1
	.section	.text._ZL18rocblas_dot_kernelIlLb1ELi1024ELi32ELb0EDF16_PKDF16_fEviT5_lT_lS2_lS3_liPT6_PT4_,"axG",@progbits,_ZL18rocblas_dot_kernelIlLb1ELi1024ELi32ELb0EDF16_PKDF16_fEviT5_lT_lS2_lS3_liPT6_PT4_,comdat
	.globl	_ZL18rocblas_dot_kernelIlLb1ELi1024ELi32ELb0EDF16_PKDF16_fEviT5_lT_lS2_lS3_liPT6_PT4_ ; -- Begin function _ZL18rocblas_dot_kernelIlLb1ELi1024ELi32ELb0EDF16_PKDF16_fEviT5_lT_lS2_lS3_liPT6_PT4_
	.p2align	8
	.type	_ZL18rocblas_dot_kernelIlLb1ELi1024ELi32ELb0EDF16_PKDF16_fEviT5_lT_lS2_lS3_liPT6_PT4_,@function
_ZL18rocblas_dot_kernelIlLb1ELi1024ELi32ELb0EDF16_PKDF16_fEviT5_lT_lS2_lS3_liPT6_PT4_: ; @_ZL18rocblas_dot_kernelIlLb1ELi1024ELi32ELb0EDF16_PKDF16_fEviT5_lT_lS2_lS3_liPT6_PT4_
; %bb.0:
	s_clause 0x1
	s_load_b32 s18, s[0:1], 0x0
	s_load_b64 s[2:3], s[0:1], 0x58
	v_mov_b32_e32 v6, 0
	s_mov_b32 s16, s15
	s_mov_b32 s17, 0
	s_mov_b32 s19, exec_lo
	s_waitcnt lgkmcnt(0)
	v_cmpx_gt_i32_e64 s18, v0
	s_cbranch_execz .LBB395_4
; %bb.1:
	s_clause 0x4
	s_load_b32 s24, s[0:1], 0x60
	s_load_b256 s[4:11], s[0:1], 0x20
	s_load_b128 s[12:15], s[0:1], 0x10
	s_load_b64 s[20:21], s[0:1], 0x40
	s_load_b64 s[22:23], s[0:1], 0x8
	s_waitcnt lgkmcnt(0)
	s_lshl_b32 s1, s24, 10
	v_mad_u64_u32 v[3:4], null, s10, v0, 0
	v_mad_u64_u32 v[1:2], null, s14, v0, 0
	v_or_b32_e32 v5, s1, v0
	s_mul_i32 s0, s5, s16
	s_mul_hi_u32 s5, s4, s16
	s_mul_i32 s4, s4, s16
	s_add_i32 s5, s5, s0
	s_lshl_b64 s[12:13], s[12:13], 1
	s_delay_alu instid0(VALU_DEP_2)
	v_mad_u64_u32 v[6:7], null, s15, v0, v[2:3]
	v_mad_u64_u32 v[7:8], null, s11, v0, v[4:5]
	s_lshl_b64 s[4:5], s[4:5], 1
	s_add_u32 s12, s22, s12
	s_addc_u32 s13, s23, s13
	s_add_u32 s22, s12, s4
	s_delay_alu instid0(VALU_DEP_2)
	v_mov_b32_e32 v2, v6
	s_addc_u32 s23, s13, s5
	s_ashr_i32 s4, s1, 31
	s_mul_hi_u32 s0, s14, s1
	s_mul_i32 s5, s14, s4
	v_mov_b32_e32 v4, v7
	s_mul_i32 s21, s21, s16
	s_mul_hi_u32 s25, s20, s16
	s_mul_i32 s26, s15, s1
	s_add_i32 s0, s0, s5
	v_lshlrev_b64 v[1:2], 1, v[1:2]
	s_mul_i32 s20, s20, s16
	s_mul_i32 s24, s14, s1
	s_add_i32 s21, s25, s21
	s_add_i32 s25, s0, s26
	s_lshl_b64 s[8:9], s[8:9], 1
	v_lshlrev_b64 v[3:4], 1, v[3:4]
	s_lshl_b64 s[12:13], s[20:21], 1
	s_mul_i32 s0, s10, s4
	s_lshl_b64 s[4:5], s[24:25], 1
	s_add_u32 s6, s6, s8
	s_addc_u32 s7, s7, s9
	v_add_co_u32 v1, vcc_lo, s22, v1
	s_add_u32 s6, s6, s12
	v_add_co_ci_u32_e32 v2, vcc_lo, s23, v2, vcc_lo
	s_mul_hi_u32 s8, s10, s1
	s_addc_u32 s7, s7, s13
	v_add_co_u32 v3, vcc_lo, s6, v3
	s_add_i32 s0, s8, s0
	s_mul_i32 s8, s11, s1
	v_add_co_ci_u32_e32 v4, vcc_lo, s7, v4, vcc_lo
	v_mov_b32_e32 v6, 0
	s_add_i32 s7, s0, s8
	s_mul_i32 s6, s10, s1
	s_mov_b32 s8, s17
	s_lshl_b64 s[6:7], s[6:7], 1
	s_mov_b32 s9, s17
	.p2align	6
.LBB395_2:                              ; =>This Inner Loop Header: Depth=1
	global_load_u16 v7, v[3:4], off
	global_load_u16 v8, v[1:2], off
	v_add_co_u32 v1, s0, v1, s4
	s_delay_alu instid0(VALU_DEP_1)
	v_add_co_ci_u32_e64 v2, s0, s5, v2, s0
	s_add_i32 s10, s9, 1
	v_cmp_le_i32_e32 vcc_lo, s18, v5
	v_add_co_u32 v3, s0, v3, s6
	s_cmp_gt_u32 s9, 30
	v_add_co_ci_u32_e64 v4, s0, s7, v4, s0
	s_cselect_b32 s0, -1, 0
	v_add_nc_u32_e32 v5, s1, v5
	s_or_b32 s0, s0, vcc_lo
	s_mov_b32 s9, s10
	s_and_b32 s0, exec_lo, s0
	s_delay_alu instid0(SALU_CYCLE_1)
	s_or_b32 s8, s0, s8
	s_waitcnt vmcnt(0)
	v_fma_mix_f32 v6, v7, v8, v6 op_sel_hi:[1,1,0]
	s_and_not1_b32 exec_lo, exec_lo, s8
	s_cbranch_execnz .LBB395_2
; %bb.3:
	s_or_b32 exec_lo, exec_lo, s8
.LBB395_4:
	s_delay_alu instid0(SALU_CYCLE_1) | instskip(SKIP_2) | instid1(VALU_DEP_2)
	s_or_b32 exec_lo, exec_lo, s19
	v_and_b32_e32 v7, 31, v0
	v_cmp_gt_u32_e32 vcc_lo, 32, v0
	v_lshlrev_b32_e32 v1, 2, v7
	s_and_saveexec_b32 s0, vcc_lo
	s_cbranch_execz .LBB395_6
; %bb.5:
	v_mov_b32_e32 v2, 0
	ds_store_b32 v1, v2
.LBB395_6:
	s_or_b32 exec_lo, exec_lo, s0
	v_mbcnt_lo_u32_b32 v8, -1, 0
	s_mov_b32 s1, exec_lo
	s_waitcnt lgkmcnt(0)
	s_barrier
	buffer_gl0_inv
	v_cmp_gt_u32_e64 s0, 16, v8
	s_delay_alu instid0(VALU_DEP_1) | instskip(SKIP_1) | instid1(VALU_DEP_2)
	v_cndmask_b32_e64 v2, 0, 1, s0
	v_cmp_gt_u32_e64 s0, 24, v8
	v_lshlrev_b32_e32 v2, 4, v2
	s_delay_alu instid0(VALU_DEP_2) | instskip(SKIP_1) | instid1(VALU_DEP_3)
	v_cndmask_b32_e64 v3, 0, 1, s0
	v_cmp_gt_u32_e64 s0, 28, v8
	v_add_lshl_u32 v2, v2, v8, 2
	ds_bpermute_b32 v4, v2, v6
	s_waitcnt lgkmcnt(0)
	v_add_f32_e32 v5, v6, v4
	v_lshlrev_b32_e32 v3, 3, v3
	v_cndmask_b32_e64 v4, 0, 1, s0
	v_cmp_gt_u32_e64 s0, 30, v8
	s_delay_alu instid0(VALU_DEP_3) | instskip(NEXT) | instid1(VALU_DEP_3)
	v_add_lshl_u32 v3, v3, v8, 2
	v_lshlrev_b32_e32 v4, 2, v4
	ds_bpermute_b32 v6, v3, v5
	v_add_lshl_u32 v4, v4, v8, 2
	s_waitcnt lgkmcnt(0)
	v_add_f32_e32 v6, v5, v6
	v_cndmask_b32_e64 v5, 0, 1, s0
	v_cmp_ne_u32_e64 s0, 31, v8
	ds_bpermute_b32 v9, v4, v6
	v_lshlrev_b32_e32 v5, 1, v5
	v_add_co_ci_u32_e64 v10, s0, 0, v8, s0
	s_delay_alu instid0(VALU_DEP_2)
	v_add_lshl_u32 v5, v5, v8, 2
	s_waitcnt lgkmcnt(0)
	v_add_f32_e32 v6, v6, v9
	ds_bpermute_b32 v9, v5, v6
	s_waitcnt lgkmcnt(0)
	v_add_f32_e32 v8, v6, v9
	v_lshlrev_b32_e32 v6, 2, v10
	ds_bpermute_b32 v9, v6, v8
	v_cmpx_eq_u32_e32 0, v7
	s_cbranch_execz .LBB395_8
; %bb.7:
	v_lshrrev_b32_e32 v7, 3, v0
	s_waitcnt lgkmcnt(0)
	s_delay_alu instid0(VALU_DEP_1)
	v_dual_add_f32 v8, v8, v9 :: v_dual_and_b32 v7, 0x7c, v7
	ds_store_b32 v7, v8
.LBB395_8:
	s_or_b32 exec_lo, exec_lo, s1
	v_mov_b32_e32 v7, 0
	s_waitcnt lgkmcnt(0)
	s_barrier
	buffer_gl0_inv
	s_and_saveexec_b32 s0, vcc_lo
	s_cbranch_execz .LBB395_10
; %bb.9:
	ds_load_b32 v7, v1
.LBB395_10:
	s_or_b32 exec_lo, exec_lo, s0
	s_and_saveexec_b32 s0, vcc_lo
	s_cbranch_execz .LBB395_12
; %bb.11:
	s_waitcnt lgkmcnt(0)
	ds_bpermute_b32 v1, v2, v7
	s_waitcnt lgkmcnt(0)
	v_add_f32_e32 v1, v7, v1
	ds_bpermute_b32 v2, v3, v1
	s_waitcnt lgkmcnt(0)
	v_add_f32_e32 v1, v1, v2
	;; [unrolled: 3-line block ×5, first 2 shown]
.LBB395_12:
	s_or_b32 exec_lo, exec_lo, s0
	s_delay_alu instid0(SALU_CYCLE_1)
	s_mov_b32 s0, exec_lo
	v_cmpx_eq_u32_e32 0, v0
	s_cbranch_execz .LBB395_14
; %bb.13:
	s_waitcnt lgkmcnt(0)
	v_cvt_f16_f32_e32 v0, v7
	s_lshl_b64 s[0:1], s[16:17], 1
	v_mov_b32_e32 v1, 0
	s_add_u32 s0, s2, s0
	s_addc_u32 s1, s3, s1
	global_store_b16 v1, v0, s[0:1]
.LBB395_14:
	s_nop 0
	s_sendmsg sendmsg(MSG_DEALLOC_VGPRS)
	s_endpgm
	.section	.rodata,"a",@progbits
	.p2align	6, 0x0
	.amdhsa_kernel _ZL18rocblas_dot_kernelIlLb1ELi1024ELi32ELb0EDF16_PKDF16_fEviT5_lT_lS2_lS3_liPT6_PT4_
		.amdhsa_group_segment_fixed_size 128
		.amdhsa_private_segment_fixed_size 0
		.amdhsa_kernarg_size 352
		.amdhsa_user_sgpr_count 14
		.amdhsa_user_sgpr_dispatch_ptr 0
		.amdhsa_user_sgpr_queue_ptr 0
		.amdhsa_user_sgpr_kernarg_segment_ptr 1
		.amdhsa_user_sgpr_dispatch_id 0
		.amdhsa_user_sgpr_private_segment_size 0
		.amdhsa_wavefront_size32 1
		.amdhsa_uses_dynamic_stack 0
		.amdhsa_enable_private_segment 0
		.amdhsa_system_sgpr_workgroup_id_x 1
		.amdhsa_system_sgpr_workgroup_id_y 0
		.amdhsa_system_sgpr_workgroup_id_z 1
		.amdhsa_system_sgpr_workgroup_info 0
		.amdhsa_system_vgpr_workitem_id 0
		.amdhsa_next_free_vgpr 11
		.amdhsa_next_free_sgpr 27
		.amdhsa_reserve_vcc 1
		.amdhsa_float_round_mode_32 0
		.amdhsa_float_round_mode_16_64 0
		.amdhsa_float_denorm_mode_32 3
		.amdhsa_float_denorm_mode_16_64 3
		.amdhsa_dx10_clamp 1
		.amdhsa_ieee_mode 1
		.amdhsa_fp16_overflow 0
		.amdhsa_workgroup_processor_mode 1
		.amdhsa_memory_ordered 1
		.amdhsa_forward_progress 0
		.amdhsa_shared_vgpr_count 0
		.amdhsa_exception_fp_ieee_invalid_op 0
		.amdhsa_exception_fp_denorm_src 0
		.amdhsa_exception_fp_ieee_div_zero 0
		.amdhsa_exception_fp_ieee_overflow 0
		.amdhsa_exception_fp_ieee_underflow 0
		.amdhsa_exception_fp_ieee_inexact 0
		.amdhsa_exception_int_div_zero 0
	.end_amdhsa_kernel
	.section	.text._ZL18rocblas_dot_kernelIlLb1ELi1024ELi32ELb0EDF16_PKDF16_fEviT5_lT_lS2_lS3_liPT6_PT4_,"axG",@progbits,_ZL18rocblas_dot_kernelIlLb1ELi1024ELi32ELb0EDF16_PKDF16_fEviT5_lT_lS2_lS3_liPT6_PT4_,comdat
.Lfunc_end395:
	.size	_ZL18rocblas_dot_kernelIlLb1ELi1024ELi32ELb0EDF16_PKDF16_fEviT5_lT_lS2_lS3_liPT6_PT4_, .Lfunc_end395-_ZL18rocblas_dot_kernelIlLb1ELi1024ELi32ELb0EDF16_PKDF16_fEviT5_lT_lS2_lS3_liPT6_PT4_
                                        ; -- End function
	.section	.AMDGPU.csdata,"",@progbits
; Kernel info:
; codeLenInByte = 996
; NumSgprs: 29
; NumVgprs: 11
; ScratchSize: 0
; MemoryBound: 0
; FloatMode: 240
; IeeeMode: 1
; LDSByteSize: 128 bytes/workgroup (compile time only)
; SGPRBlocks: 3
; VGPRBlocks: 1
; NumSGPRsForWavesPerEU: 29
; NumVGPRsForWavesPerEU: 11
; Occupancy: 16
; WaveLimiterHint : 0
; COMPUTE_PGM_RSRC2:SCRATCH_EN: 0
; COMPUTE_PGM_RSRC2:USER_SGPR: 14
; COMPUTE_PGM_RSRC2:TRAP_HANDLER: 0
; COMPUTE_PGM_RSRC2:TGID_X_EN: 1
; COMPUTE_PGM_RSRC2:TGID_Y_EN: 0
; COMPUTE_PGM_RSRC2:TGID_Z_EN: 1
; COMPUTE_PGM_RSRC2:TIDIG_COMP_CNT: 0
	.section	.text._ZL24rocblas_dot_kernel_magsqIlLb1ELi1024ELi32ELb0EDF16_PKDF16_fEviT5_lT_liPT6_PT4_,"axG",@progbits,_ZL24rocblas_dot_kernel_magsqIlLb1ELi1024ELi32ELb0EDF16_PKDF16_fEviT5_lT_liPT6_PT4_,comdat
	.globl	_ZL24rocblas_dot_kernel_magsqIlLb1ELi1024ELi32ELb0EDF16_PKDF16_fEviT5_lT_liPT6_PT4_ ; -- Begin function _ZL24rocblas_dot_kernel_magsqIlLb1ELi1024ELi32ELb0EDF16_PKDF16_fEviT5_lT_liPT6_PT4_
	.p2align	8
	.type	_ZL24rocblas_dot_kernel_magsqIlLb1ELi1024ELi32ELb0EDF16_PKDF16_fEviT5_lT_liPT6_PT4_,@function
_ZL24rocblas_dot_kernel_magsqIlLb1ELi1024ELi32ELb0EDF16_PKDF16_fEviT5_lT_liPT6_PT4_: ; @_ZL24rocblas_dot_kernel_magsqIlLb1ELi1024ELi32ELb0EDF16_PKDF16_fEviT5_lT_liPT6_PT4_
; %bb.0:
	s_clause 0x1
	s_load_b32 s8, s[0:1], 0x0
	s_load_b64 s[2:3], s[0:1], 0x38
	v_mov_b32_e32 v3, 0
	s_mov_b32 s4, s15
	s_mov_b32 s5, 0
	s_mov_b32 s9, exec_lo
	s_waitcnt lgkmcnt(0)
	v_cmpx_gt_i32_e64 s8, v0
	s_cbranch_execz .LBB396_4
; %bb.1:
	s_clause 0x3
	s_load_b128 s[12:15], s[0:1], 0x10
	s_load_b32 s16, s[0:1], 0x40
	s_load_b64 s[6:7], s[0:1], 0x20
	s_load_b64 s[10:11], s[0:1], 0x8
	s_waitcnt lgkmcnt(0)
	v_mad_u64_u32 v[1:2], null, s14, v0, 0
	s_mul_i32 s0, s7, s4
	s_mul_hi_u32 s7, s6, s4
	s_mul_i32 s6, s6, s4
	s_add_i32 s7, s7, s0
	s_lshl_b64 s[12:13], s[12:13], 1
	s_lshl_b32 s1, s16, 10
	s_delay_alu instid0(VALU_DEP_1)
	v_mad_u64_u32 v[3:4], null, s15, v0, v[2:3]
	s_lshl_b64 s[6:7], s[6:7], 1
	s_add_u32 s0, s10, s12
	s_addc_u32 s10, s11, s13
	s_add_u32 s0, s0, s6
	s_addc_u32 s10, s10, s7
	s_ashr_i32 s6, s1, 31
	s_delay_alu instid0(VALU_DEP_1) | instskip(SKIP_3) | instid1(VALU_DEP_1)
	v_dual_mov_b32 v2, v3 :: v_dual_mov_b32 v3, 0
	s_mul_hi_u32 s7, s14, s1
	s_mul_i32 s6, s14, s6
	s_mul_i32 s11, s15, s1
	v_lshlrev_b64 v[1:2], 1, v[1:2]
	s_add_i32 s7, s7, s6
	v_or_b32_e32 v4, s1, v0
	s_mul_i32 s6, s14, s1
	s_add_i32 s7, s7, s11
	s_mov_b32 s11, s5
	v_add_co_u32 v1, vcc_lo, s0, v1
	v_add_co_ci_u32_e32 v2, vcc_lo, s10, v2, vcc_lo
	s_lshl_b64 s[6:7], s[6:7], 1
	s_mov_b32 s10, s5
	.p2align	6
.LBB396_2:                              ; =>This Inner Loop Header: Depth=1
	global_load_u16 v5, v[1:2], off
	s_add_i32 s12, s11, 1
	v_cmp_le_i32_e32 vcc_lo, s8, v4
	v_add_co_u32 v1, s0, v1, s6
	s_cmp_gt_u32 s11, 30
	v_add_co_ci_u32_e64 v2, s0, s7, v2, s0
	s_cselect_b32 s0, -1, 0
	v_add_nc_u32_e32 v4, s1, v4
	s_or_b32 s0, s0, vcc_lo
	s_mov_b32 s11, s12
	s_and_b32 s0, exec_lo, s0
	s_delay_alu instid0(SALU_CYCLE_1)
	s_or_b32 s10, s0, s10
	s_waitcnt vmcnt(0)
	v_fma_mix_f32 v3, v5, v5, v3 op_sel_hi:[1,1,0]
	s_and_not1_b32 exec_lo, exec_lo, s10
	s_cbranch_execnz .LBB396_2
; %bb.3:
	s_or_b32 exec_lo, exec_lo, s10
.LBB396_4:
	s_delay_alu instid0(SALU_CYCLE_1) | instskip(SKIP_2) | instid1(VALU_DEP_2)
	s_or_b32 exec_lo, exec_lo, s9
	v_and_b32_e32 v7, 31, v0
	v_cmp_gt_u32_e32 vcc_lo, 32, v0
	v_lshlrev_b32_e32 v1, 2, v7
	s_and_saveexec_b32 s0, vcc_lo
	s_cbranch_execz .LBB396_6
; %bb.5:
	v_mov_b32_e32 v2, 0
	ds_store_b32 v1, v2
.LBB396_6:
	s_or_b32 exec_lo, exec_lo, s0
	v_mbcnt_lo_u32_b32 v6, -1, 0
	s_mov_b32 s1, exec_lo
	s_waitcnt lgkmcnt(0)
	s_barrier
	buffer_gl0_inv
	v_cmp_gt_u32_e64 s0, 16, v6
	s_delay_alu instid0(VALU_DEP_1) | instskip(SKIP_1) | instid1(VALU_DEP_2)
	v_cndmask_b32_e64 v2, 0, 1, s0
	v_cmp_gt_u32_e64 s0, 24, v6
	v_lshlrev_b32_e32 v2, 4, v2
	s_delay_alu instid0(VALU_DEP_2) | instskip(SKIP_1) | instid1(VALU_DEP_3)
	v_cndmask_b32_e64 v4, 0, 1, s0
	v_cmp_gt_u32_e64 s0, 28, v6
	v_add_lshl_u32 v2, v2, v6, 2
	s_delay_alu instid0(VALU_DEP_3)
	v_lshlrev_b32_e32 v4, 3, v4
	ds_bpermute_b32 v5, v2, v3
	v_add_lshl_u32 v4, v4, v6, 2
	s_waitcnt lgkmcnt(0)
	v_add_f32_e32 v5, v3, v5
	v_cndmask_b32_e64 v3, 0, 1, s0
	v_cmp_gt_u32_e64 s0, 30, v6
	ds_bpermute_b32 v8, v4, v5
	s_waitcnt lgkmcnt(0)
	v_dual_add_f32 v8, v5, v8 :: v_dual_lshlrev_b32 v3, 2, v3
	s_delay_alu instid0(VALU_DEP_1) | instskip(SKIP_4) | instid1(VALU_DEP_1)
	v_add_lshl_u32 v3, v3, v6, 2
	v_cndmask_b32_e64 v5, 0, 1, s0
	v_cmp_ne_u32_e64 s0, 31, v6
	ds_bpermute_b32 v9, v3, v8
	v_lshlrev_b32_e32 v5, 1, v5
	v_add_lshl_u32 v5, v5, v6, 2
	v_add_co_ci_u32_e64 v6, s0, 0, v6, s0
	s_delay_alu instid0(VALU_DEP_1)
	v_lshlrev_b32_e32 v6, 2, v6
	s_waitcnt lgkmcnt(0)
	v_add_f32_e32 v8, v8, v9
	ds_bpermute_b32 v9, v5, v8
	s_waitcnt lgkmcnt(0)
	v_add_f32_e32 v8, v8, v9
	ds_bpermute_b32 v9, v6, v8
	v_cmpx_eq_u32_e32 0, v7
	s_cbranch_execz .LBB396_8
; %bb.7:
	v_lshrrev_b32_e32 v7, 3, v0
	s_waitcnt lgkmcnt(0)
	s_delay_alu instid0(VALU_DEP_1)
	v_dual_add_f32 v8, v8, v9 :: v_dual_and_b32 v7, 0x7c, v7
	ds_store_b32 v7, v8
.LBB396_8:
	s_or_b32 exec_lo, exec_lo, s1
	v_mov_b32_e32 v7, 0
	s_waitcnt lgkmcnt(0)
	s_barrier
	buffer_gl0_inv
	s_and_saveexec_b32 s0, vcc_lo
	s_cbranch_execz .LBB396_10
; %bb.9:
	ds_load_b32 v7, v1
.LBB396_10:
	s_or_b32 exec_lo, exec_lo, s0
	s_and_saveexec_b32 s0, vcc_lo
	s_cbranch_execz .LBB396_12
; %bb.11:
	s_waitcnt lgkmcnt(0)
	ds_bpermute_b32 v1, v2, v7
	s_waitcnt lgkmcnt(0)
	v_add_f32_e32 v1, v7, v1
	ds_bpermute_b32 v2, v4, v1
	s_waitcnt lgkmcnt(0)
	v_add_f32_e32 v1, v1, v2
	;; [unrolled: 3-line block ×5, first 2 shown]
.LBB396_12:
	s_or_b32 exec_lo, exec_lo, s0
	s_delay_alu instid0(SALU_CYCLE_1)
	s_mov_b32 s0, exec_lo
	v_cmpx_eq_u32_e32 0, v0
	s_cbranch_execz .LBB396_14
; %bb.13:
	s_waitcnt lgkmcnt(0)
	v_cvt_f16_f32_e32 v0, v7
	s_lshl_b64 s[0:1], s[4:5], 1
	v_mov_b32_e32 v1, 0
	s_add_u32 s0, s2, s0
	s_addc_u32 s1, s3, s1
	global_store_b16 v1, v0, s[0:1]
.LBB396_14:
	s_nop 0
	s_sendmsg sendmsg(MSG_DEALLOC_VGPRS)
	s_endpgm
	.section	.rodata,"a",@progbits
	.p2align	6, 0x0
	.amdhsa_kernel _ZL24rocblas_dot_kernel_magsqIlLb1ELi1024ELi32ELb0EDF16_PKDF16_fEviT5_lT_liPT6_PT4_
		.amdhsa_group_segment_fixed_size 128
		.amdhsa_private_segment_fixed_size 0
		.amdhsa_kernarg_size 320
		.amdhsa_user_sgpr_count 14
		.amdhsa_user_sgpr_dispatch_ptr 0
		.amdhsa_user_sgpr_queue_ptr 0
		.amdhsa_user_sgpr_kernarg_segment_ptr 1
		.amdhsa_user_sgpr_dispatch_id 0
		.amdhsa_user_sgpr_private_segment_size 0
		.amdhsa_wavefront_size32 1
		.amdhsa_uses_dynamic_stack 0
		.amdhsa_enable_private_segment 0
		.amdhsa_system_sgpr_workgroup_id_x 1
		.amdhsa_system_sgpr_workgroup_id_y 0
		.amdhsa_system_sgpr_workgroup_id_z 1
		.amdhsa_system_sgpr_workgroup_info 0
		.amdhsa_system_vgpr_workitem_id 0
		.amdhsa_next_free_vgpr 10
		.amdhsa_next_free_sgpr 17
		.amdhsa_reserve_vcc 1
		.amdhsa_float_round_mode_32 0
		.amdhsa_float_round_mode_16_64 0
		.amdhsa_float_denorm_mode_32 3
		.amdhsa_float_denorm_mode_16_64 3
		.amdhsa_dx10_clamp 1
		.amdhsa_ieee_mode 1
		.amdhsa_fp16_overflow 0
		.amdhsa_workgroup_processor_mode 1
		.amdhsa_memory_ordered 1
		.amdhsa_forward_progress 0
		.amdhsa_shared_vgpr_count 0
		.amdhsa_exception_fp_ieee_invalid_op 0
		.amdhsa_exception_fp_denorm_src 0
		.amdhsa_exception_fp_ieee_div_zero 0
		.amdhsa_exception_fp_ieee_overflow 0
		.amdhsa_exception_fp_ieee_underflow 0
		.amdhsa_exception_fp_ieee_inexact 0
		.amdhsa_exception_int_div_zero 0
	.end_amdhsa_kernel
	.section	.text._ZL24rocblas_dot_kernel_magsqIlLb1ELi1024ELi32ELb0EDF16_PKDF16_fEviT5_lT_liPT6_PT4_,"axG",@progbits,_ZL24rocblas_dot_kernel_magsqIlLb1ELi1024ELi32ELb0EDF16_PKDF16_fEviT5_lT_liPT6_PT4_,comdat
.Lfunc_end396:
	.size	_ZL24rocblas_dot_kernel_magsqIlLb1ELi1024ELi32ELb0EDF16_PKDF16_fEviT5_lT_liPT6_PT4_, .Lfunc_end396-_ZL24rocblas_dot_kernel_magsqIlLb1ELi1024ELi32ELb0EDF16_PKDF16_fEviT5_lT_liPT6_PT4_
                                        ; -- End function
	.section	.AMDGPU.csdata,"",@progbits
; Kernel info:
; codeLenInByte = 856
; NumSgprs: 19
; NumVgprs: 10
; ScratchSize: 0
; MemoryBound: 0
; FloatMode: 240
; IeeeMode: 1
; LDSByteSize: 128 bytes/workgroup (compile time only)
; SGPRBlocks: 2
; VGPRBlocks: 1
; NumSGPRsForWavesPerEU: 19
; NumVGPRsForWavesPerEU: 10
; Occupancy: 16
; WaveLimiterHint : 0
; COMPUTE_PGM_RSRC2:SCRATCH_EN: 0
; COMPUTE_PGM_RSRC2:USER_SGPR: 14
; COMPUTE_PGM_RSRC2:TRAP_HANDLER: 0
; COMPUTE_PGM_RSRC2:TGID_X_EN: 1
; COMPUTE_PGM_RSRC2:TGID_Y_EN: 0
; COMPUTE_PGM_RSRC2:TGID_Z_EN: 1
; COMPUTE_PGM_RSRC2:TIDIG_COMP_CNT: 0
	.section	.text._ZL38rocblas_dot_kernel_gfx942_float_doubleIlLi1024EDF16_PKDF16_fEviT2_lT_lS2_lS3_lPT3_PT1_,"axG",@progbits,_ZL38rocblas_dot_kernel_gfx942_float_doubleIlLi1024EDF16_PKDF16_fEviT2_lT_lS2_lS3_lPT3_PT1_,comdat
	.globl	_ZL38rocblas_dot_kernel_gfx942_float_doubleIlLi1024EDF16_PKDF16_fEviT2_lT_lS2_lS3_lPT3_PT1_ ; -- Begin function _ZL38rocblas_dot_kernel_gfx942_float_doubleIlLi1024EDF16_PKDF16_fEviT2_lT_lS2_lS3_lPT3_PT1_
	.p2align	8
	.type	_ZL38rocblas_dot_kernel_gfx942_float_doubleIlLi1024EDF16_PKDF16_fEviT2_lT_lS2_lS3_lPT3_PT1_,@function
_ZL38rocblas_dot_kernel_gfx942_float_doubleIlLi1024EDF16_PKDF16_fEviT2_lT_lS2_lS3_lPT3_PT1_: ; @_ZL38rocblas_dot_kernel_gfx942_float_doubleIlLi1024EDF16_PKDF16_fEviT2_lT_lS2_lS3_lPT3_PT1_
; %bb.0:
	s_endpgm
	.section	.rodata,"a",@progbits
	.p2align	6, 0x0
	.amdhsa_kernel _ZL38rocblas_dot_kernel_gfx942_float_doubleIlLi1024EDF16_PKDF16_fEviT2_lT_lS2_lS3_lPT3_PT1_
		.amdhsa_group_segment_fixed_size 0
		.amdhsa_private_segment_fixed_size 0
		.amdhsa_kernarg_size 88
		.amdhsa_user_sgpr_count 15
		.amdhsa_user_sgpr_dispatch_ptr 0
		.amdhsa_user_sgpr_queue_ptr 0
		.amdhsa_user_sgpr_kernarg_segment_ptr 1
		.amdhsa_user_sgpr_dispatch_id 0
		.amdhsa_user_sgpr_private_segment_size 0
		.amdhsa_wavefront_size32 1
		.amdhsa_uses_dynamic_stack 0
		.amdhsa_enable_private_segment 0
		.amdhsa_system_sgpr_workgroup_id_x 1
		.amdhsa_system_sgpr_workgroup_id_y 0
		.amdhsa_system_sgpr_workgroup_id_z 0
		.amdhsa_system_sgpr_workgroup_info 0
		.amdhsa_system_vgpr_workitem_id 0
		.amdhsa_next_free_vgpr 1
		.amdhsa_next_free_sgpr 1
		.amdhsa_reserve_vcc 0
		.amdhsa_float_round_mode_32 0
		.amdhsa_float_round_mode_16_64 0
		.amdhsa_float_denorm_mode_32 3
		.amdhsa_float_denorm_mode_16_64 3
		.amdhsa_dx10_clamp 1
		.amdhsa_ieee_mode 1
		.amdhsa_fp16_overflow 0
		.amdhsa_workgroup_processor_mode 1
		.amdhsa_memory_ordered 1
		.amdhsa_forward_progress 0
		.amdhsa_shared_vgpr_count 0
		.amdhsa_exception_fp_ieee_invalid_op 0
		.amdhsa_exception_fp_denorm_src 0
		.amdhsa_exception_fp_ieee_div_zero 0
		.amdhsa_exception_fp_ieee_overflow 0
		.amdhsa_exception_fp_ieee_underflow 0
		.amdhsa_exception_fp_ieee_inexact 0
		.amdhsa_exception_int_div_zero 0
	.end_amdhsa_kernel
	.section	.text._ZL38rocblas_dot_kernel_gfx942_float_doubleIlLi1024EDF16_PKDF16_fEviT2_lT_lS2_lS3_lPT3_PT1_,"axG",@progbits,_ZL38rocblas_dot_kernel_gfx942_float_doubleIlLi1024EDF16_PKDF16_fEviT2_lT_lS2_lS3_lPT3_PT1_,comdat
.Lfunc_end397:
	.size	_ZL38rocblas_dot_kernel_gfx942_float_doubleIlLi1024EDF16_PKDF16_fEviT2_lT_lS2_lS3_lPT3_PT1_, .Lfunc_end397-_ZL38rocblas_dot_kernel_gfx942_float_doubleIlLi1024EDF16_PKDF16_fEviT2_lT_lS2_lS3_lPT3_PT1_
                                        ; -- End function
	.section	.AMDGPU.csdata,"",@progbits
; Kernel info:
; codeLenInByte = 4
; NumSgprs: 0
; NumVgprs: 0
; ScratchSize: 0
; MemoryBound: 0
; FloatMode: 240
; IeeeMode: 1
; LDSByteSize: 0 bytes/workgroup (compile time only)
; SGPRBlocks: 0
; VGPRBlocks: 0
; NumSGPRsForWavesPerEU: 1
; NumVGPRsForWavesPerEU: 1
; Occupancy: 16
; WaveLimiterHint : 0
; COMPUTE_PGM_RSRC2:SCRATCH_EN: 0
; COMPUTE_PGM_RSRC2:USER_SGPR: 15
; COMPUTE_PGM_RSRC2:TRAP_HANDLER: 0
; COMPUTE_PGM_RSRC2:TGID_X_EN: 1
; COMPUTE_PGM_RSRC2:TGID_Y_EN: 0
; COMPUTE_PGM_RSRC2:TGID_Z_EN: 0
; COMPUTE_PGM_RSRC2:TIDIG_COMP_CNT: 0
	.section	.text._ZL18rocblas_dot_kernelIlLb0ELi512ELi8ELb0EDF16_PKDF16_fEviT5_lT_lS2_lS3_liPT6_PT4_,"axG",@progbits,_ZL18rocblas_dot_kernelIlLb0ELi512ELi8ELb0EDF16_PKDF16_fEviT5_lT_lS2_lS3_liPT6_PT4_,comdat
	.globl	_ZL18rocblas_dot_kernelIlLb0ELi512ELi8ELb0EDF16_PKDF16_fEviT5_lT_lS2_lS3_liPT6_PT4_ ; -- Begin function _ZL18rocblas_dot_kernelIlLb0ELi512ELi8ELb0EDF16_PKDF16_fEviT5_lT_lS2_lS3_liPT6_PT4_
	.p2align	8
	.type	_ZL18rocblas_dot_kernelIlLb0ELi512ELi8ELb0EDF16_PKDF16_fEviT5_lT_lS2_lS3_liPT6_PT4_,@function
_ZL18rocblas_dot_kernelIlLb0ELi512ELi8ELb0EDF16_PKDF16_fEviT5_lT_lS2_lS3_liPT6_PT4_: ; @_ZL18rocblas_dot_kernelIlLb0ELi512ELi8ELb0EDF16_PKDF16_fEviT5_lT_lS2_lS3_liPT6_PT4_
; %bb.0:
	s_clause 0x2
	s_load_b32 s12, s[0:1], 0x60
	s_load_b32 s13, s[0:1], 0x0
	s_load_b128 s[16:19], s[0:1], 0x50
	v_lshl_or_b32 v1, s14, 9, v0
	v_mov_b32_e32 v6, 0
	s_mov_b32 s2, s15
	s_mov_b32 s3, 0
	s_mov_b32 s15, exec_lo
	s_waitcnt lgkmcnt(0)
	v_cmpx_gt_i32_e64 s13, v1
	s_cbranch_execz .LBB398_4
; %bb.1:
	s_clause 0x2
	s_load_b128 s[20:23], s[0:1], 0x10
	s_load_b256 s[4:11], s[0:1], 0x20
	s_load_b64 s[26:27], s[0:1], 0x8
	v_ashrrev_i32_e32 v4, 31, v1
	s_load_b64 s[0:1], s[0:1], 0x40
	s_lshl_b32 s24, s12, 9
	s_delay_alu instid0(SALU_CYCLE_1)
	v_add_nc_u32_e32 v5, s24, v1
	s_waitcnt lgkmcnt(0)
	v_mul_lo_u32 v8, s23, v1
	v_mul_lo_u32 v9, s22, v4
	v_mad_u64_u32 v[2:3], null, s22, v1, 0
	s_mul_i32 s5, s5, s2
	s_mul_hi_u32 s25, s4, s2
	s_mul_i32 s4, s4, s2
	v_mul_lo_u32 v10, s11, v1
	v_mul_lo_u32 v4, s10, v4
	s_add_i32 s5, s25, s5
	s_delay_alu instid0(VALU_DEP_3)
	v_add3_u32 v3, v3, v9, v8
	v_mad_u64_u32 v[6:7], null, s10, v1, 0
	s_lshl_b64 s[20:21], s[20:21], 1
	s_lshl_b64 s[4:5], s[4:5], 1
	s_add_u32 s20, s26, s20
	s_addc_u32 s21, s27, s21
	v_lshlrev_b64 v[1:2], 1, v[2:3]
	s_add_u32 s20, s20, s4
	s_addc_u32 s21, s21, s5
	s_ashr_i32 s25, s24, 31
	s_mul_hi_u32 s4, s22, s24
	s_mul_i32 s5, s22, s25
	v_add3_u32 v7, v7, v4, v10
	s_mul_i32 s23, s23, s24
	s_add_i32 s5, s4, s5
	v_add_co_u32 v1, vcc_lo, s20, v1
	s_mul_i32 s1, s1, s2
	s_mul_hi_u32 s20, s0, s2
	s_mul_i32 s4, s22, s24
	s_add_i32 s5, s5, s23
	s_add_i32 s1, s20, s1
	s_mul_i32 s0, s0, s2
	v_lshlrev_b64 v[3:4], 1, v[6:7]
	v_mov_b32_e32 v6, 0
	s_lshl_b64 s[8:9], s[8:9], 1
	s_lshl_b64 s[4:5], s[4:5], 1
	;; [unrolled: 1-line block ×3, first 2 shown]
	s_add_u32 s6, s6, s8
	s_addc_u32 s7, s7, s9
	s_add_u32 s0, s6, s0
	v_add_co_ci_u32_e32 v2, vcc_lo, s21, v2, vcc_lo
	s_mul_i32 s6, s10, s25
	s_mul_hi_u32 s8, s10, s24
	s_addc_u32 s1, s7, s1
	v_add_co_u32 v3, vcc_lo, s0, v3
	s_add_i32 s6, s8, s6
	s_mul_i32 s7, s11, s24
	v_add_co_ci_u32_e32 v4, vcc_lo, s1, v4, vcc_lo
	s_add_i32 s1, s6, s7
	s_mul_i32 s0, s10, s24
	s_mov_b32 s8, s3
	s_lshl_b64 s[6:7], s[0:1], 1
	s_mov_b32 s1, s3
	.p2align	6
.LBB398_2:                              ; =>This Inner Loop Header: Depth=1
	global_load_u16 v7, v[3:4], off
	global_load_u16 v8, v[1:2], off
	v_add_co_u32 v1, s0, v1, s4
	s_delay_alu instid0(VALU_DEP_1)
	v_add_co_ci_u32_e64 v2, s0, s5, v2, s0
	s_add_i32 s9, s8, 1
	v_cmp_le_i32_e32 vcc_lo, s13, v5
	v_add_co_u32 v3, s0, v3, s6
	s_cmp_gt_u32 s8, 6
	v_add_co_ci_u32_e64 v4, s0, s7, v4, s0
	s_cselect_b32 s0, -1, 0
	v_add_nc_u32_e32 v5, s24, v5
	s_or_b32 s0, s0, vcc_lo
	s_mov_b32 s8, s9
	s_and_b32 s0, exec_lo, s0
	s_delay_alu instid0(SALU_CYCLE_1)
	s_or_b32 s1, s0, s1
	s_waitcnt vmcnt(0)
	v_fma_mix_f32 v6, v7, v8, v6 op_sel_hi:[1,1,0]
	s_and_not1_b32 exec_lo, exec_lo, s1
	s_cbranch_execnz .LBB398_2
; %bb.3:
	s_or_b32 exec_lo, exec_lo, s1
.LBB398_4:
	s_delay_alu instid0(SALU_CYCLE_1) | instskip(SKIP_2) | instid1(VALU_DEP_2)
	s_or_b32 exec_lo, exec_lo, s15
	v_and_b32_e32 v2, 31, v0
	v_cmp_gt_u32_e32 vcc_lo, 32, v0
	v_lshlrev_b32_e32 v1, 2, v2
	s_and_saveexec_b32 s0, vcc_lo
	s_cbranch_execz .LBB398_6
; %bb.5:
	v_mov_b32_e32 v3, 0
	ds_store_b32 v1, v3
.LBB398_6:
	s_or_b32 exec_lo, exec_lo, s0
	v_mbcnt_lo_u32_b32 v7, -1, 0
	s_mov_b32 s1, exec_lo
	s_waitcnt lgkmcnt(0)
	s_barrier
	buffer_gl0_inv
	v_cmp_gt_u32_e64 s0, 16, v7
	s_delay_alu instid0(VALU_DEP_1) | instskip(SKIP_1) | instid1(VALU_DEP_2)
	v_cndmask_b32_e64 v3, 0, 1, s0
	v_cmp_gt_u32_e64 s0, 24, v7
	v_lshlrev_b32_e32 v3, 4, v3
	s_delay_alu instid0(VALU_DEP_1) | instskip(SKIP_3) | instid1(VALU_DEP_2)
	v_add_lshl_u32 v3, v3, v7, 2
	ds_bpermute_b32 v4, v3, v6
	v_cndmask_b32_e64 v3, 0, 1, s0
	v_cmp_gt_u32_e64 s0, 28, v7
	v_lshlrev_b32_e32 v3, 3, v3
	s_delay_alu instid0(VALU_DEP_1)
	v_add_lshl_u32 v3, v3, v7, 2
	s_waitcnt lgkmcnt(0)
	v_add_f32_e32 v5, v6, v4
	v_cndmask_b32_e64 v4, 0, 1, s0
	v_cmp_gt_u32_e64 s0, 30, v7
	ds_bpermute_b32 v6, v3, v5
	v_lshlrev_b32_e32 v4, 2, v4
	s_delay_alu instid0(VALU_DEP_1)
	v_add_lshl_u32 v4, v4, v7, 2
	s_waitcnt lgkmcnt(0)
	v_add_f32_e32 v6, v5, v6
	v_cndmask_b32_e64 v5, 0, 1, s0
	v_cmp_ne_u32_e64 s0, 31, v7
	ds_bpermute_b32 v8, v4, v6
	v_lshlrev_b32_e32 v5, 1, v5
	v_add_co_ci_u32_e64 v9, s0, 0, v7, s0
	s_delay_alu instid0(VALU_DEP_2)
	v_add_lshl_u32 v5, v5, v7, 2
	s_waitcnt lgkmcnt(0)
	v_add_f32_e32 v6, v6, v8
	ds_bpermute_b32 v8, v5, v6
	s_waitcnt lgkmcnt(0)
	v_dual_add_f32 v7, v6, v8 :: v_dual_lshlrev_b32 v6, 2, v9
	ds_bpermute_b32 v8, v6, v7
	v_cmpx_eq_u32_e32 0, v2
	s_cbranch_execz .LBB398_8
; %bb.7:
	v_lshrrev_b32_e32 v2, 3, v0
	s_waitcnt lgkmcnt(0)
	s_delay_alu instid0(VALU_DEP_1)
	v_dual_add_f32 v7, v7, v8 :: v_dual_and_b32 v2, 60, v2
	ds_store_b32 v2, v7
.LBB398_8:
	s_or_b32 exec_lo, exec_lo, s1
	v_mov_b32_e32 v2, 0
	s_mov_b32 s1, exec_lo
	s_waitcnt lgkmcnt(0)
	s_barrier
	buffer_gl0_inv
	v_cmpx_gt_u32_e32 16, v0
	s_cbranch_execz .LBB398_10
; %bb.9:
	ds_load_b32 v2, v1
.LBB398_10:
	s_or_b32 exec_lo, exec_lo, s1
	s_and_saveexec_b32 s0, vcc_lo
	s_cbranch_execz .LBB398_12
; %bb.11:
	s_waitcnt lgkmcnt(0)
	ds_bpermute_b32 v1, v3, v2
	s_waitcnt lgkmcnt(0)
	v_add_f32_e32 v1, v2, v1
	ds_bpermute_b32 v2, v4, v1
	s_waitcnt lgkmcnt(0)
	v_add_f32_e32 v1, v1, v2
	ds_bpermute_b32 v2, v5, v1
	s_waitcnt lgkmcnt(0)
	v_add_f32_e32 v1, v1, v2
	ds_bpermute_b32 v2, v6, v1
	s_waitcnt lgkmcnt(0)
	v_add_f32_e32 v2, v1, v2
.LBB398_12:
	s_or_b32 exec_lo, exec_lo, s0
	s_delay_alu instid0(SALU_CYCLE_1)
	s_mov_b32 s0, exec_lo
	v_cmpx_eq_u32_e32 0, v0
	s_cbranch_execz .LBB398_17
; %bb.13:
	s_cmp_lg_u32 s12, 1
	s_mov_b32 s15, -1
	s_cbranch_scc0 .LBB398_15
; %bb.14:
	s_mul_hi_u32 s1, s12, s2
	s_mul_i32 s0, s12, s2
	s_mov_b32 s15, 0
	s_lshl_b64 s[0:1], s[0:1], 2
	v_mov_b32_e32 v0, 0
	s_add_u32 s4, s16, s0
	s_addc_u32 s5, s17, s1
	s_lshl_b64 s[0:1], s[14:15], 2
	s_delay_alu instid0(SALU_CYCLE_1)
	s_add_u32 s0, s4, s0
	s_addc_u32 s1, s5, s1
	s_waitcnt lgkmcnt(0)
	global_store_b32 v0, v2, s[0:1]
.LBB398_15:
	s_and_not1_b32 vcc_lo, exec_lo, s15
	s_cbranch_vccnz .LBB398_17
; %bb.16:
	s_waitcnt lgkmcnt(0)
	v_cvt_f16_f32_e32 v0, v2
	s_lshl_b64 s[0:1], s[2:3], 1
	v_mov_b32_e32 v1, 0
	s_add_u32 s0, s18, s0
	s_addc_u32 s1, s19, s1
	global_store_b16 v1, v0, s[0:1]
.LBB398_17:
	s_nop 0
	s_sendmsg sendmsg(MSG_DEALLOC_VGPRS)
	s_endpgm
	.section	.rodata,"a",@progbits
	.p2align	6, 0x0
	.amdhsa_kernel _ZL18rocblas_dot_kernelIlLb0ELi512ELi8ELb0EDF16_PKDF16_fEviT5_lT_lS2_lS3_liPT6_PT4_
		.amdhsa_group_segment_fixed_size 128
		.amdhsa_private_segment_fixed_size 0
		.amdhsa_kernarg_size 352
		.amdhsa_user_sgpr_count 14
		.amdhsa_user_sgpr_dispatch_ptr 0
		.amdhsa_user_sgpr_queue_ptr 0
		.amdhsa_user_sgpr_kernarg_segment_ptr 1
		.amdhsa_user_sgpr_dispatch_id 0
		.amdhsa_user_sgpr_private_segment_size 0
		.amdhsa_wavefront_size32 1
		.amdhsa_uses_dynamic_stack 0
		.amdhsa_enable_private_segment 0
		.amdhsa_system_sgpr_workgroup_id_x 1
		.amdhsa_system_sgpr_workgroup_id_y 0
		.amdhsa_system_sgpr_workgroup_id_z 1
		.amdhsa_system_sgpr_workgroup_info 0
		.amdhsa_system_vgpr_workitem_id 0
		.amdhsa_next_free_vgpr 11
		.amdhsa_next_free_sgpr 28
		.amdhsa_reserve_vcc 1
		.amdhsa_float_round_mode_32 0
		.amdhsa_float_round_mode_16_64 0
		.amdhsa_float_denorm_mode_32 3
		.amdhsa_float_denorm_mode_16_64 3
		.amdhsa_dx10_clamp 1
		.amdhsa_ieee_mode 1
		.amdhsa_fp16_overflow 0
		.amdhsa_workgroup_processor_mode 1
		.amdhsa_memory_ordered 1
		.amdhsa_forward_progress 0
		.amdhsa_shared_vgpr_count 0
		.amdhsa_exception_fp_ieee_invalid_op 0
		.amdhsa_exception_fp_denorm_src 0
		.amdhsa_exception_fp_ieee_div_zero 0
		.amdhsa_exception_fp_ieee_overflow 0
		.amdhsa_exception_fp_ieee_underflow 0
		.amdhsa_exception_fp_ieee_inexact 0
		.amdhsa_exception_int_div_zero 0
	.end_amdhsa_kernel
	.section	.text._ZL18rocblas_dot_kernelIlLb0ELi512ELi8ELb0EDF16_PKDF16_fEviT5_lT_lS2_lS3_liPT6_PT4_,"axG",@progbits,_ZL18rocblas_dot_kernelIlLb0ELi512ELi8ELb0EDF16_PKDF16_fEviT5_lT_lS2_lS3_liPT6_PT4_,comdat
.Lfunc_end398:
	.size	_ZL18rocblas_dot_kernelIlLb0ELi512ELi8ELb0EDF16_PKDF16_fEviT5_lT_lS2_lS3_liPT6_PT4_, .Lfunc_end398-_ZL18rocblas_dot_kernelIlLb0ELi512ELi8ELb0EDF16_PKDF16_fEviT5_lT_lS2_lS3_liPT6_PT4_
                                        ; -- End function
	.section	.AMDGPU.csdata,"",@progbits
; Kernel info:
; codeLenInByte = 1096
; NumSgprs: 30
; NumVgprs: 11
; ScratchSize: 0
; MemoryBound: 0
; FloatMode: 240
; IeeeMode: 1
; LDSByteSize: 128 bytes/workgroup (compile time only)
; SGPRBlocks: 3
; VGPRBlocks: 1
; NumSGPRsForWavesPerEU: 30
; NumVGPRsForWavesPerEU: 11
; Occupancy: 16
; WaveLimiterHint : 0
; COMPUTE_PGM_RSRC2:SCRATCH_EN: 0
; COMPUTE_PGM_RSRC2:USER_SGPR: 14
; COMPUTE_PGM_RSRC2:TRAP_HANDLER: 0
; COMPUTE_PGM_RSRC2:TGID_X_EN: 1
; COMPUTE_PGM_RSRC2:TGID_Y_EN: 0
; COMPUTE_PGM_RSRC2:TGID_Z_EN: 1
; COMPUTE_PGM_RSRC2:TIDIG_COMP_CNT: 0
	.section	.text._ZL24rocblas_dot_kernel_magsqIlLb0ELi512ELi8ELb0EDF16_PKDF16_fEviT5_lT_liPT6_PT4_,"axG",@progbits,_ZL24rocblas_dot_kernel_magsqIlLb0ELi512ELi8ELb0EDF16_PKDF16_fEviT5_lT_liPT6_PT4_,comdat
	.globl	_ZL24rocblas_dot_kernel_magsqIlLb0ELi512ELi8ELb0EDF16_PKDF16_fEviT5_lT_liPT6_PT4_ ; -- Begin function _ZL24rocblas_dot_kernel_magsqIlLb0ELi512ELi8ELb0EDF16_PKDF16_fEviT5_lT_liPT6_PT4_
	.p2align	8
	.type	_ZL24rocblas_dot_kernel_magsqIlLb0ELi512ELi8ELb0EDF16_PKDF16_fEviT5_lT_liPT6_PT4_,@function
_ZL24rocblas_dot_kernel_magsqIlLb0ELi512ELi8ELb0EDF16_PKDF16_fEviT5_lT_liPT6_PT4_: ; @_ZL24rocblas_dot_kernel_magsqIlLb0ELi512ELi8ELb0EDF16_PKDF16_fEviT5_lT_liPT6_PT4_
; %bb.0:
	s_clause 0x2
	s_load_b32 s11, s[0:1], 0x0
	s_load_b128 s[4:7], s[0:1], 0x30
	s_load_b32 s10, s[0:1], 0x40
	v_lshl_or_b32 v1, s14, 9, v0
	v_mov_b32_e32 v3, 0
	s_mov_b32 s2, s15
	s_mov_b32 s3, 0
	s_mov_b32 s12, exec_lo
	s_waitcnt lgkmcnt(0)
	v_cmpx_gt_i32_e64 s11, v1
	s_cbranch_execz .LBB399_4
; %bb.1:
	s_clause 0x2
	s_load_b128 s[16:19], s[0:1], 0x10
	s_load_b64 s[8:9], s[0:1], 0x20
	s_load_b64 s[20:21], s[0:1], 0x8
	v_ashrrev_i32_e32 v2, 31, v1
	s_lshl_b32 s1, s10, 9
	s_delay_alu instid0(SALU_CYCLE_1)
	v_add_nc_u32_e32 v4, s1, v1
	s_waitcnt lgkmcnt(0)
	v_mul_lo_u32 v5, s19, v1
	v_mul_lo_u32 v6, s18, v2
	v_mad_u64_u32 v[2:3], null, s18, v1, 0
	s_mul_i32 s0, s9, s2
	s_mul_hi_u32 s9, s8, s2
	s_mul_i32 s8, s8, s2
	s_add_i32 s9, s9, s0
	s_lshl_b64 s[16:17], s[16:17], 1
	s_lshl_b64 s[8:9], s[8:9], 1
	s_delay_alu instid0(VALU_DEP_1)
	v_add3_u32 v3, v3, v6, v5
	s_add_u32 s0, s20, s16
	s_addc_u32 s13, s21, s17
	s_add_u32 s0, s0, s8
	s_addc_u32 s13, s13, s9
	v_lshlrev_b64 v[1:2], 1, v[2:3]
	v_mov_b32_e32 v3, 0
	s_ashr_i32 s8, s1, 31
	s_mul_hi_u32 s9, s18, s1
	s_mul_i32 s8, s18, s8
	s_mul_i32 s15, s19, s1
	v_add_co_u32 v1, vcc_lo, s0, v1
	s_add_i32 s9, s9, s8
	v_add_co_ci_u32_e32 v2, vcc_lo, s13, v2, vcc_lo
	s_mul_i32 s8, s18, s1
	s_add_i32 s9, s9, s15
	s_mov_b32 s13, s3
	s_lshl_b64 s[8:9], s[8:9], 1
	s_mov_b32 s15, s3
	.p2align	6
.LBB399_2:                              ; =>This Inner Loop Header: Depth=1
	global_load_u16 v5, v[1:2], off
	s_add_i32 s16, s15, 1
	v_cmp_le_i32_e32 vcc_lo, s11, v4
	v_add_co_u32 v1, s0, v1, s8
	s_cmp_gt_u32 s15, 6
	v_add_co_ci_u32_e64 v2, s0, s9, v2, s0
	s_cselect_b32 s0, -1, 0
	v_add_nc_u32_e32 v4, s1, v4
	s_or_b32 s0, s0, vcc_lo
	s_mov_b32 s15, s16
	s_and_b32 s0, exec_lo, s0
	s_delay_alu instid0(SALU_CYCLE_1)
	s_or_b32 s13, s0, s13
	s_waitcnt vmcnt(0)
	v_fma_mix_f32 v3, v5, v5, v3 op_sel_hi:[1,1,0]
	s_and_not1_b32 exec_lo, exec_lo, s13
	s_cbranch_execnz .LBB399_2
; %bb.3:
	s_or_b32 exec_lo, exec_lo, s13
.LBB399_4:
	s_delay_alu instid0(SALU_CYCLE_1) | instskip(SKIP_2) | instid1(VALU_DEP_2)
	s_or_b32 exec_lo, exec_lo, s12
	v_and_b32_e32 v2, 31, v0
	v_cmp_gt_u32_e32 vcc_lo, 32, v0
	v_lshlrev_b32_e32 v1, 2, v2
	s_and_saveexec_b32 s0, vcc_lo
	s_cbranch_execz .LBB399_6
; %bb.5:
	v_mov_b32_e32 v4, 0
	ds_store_b32 v1, v4
.LBB399_6:
	s_or_b32 exec_lo, exec_lo, s0
	v_mbcnt_lo_u32_b32 v6, -1, 0
	s_mov_b32 s1, exec_lo
	s_waitcnt lgkmcnt(0)
	s_barrier
	buffer_gl0_inv
	v_cmp_gt_u32_e64 s0, 16, v6
	s_delay_alu instid0(VALU_DEP_1) | instskip(SKIP_1) | instid1(VALU_DEP_2)
	v_cndmask_b32_e64 v4, 0, 1, s0
	v_cmp_gt_u32_e64 s0, 24, v6
	v_lshlrev_b32_e32 v4, 4, v4
	s_delay_alu instid0(VALU_DEP_1) | instskip(SKIP_4) | instid1(VALU_DEP_2)
	v_add_lshl_u32 v4, v4, v6, 2
	ds_bpermute_b32 v5, v4, v3
	v_cndmask_b32_e64 v4, 0, 1, s0
	v_cmp_gt_u32_e64 s0, 28, v6
	s_waitcnt lgkmcnt(0)
	v_dual_add_f32 v5, v3, v5 :: v_dual_lshlrev_b32 v4, 3, v4
	s_delay_alu instid0(VALU_DEP_2) | instskip(SKIP_1) | instid1(VALU_DEP_3)
	v_cndmask_b32_e64 v3, 0, 1, s0
	v_cmp_gt_u32_e64 s0, 30, v6
	v_add_lshl_u32 v4, v4, v6, 2
	s_delay_alu instid0(VALU_DEP_3)
	v_lshlrev_b32_e32 v3, 2, v3
	ds_bpermute_b32 v7, v4, v5
	v_add_lshl_u32 v3, v3, v6, 2
	s_waitcnt lgkmcnt(0)
	v_add_f32_e32 v7, v5, v7
	v_cndmask_b32_e64 v5, 0, 1, s0
	v_cmp_ne_u32_e64 s0, 31, v6
	ds_bpermute_b32 v8, v3, v7
	v_lshlrev_b32_e32 v5, 1, v5
	s_delay_alu instid0(VALU_DEP_1) | instskip(SKIP_2) | instid1(VALU_DEP_1)
	v_add_lshl_u32 v5, v5, v6, 2
	v_add_co_ci_u32_e64 v6, s0, 0, v6, s0
	s_waitcnt lgkmcnt(0)
	v_dual_add_f32 v7, v7, v8 :: v_dual_lshlrev_b32 v6, 2, v6
	ds_bpermute_b32 v8, v5, v7
	s_waitcnt lgkmcnt(0)
	v_add_f32_e32 v7, v7, v8
	ds_bpermute_b32 v8, v6, v7
	v_cmpx_eq_u32_e32 0, v2
	s_cbranch_execz .LBB399_8
; %bb.7:
	v_lshrrev_b32_e32 v2, 3, v0
	s_waitcnt lgkmcnt(0)
	s_delay_alu instid0(VALU_DEP_1)
	v_dual_add_f32 v7, v7, v8 :: v_dual_and_b32 v2, 60, v2
	ds_store_b32 v2, v7
.LBB399_8:
	s_or_b32 exec_lo, exec_lo, s1
	v_mov_b32_e32 v2, 0
	s_mov_b32 s1, exec_lo
	s_waitcnt lgkmcnt(0)
	s_barrier
	buffer_gl0_inv
	v_cmpx_gt_u32_e32 16, v0
	s_cbranch_execz .LBB399_10
; %bb.9:
	ds_load_b32 v2, v1
.LBB399_10:
	s_or_b32 exec_lo, exec_lo, s1
	s_and_saveexec_b32 s0, vcc_lo
	s_cbranch_execz .LBB399_12
; %bb.11:
	s_waitcnt lgkmcnt(0)
	ds_bpermute_b32 v1, v4, v2
	s_waitcnt lgkmcnt(0)
	v_add_f32_e32 v1, v2, v1
	ds_bpermute_b32 v2, v3, v1
	s_waitcnt lgkmcnt(0)
	v_add_f32_e32 v1, v1, v2
	;; [unrolled: 3-line block ×4, first 2 shown]
.LBB399_12:
	s_or_b32 exec_lo, exec_lo, s0
	s_delay_alu instid0(SALU_CYCLE_1)
	s_mov_b32 s0, exec_lo
	v_cmpx_eq_u32_e32 0, v0
	s_cbranch_execz .LBB399_17
; %bb.13:
	s_cmp_lg_u32 s10, 1
	s_mov_b32 s15, -1
	s_cbranch_scc0 .LBB399_15
; %bb.14:
	s_mul_hi_u32 s1, s10, s2
	s_mul_i32 s0, s10, s2
	s_mov_b32 s15, 0
	s_lshl_b64 s[0:1], s[0:1], 2
	v_mov_b32_e32 v0, 0
	s_add_u32 s4, s4, s0
	s_addc_u32 s5, s5, s1
	s_lshl_b64 s[0:1], s[14:15], 2
	s_delay_alu instid0(SALU_CYCLE_1)
	s_add_u32 s0, s4, s0
	s_addc_u32 s1, s5, s1
	s_waitcnt lgkmcnt(0)
	global_store_b32 v0, v2, s[0:1]
.LBB399_15:
	s_and_not1_b32 vcc_lo, exec_lo, s15
	s_cbranch_vccnz .LBB399_17
; %bb.16:
	s_waitcnt lgkmcnt(0)
	v_cvt_f16_f32_e32 v0, v2
	s_lshl_b64 s[0:1], s[2:3], 1
	v_mov_b32_e32 v1, 0
	s_add_u32 s0, s6, s0
	s_addc_u32 s1, s7, s1
	global_store_b16 v1, v0, s[0:1]
.LBB399_17:
	s_nop 0
	s_sendmsg sendmsg(MSG_DEALLOC_VGPRS)
	s_endpgm
	.section	.rodata,"a",@progbits
	.p2align	6, 0x0
	.amdhsa_kernel _ZL24rocblas_dot_kernel_magsqIlLb0ELi512ELi8ELb0EDF16_PKDF16_fEviT5_lT_liPT6_PT4_
		.amdhsa_group_segment_fixed_size 128
		.amdhsa_private_segment_fixed_size 0
		.amdhsa_kernarg_size 320
		.amdhsa_user_sgpr_count 14
		.amdhsa_user_sgpr_dispatch_ptr 0
		.amdhsa_user_sgpr_queue_ptr 0
		.amdhsa_user_sgpr_kernarg_segment_ptr 1
		.amdhsa_user_sgpr_dispatch_id 0
		.amdhsa_user_sgpr_private_segment_size 0
		.amdhsa_wavefront_size32 1
		.amdhsa_uses_dynamic_stack 0
		.amdhsa_enable_private_segment 0
		.amdhsa_system_sgpr_workgroup_id_x 1
		.amdhsa_system_sgpr_workgroup_id_y 0
		.amdhsa_system_sgpr_workgroup_id_z 1
		.amdhsa_system_sgpr_workgroup_info 0
		.amdhsa_system_vgpr_workitem_id 0
		.amdhsa_next_free_vgpr 9
		.amdhsa_next_free_sgpr 22
		.amdhsa_reserve_vcc 1
		.amdhsa_float_round_mode_32 0
		.amdhsa_float_round_mode_16_64 0
		.amdhsa_float_denorm_mode_32 3
		.amdhsa_float_denorm_mode_16_64 3
		.amdhsa_dx10_clamp 1
		.amdhsa_ieee_mode 1
		.amdhsa_fp16_overflow 0
		.amdhsa_workgroup_processor_mode 1
		.amdhsa_memory_ordered 1
		.amdhsa_forward_progress 0
		.amdhsa_shared_vgpr_count 0
		.amdhsa_exception_fp_ieee_invalid_op 0
		.amdhsa_exception_fp_denorm_src 0
		.amdhsa_exception_fp_ieee_div_zero 0
		.amdhsa_exception_fp_ieee_overflow 0
		.amdhsa_exception_fp_ieee_underflow 0
		.amdhsa_exception_fp_ieee_inexact 0
		.amdhsa_exception_int_div_zero 0
	.end_amdhsa_kernel
	.section	.text._ZL24rocblas_dot_kernel_magsqIlLb0ELi512ELi8ELb0EDF16_PKDF16_fEviT5_lT_liPT6_PT4_,"axG",@progbits,_ZL24rocblas_dot_kernel_magsqIlLb0ELi512ELi8ELb0EDF16_PKDF16_fEviT5_lT_liPT6_PT4_,comdat
.Lfunc_end399:
	.size	_ZL24rocblas_dot_kernel_magsqIlLb0ELi512ELi8ELb0EDF16_PKDF16_fEviT5_lT_liPT6_PT4_, .Lfunc_end399-_ZL24rocblas_dot_kernel_magsqIlLb0ELi512ELi8ELb0EDF16_PKDF16_fEviT5_lT_liPT6_PT4_
                                        ; -- End function
	.section	.AMDGPU.csdata,"",@progbits
; Kernel info:
; codeLenInByte = 940
; NumSgprs: 24
; NumVgprs: 9
; ScratchSize: 0
; MemoryBound: 0
; FloatMode: 240
; IeeeMode: 1
; LDSByteSize: 128 bytes/workgroup (compile time only)
; SGPRBlocks: 2
; VGPRBlocks: 1
; NumSGPRsForWavesPerEU: 24
; NumVGPRsForWavesPerEU: 9
; Occupancy: 16
; WaveLimiterHint : 0
; COMPUTE_PGM_RSRC2:SCRATCH_EN: 0
; COMPUTE_PGM_RSRC2:USER_SGPR: 14
; COMPUTE_PGM_RSRC2:TRAP_HANDLER: 0
; COMPUTE_PGM_RSRC2:TGID_X_EN: 1
; COMPUTE_PGM_RSRC2:TGID_Y_EN: 0
; COMPUTE_PGM_RSRC2:TGID_Z_EN: 1
; COMPUTE_PGM_RSRC2:TIDIG_COMP_CNT: 0
	.section	.text._ZL28rocblas_dot_batched_4_kernelIiLi32ELi4ELb0EfDF16_PKPKDF16_EviT5_lT_lS4_lS5_liPT4_,"axG",@progbits,_ZL28rocblas_dot_batched_4_kernelIiLi32ELi4ELb0EfDF16_PKPKDF16_EviT5_lT_lS4_lS5_liPT4_,comdat
	.globl	_ZL28rocblas_dot_batched_4_kernelIiLi32ELi4ELb0EfDF16_PKPKDF16_EviT5_lT_lS4_lS5_liPT4_ ; -- Begin function _ZL28rocblas_dot_batched_4_kernelIiLi32ELi4ELb0EfDF16_PKPKDF16_EviT5_lT_lS4_lS5_liPT4_
	.p2align	8
	.type	_ZL28rocblas_dot_batched_4_kernelIiLi32ELi4ELb0EfDF16_PKPKDF16_EviT5_lT_lS4_lS5_liPT4_,@function
_ZL28rocblas_dot_batched_4_kernelIiLi32ELi4ELb0EfDF16_PKPKDF16_EviT5_lT_lS4_lS5_liPT4_: ; @_ZL28rocblas_dot_batched_4_kernelIiLi32ELi4ELb0EfDF16_PKPKDF16_EviT5_lT_lS4_lS5_liPT4_
; %bb.0:
	s_load_b32 s2, s[0:1], 0x48
	v_bfe_u32 v1, v0, 10, 10
	s_delay_alu instid0(VALU_DEP_1) | instskip(SKIP_1) | instid1(VALU_DEP_1)
	v_lshl_add_u32 v1, s15, 2, v1
	s_waitcnt lgkmcnt(0)
	v_cmp_gt_u32_e32 vcc_lo, s2, v1
	s_and_saveexec_b32 s2, vcc_lo
	s_cbranch_execz .LBB400_7
; %bb.1:
	s_clause 0x1
	s_load_b32 s12, s[0:1], 0x0
	s_load_b64 s[2:3], s[0:1], 0x50
	v_mov_b32_e32 v2, 0
	v_and_b32_e32 v0, 0x3ff, v0
	s_mov_b32 s13, exec_lo
	s_delay_alu instid0(VALU_DEP_2) | instskip(SKIP_1) | instid1(VALU_DEP_2)
	v_mov_b32_e32 v7, v2
	s_waitcnt lgkmcnt(0)
	v_cmpx_gt_i32_e64 s12, v0
	s_cbranch_execz .LBB400_5
; %bb.2:
	s_clause 0x1
	s_load_b128 s[4:7], s[0:1], 0x8
	s_load_b128 s[8:11], s[0:1], 0x28
	v_lshlrev_b64 v[3:4], 3, v[1:2]
	s_clause 0x1
	s_load_b32 s14, s[0:1], 0x18
	s_load_b32 s0, s[0:1], 0x38
	v_mov_b32_e32 v7, 0
	s_waitcnt lgkmcnt(0)
	v_add_co_u32 v5, vcc_lo, s4, v3
	v_add_co_ci_u32_e32 v6, vcc_lo, s5, v4, vcc_lo
	v_add_co_u32 v3, vcc_lo, s8, v3
	v_add_co_ci_u32_e32 v4, vcc_lo, s9, v4, vcc_lo
	v_mad_i64_i32 v[10:11], null, s0, v0, 0
	global_load_b64 v[5:6], v[5:6], off
	global_load_b64 v[8:9], v[3:4], off
	v_mad_i64_i32 v[3:4], null, s14, v0, 0
	s_lshl_b64 s[4:5], s[6:7], 1
	s_lshl_b64 s[6:7], s[10:11], 1
	s_ashr_i32 s15, s14, 31
	v_lshlrev_b64 v[10:11], 1, v[10:11]
	s_ashr_i32 s1, s0, 31
	s_delay_alu instid0(VALU_DEP_2) | instskip(NEXT) | instid1(VALU_DEP_1)
	v_lshlrev_b64 v[3:4], 1, v[3:4]
	v_add_co_u32 v3, vcc_lo, v3, s4
	s_delay_alu instid0(VALU_DEP_2) | instskip(NEXT) | instid1(VALU_DEP_4)
	v_add_co_ci_u32_e32 v4, vcc_lo, s5, v4, vcc_lo
	v_add_co_u32 v10, vcc_lo, v10, s6
	v_add_co_ci_u32_e32 v11, vcc_lo, s7, v11, vcc_lo
	s_lshl_b64 s[4:5], s[14:15], 6
	s_lshl_b64 s[6:7], s[0:1], 6
	s_mov_b32 s1, 0
	s_waitcnt vmcnt(1)
	v_add_co_u32 v3, vcc_lo, v5, v3
	v_add_co_ci_u32_e32 v4, vcc_lo, v6, v4, vcc_lo
	s_waitcnt vmcnt(0)
	v_add_co_u32 v5, vcc_lo, v8, v10
	v_mov_b32_e32 v8, v0
	v_add_co_ci_u32_e32 v6, vcc_lo, v9, v11, vcc_lo
	.p2align	6
.LBB400_3:                              ; =>This Inner Loop Header: Depth=1
	global_load_u16 v9, v[3:4], off
	global_load_u16 v10, v[5:6], off
	v_add_nc_u32_e32 v8, 32, v8
	v_add_co_u32 v3, vcc_lo, v3, s4
	v_add_co_ci_u32_e32 v4, vcc_lo, s5, v4, vcc_lo
	v_add_co_u32 v5, vcc_lo, v5, s6
	s_delay_alu instid0(VALU_DEP_4) | instskip(SKIP_1) | instid1(VALU_DEP_2)
	v_cmp_le_i32_e64 s0, s12, v8
	v_add_co_ci_u32_e32 v6, vcc_lo, s7, v6, vcc_lo
	s_or_b32 s1, s0, s1
	s_waitcnt vmcnt(0)
	v_fma_mix_f32 v7, v9, v10, v7 op_sel_hi:[1,1,0]
	s_and_not1_b32 exec_lo, exec_lo, s1
	s_cbranch_execnz .LBB400_3
; %bb.4:
	s_or_b32 exec_lo, exec_lo, s1
.LBB400_5:
	s_delay_alu instid0(SALU_CYCLE_1)
	s_or_b32 exec_lo, exec_lo, s13
	v_mbcnt_lo_u32_b32 v3, -1, 0
	s_barrier
	buffer_gl0_inv
	v_cmp_gt_u32_e32 vcc_lo, 16, v3
	v_cndmask_b32_e64 v4, 0, 1, vcc_lo
	v_cmp_gt_u32_e32 vcc_lo, 24, v3
	s_delay_alu instid0(VALU_DEP_2) | instskip(SKIP_2) | instid1(VALU_DEP_3)
	v_lshlrev_b32_e32 v4, 4, v4
	v_cndmask_b32_e64 v5, 0, 1, vcc_lo
	v_cmp_gt_u32_e32 vcc_lo, 28, v3
	v_add_lshl_u32 v4, v4, v3, 2
	v_cndmask_b32_e64 v6, 0, 1, vcc_lo
	v_cmp_gt_u32_e32 vcc_lo, 30, v3
	ds_bpermute_b32 v4, v4, v7
	v_lshlrev_b32_e32 v5, 3, v5
	v_lshlrev_b32_e32 v6, 2, v6
	s_delay_alu instid0(VALU_DEP_1)
	v_add_lshl_u32 v6, v6, v3, 2
	s_waitcnt lgkmcnt(0)
	v_add_f32_e32 v4, v7, v4
	v_add_lshl_u32 v5, v5, v3, 2
	ds_bpermute_b32 v5, v5, v4
	s_waitcnt lgkmcnt(0)
	v_add_f32_e32 v4, v4, v5
	ds_bpermute_b32 v5, v6, v4
	v_cndmask_b32_e64 v6, 0, 1, vcc_lo
	v_cmp_ne_u32_e32 vcc_lo, 31, v3
	s_delay_alu instid0(VALU_DEP_2) | instskip(NEXT) | instid1(VALU_DEP_1)
	v_lshlrev_b32_e32 v6, 1, v6
	v_add_lshl_u32 v6, v6, v3, 2
	s_waitcnt lgkmcnt(0)
	v_add_f32_e32 v4, v4, v5
	ds_bpermute_b32 v5, v6, v4
	v_add_co_ci_u32_e32 v6, vcc_lo, 0, v3, vcc_lo
	v_cmp_eq_u32_e32 vcc_lo, 0, v0
	s_waitcnt lgkmcnt(0)
	s_delay_alu instid0(VALU_DEP_2)
	v_dual_add_f32 v3, v4, v5 :: v_dual_lshlrev_b32 v4, 2, v6
	ds_bpermute_b32 v4, v4, v3
	s_and_b32 exec_lo, exec_lo, vcc_lo
	s_cbranch_execz .LBB400_7
; %bb.6:
	v_lshlrev_b64 v[0:1], 1, v[1:2]
	s_waitcnt lgkmcnt(0)
	v_add_f32_e32 v2, v3, v4
	s_delay_alu instid0(VALU_DEP_1) | instskip(NEXT) | instid1(VALU_DEP_3)
	v_cvt_f16_f32_e32 v2, v2
	v_add_co_u32 v0, vcc_lo, s2, v0
	s_delay_alu instid0(VALU_DEP_4)
	v_add_co_ci_u32_e32 v1, vcc_lo, s3, v1, vcc_lo
	global_store_b16 v[0:1], v2, off
.LBB400_7:
	s_nop 0
	s_sendmsg sendmsg(MSG_DEALLOC_VGPRS)
	s_endpgm
	.section	.rodata,"a",@progbits
	.p2align	6, 0x0
	.amdhsa_kernel _ZL28rocblas_dot_batched_4_kernelIiLi32ELi4ELb0EfDF16_PKPKDF16_EviT5_lT_lS4_lS5_liPT4_
		.amdhsa_group_segment_fixed_size 0
		.amdhsa_private_segment_fixed_size 0
		.amdhsa_kernarg_size 88
		.amdhsa_user_sgpr_count 15
		.amdhsa_user_sgpr_dispatch_ptr 0
		.amdhsa_user_sgpr_queue_ptr 0
		.amdhsa_user_sgpr_kernarg_segment_ptr 1
		.amdhsa_user_sgpr_dispatch_id 0
		.amdhsa_user_sgpr_private_segment_size 0
		.amdhsa_wavefront_size32 1
		.amdhsa_uses_dynamic_stack 0
		.amdhsa_enable_private_segment 0
		.amdhsa_system_sgpr_workgroup_id_x 1
		.amdhsa_system_sgpr_workgroup_id_y 0
		.amdhsa_system_sgpr_workgroup_id_z 0
		.amdhsa_system_sgpr_workgroup_info 0
		.amdhsa_system_vgpr_workitem_id 1
		.amdhsa_next_free_vgpr 12
		.amdhsa_next_free_sgpr 16
		.amdhsa_reserve_vcc 1
		.amdhsa_float_round_mode_32 0
		.amdhsa_float_round_mode_16_64 0
		.amdhsa_float_denorm_mode_32 3
		.amdhsa_float_denorm_mode_16_64 3
		.amdhsa_dx10_clamp 1
		.amdhsa_ieee_mode 1
		.amdhsa_fp16_overflow 0
		.amdhsa_workgroup_processor_mode 1
		.amdhsa_memory_ordered 1
		.amdhsa_forward_progress 0
		.amdhsa_shared_vgpr_count 0
		.amdhsa_exception_fp_ieee_invalid_op 0
		.amdhsa_exception_fp_denorm_src 0
		.amdhsa_exception_fp_ieee_div_zero 0
		.amdhsa_exception_fp_ieee_overflow 0
		.amdhsa_exception_fp_ieee_underflow 0
		.amdhsa_exception_fp_ieee_inexact 0
		.amdhsa_exception_int_div_zero 0
	.end_amdhsa_kernel
	.section	.text._ZL28rocblas_dot_batched_4_kernelIiLi32ELi4ELb0EfDF16_PKPKDF16_EviT5_lT_lS4_lS5_liPT4_,"axG",@progbits,_ZL28rocblas_dot_batched_4_kernelIiLi32ELi4ELb0EfDF16_PKPKDF16_EviT5_lT_lS4_lS5_liPT4_,comdat
.Lfunc_end400:
	.size	_ZL28rocblas_dot_batched_4_kernelIiLi32ELi4ELb0EfDF16_PKPKDF16_EviT5_lT_lS4_lS5_liPT4_, .Lfunc_end400-_ZL28rocblas_dot_batched_4_kernelIiLi32ELi4ELb0EfDF16_PKPKDF16_EviT5_lT_lS4_lS5_liPT4_
                                        ; -- End function
	.section	.AMDGPU.csdata,"",@progbits
; Kernel info:
; codeLenInByte = 708
; NumSgprs: 18
; NumVgprs: 12
; ScratchSize: 0
; MemoryBound: 0
; FloatMode: 240
; IeeeMode: 1
; LDSByteSize: 0 bytes/workgroup (compile time only)
; SGPRBlocks: 2
; VGPRBlocks: 1
; NumSGPRsForWavesPerEU: 18
; NumVGPRsForWavesPerEU: 12
; Occupancy: 16
; WaveLimiterHint : 0
; COMPUTE_PGM_RSRC2:SCRATCH_EN: 0
; COMPUTE_PGM_RSRC2:USER_SGPR: 15
; COMPUTE_PGM_RSRC2:TRAP_HANDLER: 0
; COMPUTE_PGM_RSRC2:TGID_X_EN: 1
; COMPUTE_PGM_RSRC2:TGID_Y_EN: 0
; COMPUTE_PGM_RSRC2:TGID_Z_EN: 0
; COMPUTE_PGM_RSRC2:TIDIG_COMP_CNT: 1
	.section	.text._ZL28rocblas_dot_batched_4_kernelIiLi64ELi4ELb0EfDF16_PKPKDF16_EviT5_lT_lS4_lS5_liPT4_,"axG",@progbits,_ZL28rocblas_dot_batched_4_kernelIiLi64ELi4ELb0EfDF16_PKPKDF16_EviT5_lT_lS4_lS5_liPT4_,comdat
	.globl	_ZL28rocblas_dot_batched_4_kernelIiLi64ELi4ELb0EfDF16_PKPKDF16_EviT5_lT_lS4_lS5_liPT4_ ; -- Begin function _ZL28rocblas_dot_batched_4_kernelIiLi64ELi4ELb0EfDF16_PKPKDF16_EviT5_lT_lS4_lS5_liPT4_
	.p2align	8
	.type	_ZL28rocblas_dot_batched_4_kernelIiLi64ELi4ELb0EfDF16_PKPKDF16_EviT5_lT_lS4_lS5_liPT4_,@function
_ZL28rocblas_dot_batched_4_kernelIiLi64ELi4ELb0EfDF16_PKPKDF16_EviT5_lT_lS4_lS5_liPT4_: ; @_ZL28rocblas_dot_batched_4_kernelIiLi64ELi4ELb0EfDF16_PKPKDF16_EviT5_lT_lS4_lS5_liPT4_
; %bb.0:
	s_load_b32 s2, s[0:1], 0x48
	v_bfe_u32 v1, v0, 10, 10
	s_delay_alu instid0(VALU_DEP_1) | instskip(SKIP_1) | instid1(VALU_DEP_1)
	v_lshl_add_u32 v1, s15, 2, v1
	s_waitcnt lgkmcnt(0)
	v_cmp_gt_u32_e32 vcc_lo, s2, v1
	s_and_saveexec_b32 s2, vcc_lo
	s_cbranch_execz .LBB401_7
; %bb.1:
	s_clause 0x1
	s_load_b32 s12, s[0:1], 0x0
	s_load_b64 s[2:3], s[0:1], 0x50
	v_mov_b32_e32 v2, 0
	v_and_b32_e32 v0, 0x3ff, v0
	s_mov_b32 s13, exec_lo
	s_delay_alu instid0(VALU_DEP_2) | instskip(SKIP_1) | instid1(VALU_DEP_2)
	v_mov_b32_e32 v7, v2
	s_waitcnt lgkmcnt(0)
	v_cmpx_gt_i32_e64 s12, v0
	s_cbranch_execz .LBB401_5
; %bb.2:
	s_clause 0x1
	s_load_b128 s[4:7], s[0:1], 0x8
	s_load_b128 s[8:11], s[0:1], 0x28
	v_lshlrev_b64 v[3:4], 3, v[1:2]
	s_clause 0x1
	s_load_b32 s14, s[0:1], 0x18
	s_load_b32 s0, s[0:1], 0x38
	v_mov_b32_e32 v7, 0
	s_waitcnt lgkmcnt(0)
	v_add_co_u32 v5, vcc_lo, s4, v3
	v_add_co_ci_u32_e32 v6, vcc_lo, s5, v4, vcc_lo
	v_add_co_u32 v3, vcc_lo, s8, v3
	v_add_co_ci_u32_e32 v4, vcc_lo, s9, v4, vcc_lo
	v_mad_i64_i32 v[10:11], null, s0, v0, 0
	global_load_b64 v[5:6], v[5:6], off
	global_load_b64 v[8:9], v[3:4], off
	v_mad_i64_i32 v[3:4], null, s14, v0, 0
	s_lshl_b64 s[4:5], s[6:7], 1
	s_lshl_b64 s[6:7], s[10:11], 1
	s_ashr_i32 s15, s14, 31
	v_lshlrev_b64 v[10:11], 1, v[10:11]
	s_ashr_i32 s1, s0, 31
	s_delay_alu instid0(VALU_DEP_2) | instskip(NEXT) | instid1(VALU_DEP_1)
	v_lshlrev_b64 v[3:4], 1, v[3:4]
	v_add_co_u32 v3, vcc_lo, v3, s4
	s_delay_alu instid0(VALU_DEP_2) | instskip(NEXT) | instid1(VALU_DEP_4)
	v_add_co_ci_u32_e32 v4, vcc_lo, s5, v4, vcc_lo
	v_add_co_u32 v10, vcc_lo, v10, s6
	v_add_co_ci_u32_e32 v11, vcc_lo, s7, v11, vcc_lo
	s_lshl_b64 s[4:5], s[14:15], 7
	s_lshl_b64 s[6:7], s[0:1], 7
	s_mov_b32 s1, 0
	s_waitcnt vmcnt(1)
	v_add_co_u32 v3, vcc_lo, v5, v3
	v_add_co_ci_u32_e32 v4, vcc_lo, v6, v4, vcc_lo
	s_waitcnt vmcnt(0)
	v_add_co_u32 v5, vcc_lo, v8, v10
	v_mov_b32_e32 v8, v0
	v_add_co_ci_u32_e32 v6, vcc_lo, v9, v11, vcc_lo
	.p2align	6
.LBB401_3:                              ; =>This Inner Loop Header: Depth=1
	global_load_u16 v9, v[3:4], off
	global_load_u16 v10, v[5:6], off
	v_add_nc_u32_e32 v8, 64, v8
	v_add_co_u32 v3, vcc_lo, v3, s4
	v_add_co_ci_u32_e32 v4, vcc_lo, s5, v4, vcc_lo
	v_add_co_u32 v5, vcc_lo, v5, s6
	s_delay_alu instid0(VALU_DEP_4) | instskip(SKIP_1) | instid1(VALU_DEP_2)
	v_cmp_le_i32_e64 s0, s12, v8
	v_add_co_ci_u32_e32 v6, vcc_lo, s7, v6, vcc_lo
	s_or_b32 s1, s0, s1
	s_waitcnt vmcnt(0)
	v_fma_mix_f32 v7, v9, v10, v7 op_sel_hi:[1,1,0]
	s_and_not1_b32 exec_lo, exec_lo, s1
	s_cbranch_execnz .LBB401_3
; %bb.4:
	s_or_b32 exec_lo, exec_lo, s1
.LBB401_5:
	s_delay_alu instid0(SALU_CYCLE_1)
	s_or_b32 exec_lo, exec_lo, s13
	v_mbcnt_lo_u32_b32 v3, -1, 0
	s_barrier
	buffer_gl0_inv
	v_lshlrev_b32_e32 v4, 2, v3
	v_cmp_gt_u32_e32 vcc_lo, 16, v3
	ds_bpermute_b32 v4, v4, v7
	v_cndmask_b32_e64 v5, 0, 1, vcc_lo
	v_cmp_gt_u32_e32 vcc_lo, 24, v3
	s_delay_alu instid0(VALU_DEP_2) | instskip(SKIP_2) | instid1(VALU_DEP_2)
	v_lshlrev_b32_e32 v5, 4, v5
	v_cndmask_b32_e64 v6, 0, 1, vcc_lo
	v_cmp_gt_u32_e32 vcc_lo, 28, v3
	v_lshlrev_b32_e32 v6, 3, v6
	s_delay_alu instid0(VALU_DEP_1)
	v_add_lshl_u32 v6, v6, v3, 2
	s_waitcnt lgkmcnt(0)
	v_add_f32_e32 v4, v7, v4
	v_add_lshl_u32 v5, v5, v3, 2
	ds_bpermute_b32 v5, v5, v4
	s_waitcnt lgkmcnt(0)
	v_add_f32_e32 v4, v4, v5
	ds_bpermute_b32 v5, v6, v4
	v_cndmask_b32_e64 v6, 0, 1, vcc_lo
	v_cmp_gt_u32_e32 vcc_lo, 30, v3
	s_delay_alu instid0(VALU_DEP_2) | instskip(NEXT) | instid1(VALU_DEP_1)
	v_lshlrev_b32_e32 v6, 2, v6
	v_add_lshl_u32 v6, v6, v3, 2
	s_waitcnt lgkmcnt(0)
	v_add_f32_e32 v4, v4, v5
	ds_bpermute_b32 v5, v6, v4
	v_cndmask_b32_e64 v6, 0, 1, vcc_lo
	v_cmp_ne_u32_e32 vcc_lo, 31, v3
	s_delay_alu instid0(VALU_DEP_2) | instskip(NEXT) | instid1(VALU_DEP_1)
	v_lshlrev_b32_e32 v6, 1, v6
	v_add_lshl_u32 v6, v6, v3, 2
	s_waitcnt lgkmcnt(0)
	v_add_f32_e32 v4, v4, v5
	ds_bpermute_b32 v5, v6, v4
	v_add_co_ci_u32_e32 v6, vcc_lo, 0, v3, vcc_lo
	v_cmp_eq_u32_e32 vcc_lo, 0, v0
	s_waitcnt lgkmcnt(0)
	s_delay_alu instid0(VALU_DEP_2)
	v_dual_add_f32 v3, v4, v5 :: v_dual_lshlrev_b32 v4, 2, v6
	ds_bpermute_b32 v4, v4, v3
	s_and_b32 exec_lo, exec_lo, vcc_lo
	s_cbranch_execz .LBB401_7
; %bb.6:
	v_lshlrev_b64 v[0:1], 1, v[1:2]
	s_waitcnt lgkmcnt(0)
	v_add_f32_e32 v2, v3, v4
	s_delay_alu instid0(VALU_DEP_1) | instskip(NEXT) | instid1(VALU_DEP_3)
	v_cvt_f16_f32_e32 v2, v2
	v_add_co_u32 v0, vcc_lo, s2, v0
	s_delay_alu instid0(VALU_DEP_4)
	v_add_co_ci_u32_e32 v1, vcc_lo, s3, v1, vcc_lo
	global_store_b16 v[0:1], v2, off
.LBB401_7:
	s_nop 0
	s_sendmsg sendmsg(MSG_DEALLOC_VGPRS)
	s_endpgm
	.section	.rodata,"a",@progbits
	.p2align	6, 0x0
	.amdhsa_kernel _ZL28rocblas_dot_batched_4_kernelIiLi64ELi4ELb0EfDF16_PKPKDF16_EviT5_lT_lS4_lS5_liPT4_
		.amdhsa_group_segment_fixed_size 0
		.amdhsa_private_segment_fixed_size 0
		.amdhsa_kernarg_size 88
		.amdhsa_user_sgpr_count 15
		.amdhsa_user_sgpr_dispatch_ptr 0
		.amdhsa_user_sgpr_queue_ptr 0
		.amdhsa_user_sgpr_kernarg_segment_ptr 1
		.amdhsa_user_sgpr_dispatch_id 0
		.amdhsa_user_sgpr_private_segment_size 0
		.amdhsa_wavefront_size32 1
		.amdhsa_uses_dynamic_stack 0
		.amdhsa_enable_private_segment 0
		.amdhsa_system_sgpr_workgroup_id_x 1
		.amdhsa_system_sgpr_workgroup_id_y 0
		.amdhsa_system_sgpr_workgroup_id_z 0
		.amdhsa_system_sgpr_workgroup_info 0
		.amdhsa_system_vgpr_workitem_id 1
		.amdhsa_next_free_vgpr 12
		.amdhsa_next_free_sgpr 16
		.amdhsa_reserve_vcc 1
		.amdhsa_float_round_mode_32 0
		.amdhsa_float_round_mode_16_64 0
		.amdhsa_float_denorm_mode_32 3
		.amdhsa_float_denorm_mode_16_64 3
		.amdhsa_dx10_clamp 1
		.amdhsa_ieee_mode 1
		.amdhsa_fp16_overflow 0
		.amdhsa_workgroup_processor_mode 1
		.amdhsa_memory_ordered 1
		.amdhsa_forward_progress 0
		.amdhsa_shared_vgpr_count 0
		.amdhsa_exception_fp_ieee_invalid_op 0
		.amdhsa_exception_fp_denorm_src 0
		.amdhsa_exception_fp_ieee_div_zero 0
		.amdhsa_exception_fp_ieee_overflow 0
		.amdhsa_exception_fp_ieee_underflow 0
		.amdhsa_exception_fp_ieee_inexact 0
		.amdhsa_exception_int_div_zero 0
	.end_amdhsa_kernel
	.section	.text._ZL28rocblas_dot_batched_4_kernelIiLi64ELi4ELb0EfDF16_PKPKDF16_EviT5_lT_lS4_lS5_liPT4_,"axG",@progbits,_ZL28rocblas_dot_batched_4_kernelIiLi64ELi4ELb0EfDF16_PKPKDF16_EviT5_lT_lS4_lS5_liPT4_,comdat
.Lfunc_end401:
	.size	_ZL28rocblas_dot_batched_4_kernelIiLi64ELi4ELb0EfDF16_PKPKDF16_EviT5_lT_lS4_lS5_liPT4_, .Lfunc_end401-_ZL28rocblas_dot_batched_4_kernelIiLi64ELi4ELb0EfDF16_PKPKDF16_EviT5_lT_lS4_lS5_liPT4_
                                        ; -- End function
	.section	.AMDGPU.csdata,"",@progbits
; Kernel info:
; codeLenInByte = 732
; NumSgprs: 18
; NumVgprs: 12
; ScratchSize: 0
; MemoryBound: 0
; FloatMode: 240
; IeeeMode: 1
; LDSByteSize: 0 bytes/workgroup (compile time only)
; SGPRBlocks: 2
; VGPRBlocks: 1
; NumSGPRsForWavesPerEU: 18
; NumVGPRsForWavesPerEU: 12
; Occupancy: 16
; WaveLimiterHint : 0
; COMPUTE_PGM_RSRC2:SCRATCH_EN: 0
; COMPUTE_PGM_RSRC2:USER_SGPR: 15
; COMPUTE_PGM_RSRC2:TRAP_HANDLER: 0
; COMPUTE_PGM_RSRC2:TGID_X_EN: 1
; COMPUTE_PGM_RSRC2:TGID_Y_EN: 0
; COMPUTE_PGM_RSRC2:TGID_Z_EN: 0
; COMPUTE_PGM_RSRC2:TIDIG_COMP_CNT: 1
	.section	.text._ZL26rocblas_dot_kernel_inc1by2ILb1ELi1024ELi32ELb0EDF16_PKPKDF16_fEviT4_llS4_lliPT5_PT3_,"axG",@progbits,_ZL26rocblas_dot_kernel_inc1by2ILb1ELi1024ELi32ELb0EDF16_PKPKDF16_fEviT4_llS4_lliPT5_PT3_,comdat
	.globl	_ZL26rocblas_dot_kernel_inc1by2ILb1ELi1024ELi32ELb0EDF16_PKPKDF16_fEviT4_llS4_lliPT5_PT3_ ; -- Begin function _ZL26rocblas_dot_kernel_inc1by2ILb1ELi1024ELi32ELb0EDF16_PKPKDF16_fEviT4_llS4_lliPT5_PT3_
	.p2align	8
	.type	_ZL26rocblas_dot_kernel_inc1by2ILb1ELi1024ELi32ELb0EDF16_PKPKDF16_fEviT4_llS4_lliPT5_PT3_,@function
_ZL26rocblas_dot_kernel_inc1by2ILb1ELi1024ELi32ELb0EDF16_PKPKDF16_fEviT4_llS4_lliPT5_PT3_: ; @_ZL26rocblas_dot_kernel_inc1by2ILb1ELi1024ELi32ELb0EDF16_PKPKDF16_fEviT4_llS4_lliPT5_PT3_
; %bb.0:
	s_clause 0x1
	s_load_b128 s[8:11], s[0:1], 0x8
	s_load_b128 s[4:7], s[0:1], 0x20
	s_mov_b32 s2, s15
	s_mov_b32 s3, 0
	s_clause 0x1
	s_load_b32 s14, s[0:1], 0x0
	s_load_b64 s[12:13], s[0:1], 0x48
	s_lshl_b64 s[16:17], s[2:3], 3
	v_dual_mov_b32 v5, 0 :: v_dual_lshlrev_b32 v6, 1, v0
	s_waitcnt lgkmcnt(0)
	s_add_u32 s0, s8, s16
	s_addc_u32 s1, s9, s17
	s_add_u32 s4, s4, s16
	s_addc_u32 s5, s5, s17
	s_load_b64 s[8:9], s[0:1], 0x0
	s_load_b64 s[4:5], s[4:5], 0x0
	s_add_i32 s0, s14, -1
	s_mov_b32 s1, exec_lo
	v_cmpx_gt_i32_e64 s0, v6
	s_cbranch_execz .LBB402_4
; %bb.1:
	v_lshlrev_b32_e32 v3, 2, v0
	s_lshl_b64 s[16:17], s[6:7], 1
	v_mov_b32_e32 v5, 0
	s_waitcnt lgkmcnt(0)
	s_add_u32 s15, s4, s16
	s_addc_u32 s18, s5, s17
	s_lshl_b64 s[16:17], s[10:11], 1
	v_add_co_u32 v1, s15, s15, v3
	s_delay_alu instid0(VALU_DEP_1) | instskip(SKIP_3) | instid1(VALU_DEP_1)
	v_add_co_ci_u32_e64 v2, null, s18, 0, s15
	s_add_u32 s15, s8, s16
	s_addc_u32 s16, s9, s17
	v_add_co_u32 v3, s15, s15, v3
	v_add_co_ci_u32_e64 v4, null, s16, 0, s15
	s_mov_b32 s15, s3
	s_mov_b32 s16, s3
	.p2align	6
.LBB402_2:                              ; =>This Inner Loop Header: Depth=1
	global_load_b32 v7, v[1:2], off
	global_load_b32 v8, v[3:4], off
	v_add_co_u32 v1, vcc_lo, 0x1000, v1
	v_add_nc_u32_e32 v6, 0x800, v6
	v_add_co_ci_u32_e32 v2, vcc_lo, 0, v2, vcc_lo
	v_add_co_u32 v3, vcc_lo, 0x1000, v3
	v_add_co_ci_u32_e32 v4, vcc_lo, 0, v4, vcc_lo
	s_add_i32 s17, s16, 1
	s_cmp_gt_u32 s16, 30
	s_cselect_b32 s16, -1, 0
	s_waitcnt vmcnt(0)
	v_dot2acc_f32_f16 v5, v7, v8
	v_cmp_le_i32_e32 vcc_lo, s0, v6
	s_or_b32 s16, s16, vcc_lo
	s_delay_alu instid0(SALU_CYCLE_1) | instskip(NEXT) | instid1(SALU_CYCLE_1)
	s_and_b32 s16, exec_lo, s16
	s_or_b32 s15, s16, s15
	s_mov_b32 s16, s17
	s_and_not1_b32 exec_lo, exec_lo, s15
	s_cbranch_execnz .LBB402_2
; %bb.3:
	s_or_b32 exec_lo, exec_lo, s15
.LBB402_4:
	s_delay_alu instid0(SALU_CYCLE_1) | instskip(SKIP_3) | instid1(SALU_CYCLE_1)
	s_or_b32 exec_lo, exec_lo, s1
	v_cmp_eq_u32_e32 vcc_lo, s0, v6
	s_bitcmp1_b32 s14, 0
	s_cselect_b32 s1, -1, 0
	s_and_b32 s1, s1, vcc_lo
	s_delay_alu instid0(SALU_CYCLE_1)
	s_and_saveexec_b32 s14, s1
	s_cbranch_execz .LBB402_6
; %bb.5:
	s_lshl_b64 s[10:11], s[10:11], 1
	s_mov_b32 s1, 0
	s_waitcnt lgkmcnt(0)
	s_add_u32 s8, s8, s10
	s_addc_u32 s9, s9, s11
	s_lshl_b64 s[6:7], s[6:7], 1
	v_mov_b32_e32 v1, 0
	s_add_u32 s4, s4, s6
	s_addc_u32 s5, s5, s7
	s_lshl_b64 s[0:1], s[0:1], 1
	s_delay_alu instid0(SALU_CYCLE_1)
	s_add_u32 s4, s4, s0
	s_addc_u32 s5, s5, s1
	s_add_u32 s0, s8, s0
	s_addc_u32 s1, s9, s1
	s_clause 0x1
	global_load_u16 v2, v1, s[4:5]
	global_load_u16 v1, v1, s[0:1]
	s_waitcnt vmcnt(0)
	v_fma_mix_f32 v5, v2, v1, v5 op_sel_hi:[1,1,0]
.LBB402_6:
	s_or_b32 exec_lo, exec_lo, s14
	v_and_b32_e32 v7, 31, v0
	v_cmp_gt_u32_e32 vcc_lo, 32, v0
	s_delay_alu instid0(VALU_DEP_2)
	v_lshlrev_b32_e32 v1, 2, v7
	s_and_saveexec_b32 s0, vcc_lo
	s_cbranch_execz .LBB402_8
; %bb.7:
	v_mov_b32_e32 v2, 0
	ds_store_b32 v1, v2
.LBB402_8:
	s_or_b32 exec_lo, exec_lo, s0
	v_mbcnt_lo_u32_b32 v6, -1, 0
	s_mov_b32 s1, exec_lo
	s_waitcnt lgkmcnt(0)
	s_barrier
	buffer_gl0_inv
	v_cmp_gt_u32_e64 s0, 16, v6
	s_delay_alu instid0(VALU_DEP_1) | instskip(SKIP_1) | instid1(VALU_DEP_2)
	v_cndmask_b32_e64 v2, 0, 1, s0
	v_cmp_gt_u32_e64 s0, 24, v6
	v_lshlrev_b32_e32 v2, 4, v2
	s_delay_alu instid0(VALU_DEP_2) | instskip(SKIP_1) | instid1(VALU_DEP_3)
	v_cndmask_b32_e64 v3, 0, 1, s0
	v_cmp_gt_u32_e64 s0, 28, v6
	v_add_lshl_u32 v2, v2, v6, 2
	ds_bpermute_b32 v4, v2, v5
	s_waitcnt lgkmcnt(0)
	v_add_f32_e32 v5, v5, v4
	v_lshlrev_b32_e32 v3, 3, v3
	v_cndmask_b32_e64 v4, 0, 1, s0
	v_cmp_gt_u32_e64 s0, 30, v6
	s_delay_alu instid0(VALU_DEP_3) | instskip(NEXT) | instid1(VALU_DEP_3)
	v_add_lshl_u32 v3, v3, v6, 2
	v_lshlrev_b32_e32 v4, 2, v4
	ds_bpermute_b32 v8, v3, v5
	v_add_lshl_u32 v4, v4, v6, 2
	s_waitcnt lgkmcnt(0)
	v_add_f32_e32 v8, v5, v8
	v_cndmask_b32_e64 v5, 0, 1, s0
	v_cmp_ne_u32_e64 s0, 31, v6
	ds_bpermute_b32 v9, v4, v8
	v_lshlrev_b32_e32 v5, 1, v5
	s_delay_alu instid0(VALU_DEP_1) | instskip(SKIP_1) | instid1(VALU_DEP_1)
	v_add_lshl_u32 v5, v5, v6, 2
	v_add_co_ci_u32_e64 v6, s0, 0, v6, s0
	v_lshlrev_b32_e32 v6, 2, v6
	s_waitcnt lgkmcnt(0)
	v_add_f32_e32 v8, v8, v9
	ds_bpermute_b32 v9, v5, v8
	s_waitcnt lgkmcnt(0)
	v_add_f32_e32 v8, v8, v9
	ds_bpermute_b32 v9, v6, v8
	v_cmpx_eq_u32_e32 0, v7
	s_cbranch_execz .LBB402_10
; %bb.9:
	v_lshrrev_b32_e32 v7, 3, v0
	s_waitcnt lgkmcnt(0)
	s_delay_alu instid0(VALU_DEP_1)
	v_dual_add_f32 v8, v8, v9 :: v_dual_and_b32 v7, 0x7c, v7
	ds_store_b32 v7, v8
.LBB402_10:
	s_or_b32 exec_lo, exec_lo, s1
	v_mov_b32_e32 v7, 0
	s_waitcnt lgkmcnt(0)
	s_barrier
	buffer_gl0_inv
	s_and_saveexec_b32 s0, vcc_lo
	s_cbranch_execz .LBB402_12
; %bb.11:
	ds_load_b32 v7, v1
.LBB402_12:
	s_or_b32 exec_lo, exec_lo, s0
	s_and_saveexec_b32 s0, vcc_lo
	s_cbranch_execz .LBB402_14
; %bb.13:
	s_waitcnt lgkmcnt(0)
	ds_bpermute_b32 v1, v2, v7
	s_waitcnt lgkmcnt(0)
	v_add_f32_e32 v1, v7, v1
	ds_bpermute_b32 v2, v3, v1
	s_waitcnt lgkmcnt(0)
	v_add_f32_e32 v1, v1, v2
	;; [unrolled: 3-line block ×5, first 2 shown]
.LBB402_14:
	s_or_b32 exec_lo, exec_lo, s0
	s_delay_alu instid0(SALU_CYCLE_1)
	s_mov_b32 s0, exec_lo
	v_cmpx_eq_u32_e32 0, v0
	s_cbranch_execz .LBB402_16
; %bb.15:
	s_waitcnt lgkmcnt(0)
	v_cvt_f16_f32_e32 v0, v7
	s_lshl_b64 s[0:1], s[2:3], 1
	v_mov_b32_e32 v1, 0
	s_add_u32 s0, s12, s0
	s_addc_u32 s1, s13, s1
	global_store_b16 v1, v0, s[0:1]
.LBB402_16:
	s_nop 0
	s_sendmsg sendmsg(MSG_DEALLOC_VGPRS)
	s_endpgm
	.section	.rodata,"a",@progbits
	.p2align	6, 0x0
	.amdhsa_kernel _ZL26rocblas_dot_kernel_inc1by2ILb1ELi1024ELi32ELb0EDF16_PKPKDF16_fEviT4_llS4_lliPT5_PT3_
		.amdhsa_group_segment_fixed_size 128
		.amdhsa_private_segment_fixed_size 0
		.amdhsa_kernarg_size 80
		.amdhsa_user_sgpr_count 14
		.amdhsa_user_sgpr_dispatch_ptr 0
		.amdhsa_user_sgpr_queue_ptr 0
		.amdhsa_user_sgpr_kernarg_segment_ptr 1
		.amdhsa_user_sgpr_dispatch_id 0
		.amdhsa_user_sgpr_private_segment_size 0
		.amdhsa_wavefront_size32 1
		.amdhsa_uses_dynamic_stack 0
		.amdhsa_enable_private_segment 0
		.amdhsa_system_sgpr_workgroup_id_x 1
		.amdhsa_system_sgpr_workgroup_id_y 0
		.amdhsa_system_sgpr_workgroup_id_z 1
		.amdhsa_system_sgpr_workgroup_info 0
		.amdhsa_system_vgpr_workitem_id 0
		.amdhsa_next_free_vgpr 10
		.amdhsa_next_free_sgpr 19
		.amdhsa_reserve_vcc 1
		.amdhsa_float_round_mode_32 0
		.amdhsa_float_round_mode_16_64 0
		.amdhsa_float_denorm_mode_32 3
		.amdhsa_float_denorm_mode_16_64 3
		.amdhsa_dx10_clamp 1
		.amdhsa_ieee_mode 1
		.amdhsa_fp16_overflow 0
		.amdhsa_workgroup_processor_mode 1
		.amdhsa_memory_ordered 1
		.amdhsa_forward_progress 0
		.amdhsa_shared_vgpr_count 0
		.amdhsa_exception_fp_ieee_invalid_op 0
		.amdhsa_exception_fp_denorm_src 0
		.amdhsa_exception_fp_ieee_div_zero 0
		.amdhsa_exception_fp_ieee_overflow 0
		.amdhsa_exception_fp_ieee_underflow 0
		.amdhsa_exception_fp_ieee_inexact 0
		.amdhsa_exception_int_div_zero 0
	.end_amdhsa_kernel
	.section	.text._ZL26rocblas_dot_kernel_inc1by2ILb1ELi1024ELi32ELb0EDF16_PKPKDF16_fEviT4_llS4_lliPT5_PT3_,"axG",@progbits,_ZL26rocblas_dot_kernel_inc1by2ILb1ELi1024ELi32ELb0EDF16_PKPKDF16_fEviT4_llS4_lliPT5_PT3_,comdat
.Lfunc_end402:
	.size	_ZL26rocblas_dot_kernel_inc1by2ILb1ELi1024ELi32ELb0EDF16_PKPKDF16_fEviT4_llS4_lliPT5_PT3_, .Lfunc_end402-_ZL26rocblas_dot_kernel_inc1by2ILb1ELi1024ELi32ELb0EDF16_PKPKDF16_fEviT4_llS4_lliPT5_PT3_
                                        ; -- End function
	.section	.AMDGPU.csdata,"",@progbits
; Kernel info:
; codeLenInByte = 968
; NumSgprs: 21
; NumVgprs: 10
; ScratchSize: 0
; MemoryBound: 0
; FloatMode: 240
; IeeeMode: 1
; LDSByteSize: 128 bytes/workgroup (compile time only)
; SGPRBlocks: 2
; VGPRBlocks: 1
; NumSGPRsForWavesPerEU: 21
; NumVGPRsForWavesPerEU: 10
; Occupancy: 16
; WaveLimiterHint : 1
; COMPUTE_PGM_RSRC2:SCRATCH_EN: 0
; COMPUTE_PGM_RSRC2:USER_SGPR: 14
; COMPUTE_PGM_RSRC2:TRAP_HANDLER: 0
; COMPUTE_PGM_RSRC2:TGID_X_EN: 1
; COMPUTE_PGM_RSRC2:TGID_Y_EN: 0
; COMPUTE_PGM_RSRC2:TGID_Z_EN: 1
; COMPUTE_PGM_RSRC2:TIDIG_COMP_CNT: 0
	.section	.text._ZL18rocblas_dot_kernelIiLb1ELi1024ELi32ELb0EDF16_PKPKDF16_fEviT5_lT_lS4_lS5_liPT6_PT4_,"axG",@progbits,_ZL18rocblas_dot_kernelIiLb1ELi1024ELi32ELb0EDF16_PKPKDF16_fEviT5_lT_lS4_lS5_liPT6_PT4_,comdat
	.globl	_ZL18rocblas_dot_kernelIiLb1ELi1024ELi32ELb0EDF16_PKPKDF16_fEviT5_lT_lS4_lS5_liPT6_PT4_ ; -- Begin function _ZL18rocblas_dot_kernelIiLb1ELi1024ELi32ELb0EDF16_PKPKDF16_fEviT5_lT_lS4_lS5_liPT6_PT4_
	.p2align	8
	.type	_ZL18rocblas_dot_kernelIiLb1ELi1024ELi32ELb0EDF16_PKPKDF16_fEviT5_lT_lS4_lS5_liPT6_PT4_,@function
_ZL18rocblas_dot_kernelIiLb1ELi1024ELi32ELb0EDF16_PKPKDF16_fEviT5_lT_lS4_lS5_liPT6_PT4_: ; @_ZL18rocblas_dot_kernelIiLb1ELi1024ELi32ELb0EDF16_PKPKDF16_fEviT5_lT_lS4_lS5_liPT6_PT4_
; %bb.0:
	s_clause 0x1
	s_load_b32 s10, s[0:1], 0x0
	s_load_b64 s[2:3], s[0:1], 0x58
	v_mov_b32_e32 v5, 0
	s_mov_b32 s8, s15
	s_mov_b32 s9, 0
	s_mov_b32 s11, exec_lo
	s_waitcnt lgkmcnt(0)
	v_cmpx_gt_i32_e64 s10, v0
	s_cbranch_execz .LBB403_4
; %bb.1:
	s_clause 0x4
	s_load_b128 s[12:15], s[0:1], 0x8
	s_load_b128 s[4:7], s[0:1], 0x28
	s_load_b32 s18, s[0:1], 0x18
	s_load_b32 s20, s[0:1], 0x38
	;; [unrolled: 1-line block ×3, first 2 shown]
	s_lshl_b64 s[0:1], s[8:9], 3
	v_mov_b32_e32 v5, 0
	s_waitcnt lgkmcnt(0)
	s_add_u32 s12, s12, s0
	s_addc_u32 s13, s13, s1
	s_add_u32 s0, s4, s0
	s_load_b64 s[12:13], s[12:13], 0x0
	s_addc_u32 s1, s5, s1
	v_mad_i64_i32 v[1:2], null, s18, v0, 0
	s_load_b64 s[16:17], s[0:1], 0x0
	v_mad_i64_i32 v[3:4], null, s20, v0, 0
	s_lshl_b32 s1, s19, 10
	s_lshl_b64 s[4:5], s[14:15], 1
	s_mul_hi_i32 s15, s18, s1
	s_delay_alu instid0(VALU_DEP_2) | instskip(SKIP_2) | instid1(VALU_DEP_3)
	v_lshlrev_b64 v[1:2], 1, v[1:2]
	s_mul_i32 s14, s18, s1
	v_or_b32_e32 v6, s1, v0
	v_lshlrev_b64 v[3:4], 1, v[3:4]
	s_mul_hi_i32 s19, s20, s1
	s_mul_i32 s18, s20, s1
	s_waitcnt lgkmcnt(0)
	s_add_u32 s0, s12, s4
	s_addc_u32 s12, s13, s5
	s_lshl_b64 s[6:7], s[6:7], 1
	s_lshl_b64 s[4:5], s[14:15], 1
	v_add_co_u32 v1, vcc_lo, s0, v1
	s_add_u32 s0, s16, s6
	v_add_co_ci_u32_e32 v2, vcc_lo, s12, v2, vcc_lo
	s_addc_u32 s6, s17, s7
	v_add_co_u32 v3, vcc_lo, s0, v3
	v_add_co_ci_u32_e32 v4, vcc_lo, s6, v4, vcc_lo
	s_lshl_b64 s[6:7], s[18:19], 1
	s_mov_b32 s12, s9
	s_mov_b32 s13, s9
	.p2align	6
.LBB403_2:                              ; =>This Inner Loop Header: Depth=1
	global_load_u16 v7, v[3:4], off
	global_load_u16 v8, v[1:2], off
	v_add_co_u32 v1, s0, v1, s4
	s_delay_alu instid0(VALU_DEP_1)
	v_add_co_ci_u32_e64 v2, s0, s5, v2, s0
	s_add_i32 s14, s13, 1
	v_cmp_le_i32_e32 vcc_lo, s10, v6
	v_add_co_u32 v3, s0, v3, s6
	s_cmp_gt_u32 s13, 30
	v_add_co_ci_u32_e64 v4, s0, s7, v4, s0
	s_cselect_b32 s0, -1, 0
	v_add_nc_u32_e32 v6, s1, v6
	s_or_b32 s0, s0, vcc_lo
	s_mov_b32 s13, s14
	s_and_b32 s0, exec_lo, s0
	s_delay_alu instid0(SALU_CYCLE_1)
	s_or_b32 s12, s0, s12
	s_waitcnt vmcnt(0)
	v_fma_mix_f32 v5, v7, v8, v5 op_sel_hi:[1,1,0]
	s_and_not1_b32 exec_lo, exec_lo, s12
	s_cbranch_execnz .LBB403_2
; %bb.3:
	s_or_b32 exec_lo, exec_lo, s12
.LBB403_4:
	s_delay_alu instid0(SALU_CYCLE_1) | instskip(SKIP_2) | instid1(VALU_DEP_2)
	s_or_b32 exec_lo, exec_lo, s11
	v_and_b32_e32 v7, 31, v0
	v_cmp_gt_u32_e32 vcc_lo, 32, v0
	v_lshlrev_b32_e32 v1, 2, v7
	s_and_saveexec_b32 s0, vcc_lo
	s_cbranch_execz .LBB403_6
; %bb.5:
	v_mov_b32_e32 v2, 0
	ds_store_b32 v1, v2
.LBB403_6:
	s_or_b32 exec_lo, exec_lo, s0
	v_mbcnt_lo_u32_b32 v6, -1, 0
	s_mov_b32 s1, exec_lo
	s_waitcnt lgkmcnt(0)
	s_barrier
	buffer_gl0_inv
	v_cmp_gt_u32_e64 s0, 16, v6
	s_delay_alu instid0(VALU_DEP_1) | instskip(SKIP_1) | instid1(VALU_DEP_2)
	v_cndmask_b32_e64 v2, 0, 1, s0
	v_cmp_gt_u32_e64 s0, 24, v6
	v_lshlrev_b32_e32 v2, 4, v2
	s_delay_alu instid0(VALU_DEP_2) | instskip(SKIP_1) | instid1(VALU_DEP_3)
	v_cndmask_b32_e64 v3, 0, 1, s0
	v_cmp_gt_u32_e64 s0, 28, v6
	v_add_lshl_u32 v2, v2, v6, 2
	ds_bpermute_b32 v4, v2, v5
	s_waitcnt lgkmcnt(0)
	v_add_f32_e32 v5, v5, v4
	v_lshlrev_b32_e32 v3, 3, v3
	v_cndmask_b32_e64 v4, 0, 1, s0
	v_cmp_gt_u32_e64 s0, 30, v6
	s_delay_alu instid0(VALU_DEP_3) | instskip(NEXT) | instid1(VALU_DEP_3)
	v_add_lshl_u32 v3, v3, v6, 2
	v_lshlrev_b32_e32 v4, 2, v4
	ds_bpermute_b32 v8, v3, v5
	v_add_lshl_u32 v4, v4, v6, 2
	s_waitcnt lgkmcnt(0)
	v_add_f32_e32 v8, v5, v8
	v_cndmask_b32_e64 v5, 0, 1, s0
	v_cmp_ne_u32_e64 s0, 31, v6
	ds_bpermute_b32 v9, v4, v8
	v_lshlrev_b32_e32 v5, 1, v5
	s_delay_alu instid0(VALU_DEP_1) | instskip(SKIP_1) | instid1(VALU_DEP_1)
	v_add_lshl_u32 v5, v5, v6, 2
	v_add_co_ci_u32_e64 v6, s0, 0, v6, s0
	v_lshlrev_b32_e32 v6, 2, v6
	s_waitcnt lgkmcnt(0)
	v_add_f32_e32 v8, v8, v9
	ds_bpermute_b32 v9, v5, v8
	s_waitcnt lgkmcnt(0)
	v_add_f32_e32 v8, v8, v9
	ds_bpermute_b32 v9, v6, v8
	v_cmpx_eq_u32_e32 0, v7
	s_cbranch_execz .LBB403_8
; %bb.7:
	v_lshrrev_b32_e32 v7, 3, v0
	s_waitcnt lgkmcnt(0)
	s_delay_alu instid0(VALU_DEP_1)
	v_dual_add_f32 v8, v8, v9 :: v_dual_and_b32 v7, 0x7c, v7
	ds_store_b32 v7, v8
.LBB403_8:
	s_or_b32 exec_lo, exec_lo, s1
	v_mov_b32_e32 v7, 0
	s_waitcnt lgkmcnt(0)
	s_barrier
	buffer_gl0_inv
	s_and_saveexec_b32 s0, vcc_lo
	s_cbranch_execz .LBB403_10
; %bb.9:
	ds_load_b32 v7, v1
.LBB403_10:
	s_or_b32 exec_lo, exec_lo, s0
	s_and_saveexec_b32 s0, vcc_lo
	s_cbranch_execz .LBB403_12
; %bb.11:
	s_waitcnt lgkmcnt(0)
	ds_bpermute_b32 v1, v2, v7
	s_waitcnt lgkmcnt(0)
	v_add_f32_e32 v1, v7, v1
	ds_bpermute_b32 v2, v3, v1
	s_waitcnt lgkmcnt(0)
	v_add_f32_e32 v1, v1, v2
	;; [unrolled: 3-line block ×5, first 2 shown]
.LBB403_12:
	s_or_b32 exec_lo, exec_lo, s0
	s_delay_alu instid0(SALU_CYCLE_1)
	s_mov_b32 s0, exec_lo
	v_cmpx_eq_u32_e32 0, v0
	s_cbranch_execz .LBB403_14
; %bb.13:
	s_waitcnt lgkmcnt(0)
	v_cvt_f16_f32_e32 v0, v7
	s_lshl_b64 s[0:1], s[8:9], 1
	v_mov_b32_e32 v1, 0
	s_add_u32 s0, s2, s0
	s_addc_u32 s1, s3, s1
	global_store_b16 v1, v0, s[0:1]
.LBB403_14:
	s_nop 0
	s_sendmsg sendmsg(MSG_DEALLOC_VGPRS)
	s_endpgm
	.section	.rodata,"a",@progbits
	.p2align	6, 0x0
	.amdhsa_kernel _ZL18rocblas_dot_kernelIiLb1ELi1024ELi32ELb0EDF16_PKPKDF16_fEviT5_lT_lS4_lS5_liPT6_PT4_
		.amdhsa_group_segment_fixed_size 128
		.amdhsa_private_segment_fixed_size 0
		.amdhsa_kernarg_size 352
		.amdhsa_user_sgpr_count 14
		.amdhsa_user_sgpr_dispatch_ptr 0
		.amdhsa_user_sgpr_queue_ptr 0
		.amdhsa_user_sgpr_kernarg_segment_ptr 1
		.amdhsa_user_sgpr_dispatch_id 0
		.amdhsa_user_sgpr_private_segment_size 0
		.amdhsa_wavefront_size32 1
		.amdhsa_uses_dynamic_stack 0
		.amdhsa_enable_private_segment 0
		.amdhsa_system_sgpr_workgroup_id_x 1
		.amdhsa_system_sgpr_workgroup_id_y 0
		.amdhsa_system_sgpr_workgroup_id_z 1
		.amdhsa_system_sgpr_workgroup_info 0
		.amdhsa_system_vgpr_workitem_id 0
		.amdhsa_next_free_vgpr 10
		.amdhsa_next_free_sgpr 21
		.amdhsa_reserve_vcc 1
		.amdhsa_float_round_mode_32 0
		.amdhsa_float_round_mode_16_64 0
		.amdhsa_float_denorm_mode_32 3
		.amdhsa_float_denorm_mode_16_64 3
		.amdhsa_dx10_clamp 1
		.amdhsa_ieee_mode 1
		.amdhsa_fp16_overflow 0
		.amdhsa_workgroup_processor_mode 1
		.amdhsa_memory_ordered 1
		.amdhsa_forward_progress 0
		.amdhsa_shared_vgpr_count 0
		.amdhsa_exception_fp_ieee_invalid_op 0
		.amdhsa_exception_fp_denorm_src 0
		.amdhsa_exception_fp_ieee_div_zero 0
		.amdhsa_exception_fp_ieee_overflow 0
		.amdhsa_exception_fp_ieee_underflow 0
		.amdhsa_exception_fp_ieee_inexact 0
		.amdhsa_exception_int_div_zero 0
	.end_amdhsa_kernel
	.section	.text._ZL18rocblas_dot_kernelIiLb1ELi1024ELi32ELb0EDF16_PKPKDF16_fEviT5_lT_lS4_lS5_liPT6_PT4_,"axG",@progbits,_ZL18rocblas_dot_kernelIiLb1ELi1024ELi32ELb0EDF16_PKPKDF16_fEviT5_lT_lS4_lS5_liPT6_PT4_,comdat
.Lfunc_end403:
	.size	_ZL18rocblas_dot_kernelIiLb1ELi1024ELi32ELb0EDF16_PKPKDF16_fEviT5_lT_lS4_lS5_liPT6_PT4_, .Lfunc_end403-_ZL18rocblas_dot_kernelIiLb1ELi1024ELi32ELb0EDF16_PKPKDF16_fEviT5_lT_lS4_lS5_liPT6_PT4_
                                        ; -- End function
	.section	.AMDGPU.csdata,"",@progbits
; Kernel info:
; codeLenInByte = 916
; NumSgprs: 23
; NumVgprs: 10
; ScratchSize: 0
; MemoryBound: 0
; FloatMode: 240
; IeeeMode: 1
; LDSByteSize: 128 bytes/workgroup (compile time only)
; SGPRBlocks: 2
; VGPRBlocks: 1
; NumSGPRsForWavesPerEU: 23
; NumVGPRsForWavesPerEU: 10
; Occupancy: 16
; WaveLimiterHint : 0
; COMPUTE_PGM_RSRC2:SCRATCH_EN: 0
; COMPUTE_PGM_RSRC2:USER_SGPR: 14
; COMPUTE_PGM_RSRC2:TRAP_HANDLER: 0
; COMPUTE_PGM_RSRC2:TGID_X_EN: 1
; COMPUTE_PGM_RSRC2:TGID_Y_EN: 0
; COMPUTE_PGM_RSRC2:TGID_Z_EN: 1
; COMPUTE_PGM_RSRC2:TIDIG_COMP_CNT: 0
	.section	.text._ZL24rocblas_dot_kernel_magsqIiLb1ELi1024ELi32ELb0EDF16_PKPKDF16_fEviT5_lT_liPT6_PT4_,"axG",@progbits,_ZL24rocblas_dot_kernel_magsqIiLb1ELi1024ELi32ELb0EDF16_PKPKDF16_fEviT5_lT_liPT6_PT4_,comdat
	.globl	_ZL24rocblas_dot_kernel_magsqIiLb1ELi1024ELi32ELb0EDF16_PKPKDF16_fEviT5_lT_liPT6_PT4_ ; -- Begin function _ZL24rocblas_dot_kernel_magsqIiLb1ELi1024ELi32ELb0EDF16_PKPKDF16_fEviT5_lT_liPT6_PT4_
	.p2align	8
	.type	_ZL24rocblas_dot_kernel_magsqIiLb1ELi1024ELi32ELb0EDF16_PKPKDF16_fEviT5_lT_liPT6_PT4_,@function
_ZL24rocblas_dot_kernel_magsqIiLb1ELi1024ELi32ELb0EDF16_PKPKDF16_fEviT5_lT_liPT6_PT4_: ; @_ZL24rocblas_dot_kernel_magsqIiLb1ELi1024ELi32ELb0EDF16_PKPKDF16_fEviT5_lT_liPT6_PT4_
; %bb.0:
	s_clause 0x1
	s_load_b32 s8, s[0:1], 0x0
	s_load_b64 s[2:3], s[0:1], 0x38
	v_mov_b32_e32 v3, 0
	s_mov_b32 s4, s15
	s_mov_b32 s5, 0
	s_mov_b32 s9, exec_lo
	s_waitcnt lgkmcnt(0)
	v_cmpx_gt_i32_e64 s8, v0
	s_cbranch_execz .LBB404_4
; %bb.1:
	s_clause 0x2
	s_load_b128 s[12:15], s[0:1], 0x8
	s_load_b32 s16, s[0:1], 0x18
	s_load_b32 s10, s[0:1], 0x40
	s_lshl_b64 s[0:1], s[4:5], 3
	v_mov_b32_e32 v3, 0
	s_waitcnt lgkmcnt(0)
	s_add_u32 s0, s12, s0
	s_addc_u32 s1, s13, s1
	v_mad_i64_i32 v[1:2], null, s16, v0, 0
	s_load_b64 s[6:7], s[0:1], 0x0
	s_lshl_b32 s1, s10, 10
	s_lshl_b64 s[10:11], s[14:15], 1
	v_or_b32_e32 v4, s1, v0
	s_mul_hi_i32 s13, s16, s1
	s_mul_i32 s12, s16, s1
	s_delay_alu instid0(VALU_DEP_2) | instskip(SKIP_3) | instid1(VALU_DEP_1)
	v_lshlrev_b64 v[1:2], 1, v[1:2]
	s_waitcnt lgkmcnt(0)
	s_add_u32 s0, s6, s10
	s_addc_u32 s6, s7, s11
	v_add_co_u32 v1, vcc_lo, s0, v1
	s_delay_alu instid0(VALU_DEP_2)
	v_add_co_ci_u32_e32 v2, vcc_lo, s6, v2, vcc_lo
	s_lshl_b64 s[6:7], s[12:13], 1
	s_mov_b32 s10, s5
	s_mov_b32 s11, s5
	.p2align	6
.LBB404_2:                              ; =>This Inner Loop Header: Depth=1
	global_load_u16 v5, v[1:2], off
	s_add_i32 s12, s11, 1
	v_cmp_le_i32_e32 vcc_lo, s8, v4
	v_add_co_u32 v1, s0, v1, s6
	s_cmp_gt_u32 s11, 30
	v_add_co_ci_u32_e64 v2, s0, s7, v2, s0
	s_cselect_b32 s0, -1, 0
	v_add_nc_u32_e32 v4, s1, v4
	s_or_b32 s0, s0, vcc_lo
	s_mov_b32 s11, s12
	s_and_b32 s0, exec_lo, s0
	s_delay_alu instid0(SALU_CYCLE_1)
	s_or_b32 s10, s0, s10
	s_waitcnt vmcnt(0)
	v_fma_mix_f32 v3, v5, v5, v3 op_sel_hi:[1,1,0]
	s_and_not1_b32 exec_lo, exec_lo, s10
	s_cbranch_execnz .LBB404_2
; %bb.3:
	s_or_b32 exec_lo, exec_lo, s10
.LBB404_4:
	s_delay_alu instid0(SALU_CYCLE_1) | instskip(SKIP_2) | instid1(VALU_DEP_2)
	s_or_b32 exec_lo, exec_lo, s9
	v_and_b32_e32 v7, 31, v0
	v_cmp_gt_u32_e32 vcc_lo, 32, v0
	v_lshlrev_b32_e32 v1, 2, v7
	s_and_saveexec_b32 s0, vcc_lo
	s_cbranch_execz .LBB404_6
; %bb.5:
	v_mov_b32_e32 v2, 0
	ds_store_b32 v1, v2
.LBB404_6:
	s_or_b32 exec_lo, exec_lo, s0
	v_mbcnt_lo_u32_b32 v6, -1, 0
	s_mov_b32 s1, exec_lo
	s_waitcnt lgkmcnt(0)
	s_barrier
	buffer_gl0_inv
	v_cmp_gt_u32_e64 s0, 16, v6
	s_delay_alu instid0(VALU_DEP_1) | instskip(SKIP_1) | instid1(VALU_DEP_2)
	v_cndmask_b32_e64 v2, 0, 1, s0
	v_cmp_gt_u32_e64 s0, 24, v6
	v_lshlrev_b32_e32 v2, 4, v2
	s_delay_alu instid0(VALU_DEP_2) | instskip(SKIP_1) | instid1(VALU_DEP_3)
	v_cndmask_b32_e64 v4, 0, 1, s0
	v_cmp_gt_u32_e64 s0, 28, v6
	v_add_lshl_u32 v2, v2, v6, 2
	s_delay_alu instid0(VALU_DEP_3)
	v_lshlrev_b32_e32 v4, 3, v4
	ds_bpermute_b32 v5, v2, v3
	v_add_lshl_u32 v4, v4, v6, 2
	s_waitcnt lgkmcnt(0)
	v_add_f32_e32 v5, v3, v5
	v_cndmask_b32_e64 v3, 0, 1, s0
	v_cmp_gt_u32_e64 s0, 30, v6
	ds_bpermute_b32 v8, v4, v5
	s_waitcnt lgkmcnt(0)
	v_dual_add_f32 v8, v5, v8 :: v_dual_lshlrev_b32 v3, 2, v3
	s_delay_alu instid0(VALU_DEP_1) | instskip(SKIP_4) | instid1(VALU_DEP_1)
	v_add_lshl_u32 v3, v3, v6, 2
	v_cndmask_b32_e64 v5, 0, 1, s0
	v_cmp_ne_u32_e64 s0, 31, v6
	ds_bpermute_b32 v9, v3, v8
	v_lshlrev_b32_e32 v5, 1, v5
	v_add_lshl_u32 v5, v5, v6, 2
	v_add_co_ci_u32_e64 v6, s0, 0, v6, s0
	s_delay_alu instid0(VALU_DEP_1)
	v_lshlrev_b32_e32 v6, 2, v6
	s_waitcnt lgkmcnt(0)
	v_add_f32_e32 v8, v8, v9
	ds_bpermute_b32 v9, v5, v8
	s_waitcnt lgkmcnt(0)
	v_add_f32_e32 v8, v8, v9
	ds_bpermute_b32 v9, v6, v8
	v_cmpx_eq_u32_e32 0, v7
	s_cbranch_execz .LBB404_8
; %bb.7:
	v_lshrrev_b32_e32 v7, 3, v0
	s_waitcnt lgkmcnt(0)
	s_delay_alu instid0(VALU_DEP_1)
	v_dual_add_f32 v8, v8, v9 :: v_dual_and_b32 v7, 0x7c, v7
	ds_store_b32 v7, v8
.LBB404_8:
	s_or_b32 exec_lo, exec_lo, s1
	v_mov_b32_e32 v7, 0
	s_waitcnt lgkmcnt(0)
	s_barrier
	buffer_gl0_inv
	s_and_saveexec_b32 s0, vcc_lo
	s_cbranch_execz .LBB404_10
; %bb.9:
	ds_load_b32 v7, v1
.LBB404_10:
	s_or_b32 exec_lo, exec_lo, s0
	s_and_saveexec_b32 s0, vcc_lo
	s_cbranch_execz .LBB404_12
; %bb.11:
	s_waitcnt lgkmcnt(0)
	ds_bpermute_b32 v1, v2, v7
	s_waitcnt lgkmcnt(0)
	v_add_f32_e32 v1, v7, v1
	ds_bpermute_b32 v2, v4, v1
	s_waitcnt lgkmcnt(0)
	v_add_f32_e32 v1, v1, v2
	;; [unrolled: 3-line block ×5, first 2 shown]
.LBB404_12:
	s_or_b32 exec_lo, exec_lo, s0
	s_delay_alu instid0(SALU_CYCLE_1)
	s_mov_b32 s0, exec_lo
	v_cmpx_eq_u32_e32 0, v0
	s_cbranch_execz .LBB404_14
; %bb.13:
	s_waitcnt lgkmcnt(0)
	v_cvt_f16_f32_e32 v0, v7
	s_lshl_b64 s[0:1], s[4:5], 1
	v_mov_b32_e32 v1, 0
	s_add_u32 s0, s2, s0
	s_addc_u32 s1, s3, s1
	global_store_b16 v1, v0, s[0:1]
.LBB404_14:
	s_nop 0
	s_sendmsg sendmsg(MSG_DEALLOC_VGPRS)
	s_endpgm
	.section	.rodata,"a",@progbits
	.p2align	6, 0x0
	.amdhsa_kernel _ZL24rocblas_dot_kernel_magsqIiLb1ELi1024ELi32ELb0EDF16_PKPKDF16_fEviT5_lT_liPT6_PT4_
		.amdhsa_group_segment_fixed_size 128
		.amdhsa_private_segment_fixed_size 0
		.amdhsa_kernarg_size 320
		.amdhsa_user_sgpr_count 14
		.amdhsa_user_sgpr_dispatch_ptr 0
		.amdhsa_user_sgpr_queue_ptr 0
		.amdhsa_user_sgpr_kernarg_segment_ptr 1
		.amdhsa_user_sgpr_dispatch_id 0
		.amdhsa_user_sgpr_private_segment_size 0
		.amdhsa_wavefront_size32 1
		.amdhsa_uses_dynamic_stack 0
		.amdhsa_enable_private_segment 0
		.amdhsa_system_sgpr_workgroup_id_x 1
		.amdhsa_system_sgpr_workgroup_id_y 0
		.amdhsa_system_sgpr_workgroup_id_z 1
		.amdhsa_system_sgpr_workgroup_info 0
		.amdhsa_system_vgpr_workitem_id 0
		.amdhsa_next_free_vgpr 10
		.amdhsa_next_free_sgpr 17
		.amdhsa_reserve_vcc 1
		.amdhsa_float_round_mode_32 0
		.amdhsa_float_round_mode_16_64 0
		.amdhsa_float_denorm_mode_32 3
		.amdhsa_float_denorm_mode_16_64 3
		.amdhsa_dx10_clamp 1
		.amdhsa_ieee_mode 1
		.amdhsa_fp16_overflow 0
		.amdhsa_workgroup_processor_mode 1
		.amdhsa_memory_ordered 1
		.amdhsa_forward_progress 0
		.amdhsa_shared_vgpr_count 0
		.amdhsa_exception_fp_ieee_invalid_op 0
		.amdhsa_exception_fp_denorm_src 0
		.amdhsa_exception_fp_ieee_div_zero 0
		.amdhsa_exception_fp_ieee_overflow 0
		.amdhsa_exception_fp_ieee_underflow 0
		.amdhsa_exception_fp_ieee_inexact 0
		.amdhsa_exception_int_div_zero 0
	.end_amdhsa_kernel
	.section	.text._ZL24rocblas_dot_kernel_magsqIiLb1ELi1024ELi32ELb0EDF16_PKPKDF16_fEviT5_lT_liPT6_PT4_,"axG",@progbits,_ZL24rocblas_dot_kernel_magsqIiLb1ELi1024ELi32ELb0EDF16_PKPKDF16_fEviT5_lT_liPT6_PT4_,comdat
.Lfunc_end404:
	.size	_ZL24rocblas_dot_kernel_magsqIiLb1ELi1024ELi32ELb0EDF16_PKPKDF16_fEviT5_lT_liPT6_PT4_, .Lfunc_end404-_ZL24rocblas_dot_kernel_magsqIiLb1ELi1024ELi32ELb0EDF16_PKPKDF16_fEviT5_lT_liPT6_PT4_
                                        ; -- End function
	.section	.AMDGPU.csdata,"",@progbits
; Kernel info:
; codeLenInByte = 812
; NumSgprs: 19
; NumVgprs: 10
; ScratchSize: 0
; MemoryBound: 0
; FloatMode: 240
; IeeeMode: 1
; LDSByteSize: 128 bytes/workgroup (compile time only)
; SGPRBlocks: 2
; VGPRBlocks: 1
; NumSGPRsForWavesPerEU: 19
; NumVGPRsForWavesPerEU: 10
; Occupancy: 16
; WaveLimiterHint : 0
; COMPUTE_PGM_RSRC2:SCRATCH_EN: 0
; COMPUTE_PGM_RSRC2:USER_SGPR: 14
; COMPUTE_PGM_RSRC2:TRAP_HANDLER: 0
; COMPUTE_PGM_RSRC2:TGID_X_EN: 1
; COMPUTE_PGM_RSRC2:TGID_Y_EN: 0
; COMPUTE_PGM_RSRC2:TGID_Z_EN: 1
; COMPUTE_PGM_RSRC2:TIDIG_COMP_CNT: 0
	.section	.text._ZL38rocblas_dot_kernel_gfx942_float_doubleIiLi1024EDF16_PKPKDF16_fEviT2_lT_lS4_lS5_lPT3_PT1_,"axG",@progbits,_ZL38rocblas_dot_kernel_gfx942_float_doubleIiLi1024EDF16_PKPKDF16_fEviT2_lT_lS4_lS5_lPT3_PT1_,comdat
	.globl	_ZL38rocblas_dot_kernel_gfx942_float_doubleIiLi1024EDF16_PKPKDF16_fEviT2_lT_lS4_lS5_lPT3_PT1_ ; -- Begin function _ZL38rocblas_dot_kernel_gfx942_float_doubleIiLi1024EDF16_PKPKDF16_fEviT2_lT_lS4_lS5_lPT3_PT1_
	.p2align	8
	.type	_ZL38rocblas_dot_kernel_gfx942_float_doubleIiLi1024EDF16_PKPKDF16_fEviT2_lT_lS4_lS5_lPT3_PT1_,@function
_ZL38rocblas_dot_kernel_gfx942_float_doubleIiLi1024EDF16_PKPKDF16_fEviT2_lT_lS4_lS5_lPT3_PT1_: ; @_ZL38rocblas_dot_kernel_gfx942_float_doubleIiLi1024EDF16_PKPKDF16_fEviT2_lT_lS4_lS5_lPT3_PT1_
; %bb.0:
	s_endpgm
	.section	.rodata,"a",@progbits
	.p2align	6, 0x0
	.amdhsa_kernel _ZL38rocblas_dot_kernel_gfx942_float_doubleIiLi1024EDF16_PKPKDF16_fEviT2_lT_lS4_lS5_lPT3_PT1_
		.amdhsa_group_segment_fixed_size 0
		.amdhsa_private_segment_fixed_size 0
		.amdhsa_kernarg_size 88
		.amdhsa_user_sgpr_count 15
		.amdhsa_user_sgpr_dispatch_ptr 0
		.amdhsa_user_sgpr_queue_ptr 0
		.amdhsa_user_sgpr_kernarg_segment_ptr 1
		.amdhsa_user_sgpr_dispatch_id 0
		.amdhsa_user_sgpr_private_segment_size 0
		.amdhsa_wavefront_size32 1
		.amdhsa_uses_dynamic_stack 0
		.amdhsa_enable_private_segment 0
		.amdhsa_system_sgpr_workgroup_id_x 1
		.amdhsa_system_sgpr_workgroup_id_y 0
		.amdhsa_system_sgpr_workgroup_id_z 0
		.amdhsa_system_sgpr_workgroup_info 0
		.amdhsa_system_vgpr_workitem_id 0
		.amdhsa_next_free_vgpr 1
		.amdhsa_next_free_sgpr 1
		.amdhsa_reserve_vcc 0
		.amdhsa_float_round_mode_32 0
		.amdhsa_float_round_mode_16_64 0
		.amdhsa_float_denorm_mode_32 3
		.amdhsa_float_denorm_mode_16_64 3
		.amdhsa_dx10_clamp 1
		.amdhsa_ieee_mode 1
		.amdhsa_fp16_overflow 0
		.amdhsa_workgroup_processor_mode 1
		.amdhsa_memory_ordered 1
		.amdhsa_forward_progress 0
		.amdhsa_shared_vgpr_count 0
		.amdhsa_exception_fp_ieee_invalid_op 0
		.amdhsa_exception_fp_denorm_src 0
		.amdhsa_exception_fp_ieee_div_zero 0
		.amdhsa_exception_fp_ieee_overflow 0
		.amdhsa_exception_fp_ieee_underflow 0
		.amdhsa_exception_fp_ieee_inexact 0
		.amdhsa_exception_int_div_zero 0
	.end_amdhsa_kernel
	.section	.text._ZL38rocblas_dot_kernel_gfx942_float_doubleIiLi1024EDF16_PKPKDF16_fEviT2_lT_lS4_lS5_lPT3_PT1_,"axG",@progbits,_ZL38rocblas_dot_kernel_gfx942_float_doubleIiLi1024EDF16_PKPKDF16_fEviT2_lT_lS4_lS5_lPT3_PT1_,comdat
.Lfunc_end405:
	.size	_ZL38rocblas_dot_kernel_gfx942_float_doubleIiLi1024EDF16_PKPKDF16_fEviT2_lT_lS4_lS5_lPT3_PT1_, .Lfunc_end405-_ZL38rocblas_dot_kernel_gfx942_float_doubleIiLi1024EDF16_PKPKDF16_fEviT2_lT_lS4_lS5_lPT3_PT1_
                                        ; -- End function
	.section	.AMDGPU.csdata,"",@progbits
; Kernel info:
; codeLenInByte = 4
; NumSgprs: 0
; NumVgprs: 0
; ScratchSize: 0
; MemoryBound: 0
; FloatMode: 240
; IeeeMode: 1
; LDSByteSize: 0 bytes/workgroup (compile time only)
; SGPRBlocks: 0
; VGPRBlocks: 0
; NumSGPRsForWavesPerEU: 1
; NumVGPRsForWavesPerEU: 1
; Occupancy: 16
; WaveLimiterHint : 0
; COMPUTE_PGM_RSRC2:SCRATCH_EN: 0
; COMPUTE_PGM_RSRC2:USER_SGPR: 15
; COMPUTE_PGM_RSRC2:TRAP_HANDLER: 0
; COMPUTE_PGM_RSRC2:TGID_X_EN: 1
; COMPUTE_PGM_RSRC2:TGID_Y_EN: 0
; COMPUTE_PGM_RSRC2:TGID_Z_EN: 0
; COMPUTE_PGM_RSRC2:TIDIG_COMP_CNT: 0
	.section	.text._ZL23rocblas_dot_kernel_inc1ILb0ELi512ELi8ELb0EDF16_PKPKDF16_fEviT4_llS4_lliPT5_PT3_,"axG",@progbits,_ZL23rocblas_dot_kernel_inc1ILb0ELi512ELi8ELb0EDF16_PKPKDF16_fEviT4_llS4_lliPT5_PT3_,comdat
	.globl	_ZL23rocblas_dot_kernel_inc1ILb0ELi512ELi8ELb0EDF16_PKPKDF16_fEviT4_llS4_lliPT5_PT3_ ; -- Begin function _ZL23rocblas_dot_kernel_inc1ILb0ELi512ELi8ELb0EDF16_PKPKDF16_fEviT4_llS4_lliPT5_PT3_
	.p2align	8
	.type	_ZL23rocblas_dot_kernel_inc1ILb0ELi512ELi8ELb0EDF16_PKPKDF16_fEviT4_llS4_lliPT5_PT3_,@function
_ZL23rocblas_dot_kernel_inc1ILb0ELi512ELi8ELb0EDF16_PKPKDF16_fEviT4_llS4_lliPT5_PT3_: ; @_ZL23rocblas_dot_kernel_inc1ILb0ELi512ELi8ELb0EDF16_PKPKDF16_fEviT4_llS4_lliPT5_PT3_
; %bb.0:
	s_clause 0x2
	s_load_b32 s12, s[0:1], 0x50
	s_load_b32 s13, s[0:1], 0x0
	s_load_b128 s[4:7], s[0:1], 0x40
	v_lshl_or_b32 v3, s14, 9, v0
	v_mov_b32_e32 v5, 0
	s_mov_b32 s2, s15
	s_mov_b32 s3, 0
	s_mov_b32 s15, exec_lo
	s_waitcnt lgkmcnt(0)
	v_cmpx_gt_i32_e64 s13, v3
	s_cbranch_execz .LBB406_4
; %bb.1:
	s_clause 0x1
	s_load_b128 s[8:11], s[0:1], 0x8
	s_load_b128 s[20:23], s[0:1], 0x20
	s_lshl_b64 s[18:19], s[2:3], 3
	v_ashrrev_i32_e32 v4, 31, v3
	v_mov_b32_e32 v5, 0
	s_delay_alu instid0(VALU_DEP_2)
	v_lshlrev_b64 v[1:2], 1, v[3:4]
	s_waitcnt lgkmcnt(0)
	s_add_u32 s0, s8, s18
	s_addc_u32 s1, s9, s19
	s_lshl_b64 s[10:11], s[10:11], 1
	s_load_b64 s[8:9], s[0:1], 0x0
	s_waitcnt lgkmcnt(0)
	s_add_u32 s1, s8, s10
	s_addc_u32 s16, s9, s11
	s_add_u32 s8, s20, s18
	s_addc_u32 s9, s21, s19
	s_lshl_b64 s[10:11], s[22:23], 1
	s_load_b64 s[8:9], s[8:9], 0x0
	s_mov_b32 s19, s3
	s_waitcnt lgkmcnt(0)
	s_add_u32 s17, s8, s10
	s_addc_u32 s18, s9, s11
	s_lshl_b32 s8, s12, 9
	s_delay_alu instid0(SALU_CYCLE_1) | instskip(SKIP_1) | instid1(SALU_CYCLE_1)
	v_add_nc_u32_e32 v3, s8, v3
	s_ashr_i32 s9, s8, 31
	s_lshl_b64 s[10:11], s[8:9], 1
	s_mov_b32 s9, s3
	.p2align	6
.LBB406_2:                              ; =>This Inner Loop Header: Depth=1
	v_add_co_u32 v6, vcc_lo, s17, v1
	v_add_co_ci_u32_e32 v7, vcc_lo, s18, v2, vcc_lo
	v_add_co_u32 v8, vcc_lo, s1, v1
	v_add_co_ci_u32_e32 v9, vcc_lo, s16, v2, vcc_lo
	s_add_i32 s20, s19, 1
	global_load_u16 v4, v[6:7], off
	global_load_u16 v6, v[8:9], off
	v_cmp_le_i32_e32 vcc_lo, s13, v3
	v_add_co_u32 v1, s0, v1, s10
	s_cmp_gt_u32 s19, 6
	v_add_co_ci_u32_e64 v2, s0, s11, v2, s0
	s_cselect_b32 s0, -1, 0
	v_add_nc_u32_e32 v3, s8, v3
	s_or_b32 s0, s0, vcc_lo
	s_mov_b32 s19, s20
	s_and_b32 s0, exec_lo, s0
	s_delay_alu instid0(SALU_CYCLE_1)
	s_or_b32 s9, s0, s9
	s_waitcnt vmcnt(0)
	v_fma_mix_f32 v5, v4, v6, v5 op_sel_hi:[1,1,0]
	s_and_not1_b32 exec_lo, exec_lo, s9
	s_cbranch_execnz .LBB406_2
; %bb.3:
	s_or_b32 exec_lo, exec_lo, s9
.LBB406_4:
	s_delay_alu instid0(SALU_CYCLE_1) | instskip(SKIP_2) | instid1(VALU_DEP_2)
	s_or_b32 exec_lo, exec_lo, s15
	v_and_b32_e32 v2, 31, v0
	v_cmp_gt_u32_e32 vcc_lo, 32, v0
	v_lshlrev_b32_e32 v1, 2, v2
	s_and_saveexec_b32 s0, vcc_lo
	s_cbranch_execz .LBB406_6
; %bb.5:
	v_mov_b32_e32 v3, 0
	ds_store_b32 v1, v3
.LBB406_6:
	s_or_b32 exec_lo, exec_lo, s0
	v_mbcnt_lo_u32_b32 v6, -1, 0
	s_mov_b32 s1, exec_lo
	s_waitcnt lgkmcnt(0)
	s_barrier
	buffer_gl0_inv
	v_cmp_gt_u32_e64 s0, 16, v6
	s_delay_alu instid0(VALU_DEP_1) | instskip(SKIP_1) | instid1(VALU_DEP_2)
	v_cndmask_b32_e64 v3, 0, 1, s0
	v_cmp_gt_u32_e64 s0, 24, v6
	v_lshlrev_b32_e32 v3, 4, v3
	s_delay_alu instid0(VALU_DEP_1) | instskip(SKIP_3) | instid1(VALU_DEP_2)
	v_add_lshl_u32 v3, v3, v6, 2
	ds_bpermute_b32 v4, v3, v5
	v_cndmask_b32_e64 v3, 0, 1, s0
	v_cmp_gt_u32_e64 s0, 28, v6
	v_lshlrev_b32_e32 v3, 3, v3
	s_delay_alu instid0(VALU_DEP_1)
	v_add_lshl_u32 v3, v3, v6, 2
	s_waitcnt lgkmcnt(0)
	v_add_f32_e32 v5, v5, v4
	v_cndmask_b32_e64 v4, 0, 1, s0
	v_cmp_gt_u32_e64 s0, 30, v6
	ds_bpermute_b32 v7, v3, v5
	s_waitcnt lgkmcnt(0)
	v_dual_add_f32 v7, v5, v7 :: v_dual_lshlrev_b32 v4, 2, v4
	s_delay_alu instid0(VALU_DEP_1) | instskip(SKIP_4) | instid1(VALU_DEP_1)
	v_add_lshl_u32 v4, v4, v6, 2
	v_cndmask_b32_e64 v5, 0, 1, s0
	v_cmp_ne_u32_e64 s0, 31, v6
	ds_bpermute_b32 v8, v4, v7
	v_lshlrev_b32_e32 v5, 1, v5
	v_add_lshl_u32 v5, v5, v6, 2
	v_add_co_ci_u32_e64 v6, s0, 0, v6, s0
	s_waitcnt lgkmcnt(0)
	s_delay_alu instid0(VALU_DEP_1)
	v_dual_add_f32 v7, v7, v8 :: v_dual_lshlrev_b32 v6, 2, v6
	ds_bpermute_b32 v8, v5, v7
	s_waitcnt lgkmcnt(0)
	v_add_f32_e32 v7, v7, v8
	ds_bpermute_b32 v8, v6, v7
	v_cmpx_eq_u32_e32 0, v2
	s_cbranch_execz .LBB406_8
; %bb.7:
	v_lshrrev_b32_e32 v2, 3, v0
	s_waitcnt lgkmcnt(0)
	s_delay_alu instid0(VALU_DEP_1)
	v_dual_add_f32 v7, v7, v8 :: v_dual_and_b32 v2, 60, v2
	ds_store_b32 v2, v7
.LBB406_8:
	s_or_b32 exec_lo, exec_lo, s1
	v_mov_b32_e32 v2, 0
	s_mov_b32 s1, exec_lo
	s_waitcnt lgkmcnt(0)
	s_barrier
	buffer_gl0_inv
	v_cmpx_gt_u32_e32 16, v0
	s_cbranch_execz .LBB406_10
; %bb.9:
	ds_load_b32 v2, v1
.LBB406_10:
	s_or_b32 exec_lo, exec_lo, s1
	s_and_saveexec_b32 s0, vcc_lo
	s_cbranch_execz .LBB406_12
; %bb.11:
	s_waitcnt lgkmcnt(0)
	ds_bpermute_b32 v1, v3, v2
	s_waitcnt lgkmcnt(0)
	v_add_f32_e32 v1, v2, v1
	ds_bpermute_b32 v2, v4, v1
	s_waitcnt lgkmcnt(0)
	v_add_f32_e32 v1, v1, v2
	;; [unrolled: 3-line block ×4, first 2 shown]
.LBB406_12:
	s_or_b32 exec_lo, exec_lo, s0
	s_delay_alu instid0(SALU_CYCLE_1)
	s_mov_b32 s0, exec_lo
	v_cmpx_eq_u32_e32 0, v0
	s_cbranch_execz .LBB406_17
; %bb.13:
	s_cmp_lg_u32 s12, 1
	s_mov_b32 s15, -1
	s_cbranch_scc0 .LBB406_15
; %bb.14:
	s_mul_hi_u32 s1, s12, s2
	s_mul_i32 s0, s12, s2
	s_mov_b32 s15, 0
	s_lshl_b64 s[0:1], s[0:1], 2
	v_mov_b32_e32 v0, 0
	s_add_u32 s4, s4, s0
	s_addc_u32 s5, s5, s1
	s_lshl_b64 s[0:1], s[14:15], 2
	s_delay_alu instid0(SALU_CYCLE_1)
	s_add_u32 s0, s4, s0
	s_addc_u32 s1, s5, s1
	s_waitcnt lgkmcnt(0)
	global_store_b32 v0, v2, s[0:1]
.LBB406_15:
	s_and_not1_b32 vcc_lo, exec_lo, s15
	s_cbranch_vccnz .LBB406_17
; %bb.16:
	s_waitcnt lgkmcnt(0)
	v_cvt_f16_f32_e32 v0, v2
	s_lshl_b64 s[0:1], s[2:3], 1
	v_mov_b32_e32 v1, 0
	s_add_u32 s0, s6, s0
	s_addc_u32 s1, s7, s1
	global_store_b16 v1, v0, s[0:1]
.LBB406_17:
	s_nop 0
	s_sendmsg sendmsg(MSG_DEALLOC_VGPRS)
	s_endpgm
	.section	.rodata,"a",@progbits
	.p2align	6, 0x0
	.amdhsa_kernel _ZL23rocblas_dot_kernel_inc1ILb0ELi512ELi8ELb0EDF16_PKPKDF16_fEviT4_llS4_lliPT5_PT3_
		.amdhsa_group_segment_fixed_size 128
		.amdhsa_private_segment_fixed_size 0
		.amdhsa_kernarg_size 336
		.amdhsa_user_sgpr_count 14
		.amdhsa_user_sgpr_dispatch_ptr 0
		.amdhsa_user_sgpr_queue_ptr 0
		.amdhsa_user_sgpr_kernarg_segment_ptr 1
		.amdhsa_user_sgpr_dispatch_id 0
		.amdhsa_user_sgpr_private_segment_size 0
		.amdhsa_wavefront_size32 1
		.amdhsa_uses_dynamic_stack 0
		.amdhsa_enable_private_segment 0
		.amdhsa_system_sgpr_workgroup_id_x 1
		.amdhsa_system_sgpr_workgroup_id_y 0
		.amdhsa_system_sgpr_workgroup_id_z 1
		.amdhsa_system_sgpr_workgroup_info 0
		.amdhsa_system_vgpr_workitem_id 0
		.amdhsa_next_free_vgpr 10
		.amdhsa_next_free_sgpr 24
		.amdhsa_reserve_vcc 1
		.amdhsa_float_round_mode_32 0
		.amdhsa_float_round_mode_16_64 0
		.amdhsa_float_denorm_mode_32 3
		.amdhsa_float_denorm_mode_16_64 3
		.amdhsa_dx10_clamp 1
		.amdhsa_ieee_mode 1
		.amdhsa_fp16_overflow 0
		.amdhsa_workgroup_processor_mode 1
		.amdhsa_memory_ordered 1
		.amdhsa_forward_progress 0
		.amdhsa_shared_vgpr_count 0
		.amdhsa_exception_fp_ieee_invalid_op 0
		.amdhsa_exception_fp_denorm_src 0
		.amdhsa_exception_fp_ieee_div_zero 0
		.amdhsa_exception_fp_ieee_overflow 0
		.amdhsa_exception_fp_ieee_underflow 0
		.amdhsa_exception_fp_ieee_inexact 0
		.amdhsa_exception_int_div_zero 0
	.end_amdhsa_kernel
	.section	.text._ZL23rocblas_dot_kernel_inc1ILb0ELi512ELi8ELb0EDF16_PKPKDF16_fEviT4_llS4_lliPT5_PT3_,"axG",@progbits,_ZL23rocblas_dot_kernel_inc1ILb0ELi512ELi8ELb0EDF16_PKPKDF16_fEviT4_llS4_lliPT5_PT3_,comdat
.Lfunc_end406:
	.size	_ZL23rocblas_dot_kernel_inc1ILb0ELi512ELi8ELb0EDF16_PKPKDF16_fEviT4_llS4_lliPT5_PT3_, .Lfunc_end406-_ZL23rocblas_dot_kernel_inc1ILb0ELi512ELi8ELb0EDF16_PKPKDF16_fEviT4_llS4_lliPT5_PT3_
                                        ; -- End function
	.section	.AMDGPU.csdata,"",@progbits
; Kernel info:
; codeLenInByte = 924
; NumSgprs: 26
; NumVgprs: 10
; ScratchSize: 0
; MemoryBound: 0
; FloatMode: 240
; IeeeMode: 1
; LDSByteSize: 128 bytes/workgroup (compile time only)
; SGPRBlocks: 3
; VGPRBlocks: 1
; NumSGPRsForWavesPerEU: 26
; NumVGPRsForWavesPerEU: 10
; Occupancy: 16
; WaveLimiterHint : 1
; COMPUTE_PGM_RSRC2:SCRATCH_EN: 0
; COMPUTE_PGM_RSRC2:USER_SGPR: 14
; COMPUTE_PGM_RSRC2:TRAP_HANDLER: 0
; COMPUTE_PGM_RSRC2:TGID_X_EN: 1
; COMPUTE_PGM_RSRC2:TGID_Y_EN: 0
; COMPUTE_PGM_RSRC2:TGID_Z_EN: 1
; COMPUTE_PGM_RSRC2:TIDIG_COMP_CNT: 0
	.section	.text._ZL18rocblas_dot_kernelIiLb0ELi512ELi8ELb0EDF16_PKPKDF16_fEviT5_lT_lS4_lS5_liPT6_PT4_,"axG",@progbits,_ZL18rocblas_dot_kernelIiLb0ELi512ELi8ELb0EDF16_PKPKDF16_fEviT5_lT_lS4_lS5_liPT6_PT4_,comdat
	.globl	_ZL18rocblas_dot_kernelIiLb0ELi512ELi8ELb0EDF16_PKPKDF16_fEviT5_lT_lS4_lS5_liPT6_PT4_ ; -- Begin function _ZL18rocblas_dot_kernelIiLb0ELi512ELi8ELb0EDF16_PKPKDF16_fEviT5_lT_lS4_lS5_liPT6_PT4_
	.p2align	8
	.type	_ZL18rocblas_dot_kernelIiLb0ELi512ELi8ELb0EDF16_PKPKDF16_fEviT5_lT_lS4_lS5_liPT6_PT4_,@function
_ZL18rocblas_dot_kernelIiLb0ELi512ELi8ELb0EDF16_PKPKDF16_fEviT5_lT_lS4_lS5_liPT6_PT4_: ; @_ZL18rocblas_dot_kernelIiLb0ELi512ELi8ELb0EDF16_PKPKDF16_fEviT5_lT_lS4_lS5_liPT6_PT4_
; %bb.0:
	s_clause 0x2
	s_load_b32 s12, s[0:1], 0x60
	s_load_b32 s13, s[0:1], 0x0
	s_load_b128 s[4:7], s[0:1], 0x50
	v_lshl_or_b32 v1, s14, 9, v0
	v_mov_b32_e32 v5, 0
	s_mov_b32 s2, s15
	s_mov_b32 s3, 0
	s_mov_b32 s15, exec_lo
	s_waitcnt lgkmcnt(0)
	v_cmpx_gt_i32_e64 s13, v1
	s_cbranch_execz .LBB407_4
; %bb.1:
	s_clause 0x3
	s_load_b128 s[16:19], s[0:1], 0x8
	s_load_b128 s[8:11], s[0:1], 0x28
	s_load_b32 s22, s[0:1], 0x18
	s_load_b32 s24, s[0:1], 0x38
	s_lshl_b64 s[0:1], s[2:3], 3
	s_waitcnt lgkmcnt(0)
	s_add_u32 s16, s16, s0
	s_addc_u32 s17, s17, s1
	s_add_u32 s0, s8, s0
	s_load_b64 s[16:17], s[16:17], 0x0
	s_addc_u32 s1, s9, s1
	v_mad_i64_i32 v[2:3], null, s22, v1, 0
	s_load_b64 s[20:21], s[0:1], 0x0
	v_mad_i64_i32 v[4:5], null, s24, v1, 0
	s_lshl_b32 s1, s12, 9
	s_lshl_b64 s[8:9], s[18:19], 1
	v_add_nc_u32_e32 v6, s1, v1
	s_delay_alu instid0(VALU_DEP_3) | instskip(SKIP_2) | instid1(VALU_DEP_3)
	v_lshlrev_b64 v[1:2], 1, v[2:3]
	s_mul_hi_i32 s19, s22, s1
	s_mul_i32 s18, s22, s1
	v_lshlrev_b64 v[3:4], 1, v[4:5]
	v_mov_b32_e32 v5, 0
	s_mul_hi_i32 s23, s24, s1
	s_mul_i32 s22, s24, s1
	s_waitcnt lgkmcnt(0)
	s_add_u32 s0, s16, s8
	s_addc_u32 s16, s17, s9
	s_lshl_b64 s[10:11], s[10:11], 1
	s_lshl_b64 s[8:9], s[18:19], 1
	v_add_co_u32 v1, vcc_lo, s0, v1
	s_add_u32 s0, s20, s10
	v_add_co_ci_u32_e32 v2, vcc_lo, s16, v2, vcc_lo
	s_addc_u32 s10, s21, s11
	v_add_co_u32 v3, vcc_lo, s0, v3
	v_add_co_ci_u32_e32 v4, vcc_lo, s10, v4, vcc_lo
	s_lshl_b64 s[10:11], s[22:23], 1
	s_mov_b32 s16, s3
	s_mov_b32 s17, s3
	.p2align	6
.LBB407_2:                              ; =>This Inner Loop Header: Depth=1
	global_load_u16 v7, v[3:4], off
	global_load_u16 v8, v[1:2], off
	v_add_co_u32 v1, s0, v1, s8
	s_delay_alu instid0(VALU_DEP_1)
	v_add_co_ci_u32_e64 v2, s0, s9, v2, s0
	s_add_i32 s18, s17, 1
	v_cmp_le_i32_e32 vcc_lo, s13, v6
	v_add_co_u32 v3, s0, v3, s10
	s_cmp_gt_u32 s17, 6
	v_add_co_ci_u32_e64 v4, s0, s11, v4, s0
	s_cselect_b32 s0, -1, 0
	v_add_nc_u32_e32 v6, s1, v6
	s_or_b32 s0, s0, vcc_lo
	s_mov_b32 s17, s18
	s_and_b32 s0, exec_lo, s0
	s_delay_alu instid0(SALU_CYCLE_1)
	s_or_b32 s16, s0, s16
	s_waitcnt vmcnt(0)
	v_fma_mix_f32 v5, v7, v8, v5 op_sel_hi:[1,1,0]
	s_and_not1_b32 exec_lo, exec_lo, s16
	s_cbranch_execnz .LBB407_2
; %bb.3:
	s_or_b32 exec_lo, exec_lo, s16
.LBB407_4:
	s_delay_alu instid0(SALU_CYCLE_1) | instskip(SKIP_2) | instid1(VALU_DEP_2)
	s_or_b32 exec_lo, exec_lo, s15
	v_and_b32_e32 v2, 31, v0
	v_cmp_gt_u32_e32 vcc_lo, 32, v0
	v_lshlrev_b32_e32 v1, 2, v2
	s_and_saveexec_b32 s0, vcc_lo
	s_cbranch_execz .LBB407_6
; %bb.5:
	v_mov_b32_e32 v3, 0
	ds_store_b32 v1, v3
.LBB407_6:
	s_or_b32 exec_lo, exec_lo, s0
	v_mbcnt_lo_u32_b32 v6, -1, 0
	s_mov_b32 s1, exec_lo
	s_waitcnt lgkmcnt(0)
	s_barrier
	buffer_gl0_inv
	v_cmp_gt_u32_e64 s0, 16, v6
	s_delay_alu instid0(VALU_DEP_1) | instskip(SKIP_1) | instid1(VALU_DEP_2)
	v_cndmask_b32_e64 v3, 0, 1, s0
	v_cmp_gt_u32_e64 s0, 24, v6
	v_lshlrev_b32_e32 v3, 4, v3
	s_delay_alu instid0(VALU_DEP_1) | instskip(SKIP_3) | instid1(VALU_DEP_2)
	v_add_lshl_u32 v3, v3, v6, 2
	ds_bpermute_b32 v4, v3, v5
	v_cndmask_b32_e64 v3, 0, 1, s0
	v_cmp_gt_u32_e64 s0, 28, v6
	v_lshlrev_b32_e32 v3, 3, v3
	s_delay_alu instid0(VALU_DEP_1)
	v_add_lshl_u32 v3, v3, v6, 2
	s_waitcnt lgkmcnt(0)
	v_add_f32_e32 v5, v5, v4
	v_cndmask_b32_e64 v4, 0, 1, s0
	v_cmp_gt_u32_e64 s0, 30, v6
	ds_bpermute_b32 v7, v3, v5
	s_waitcnt lgkmcnt(0)
	v_dual_add_f32 v7, v5, v7 :: v_dual_lshlrev_b32 v4, 2, v4
	s_delay_alu instid0(VALU_DEP_1) | instskip(SKIP_4) | instid1(VALU_DEP_1)
	v_add_lshl_u32 v4, v4, v6, 2
	v_cndmask_b32_e64 v5, 0, 1, s0
	v_cmp_ne_u32_e64 s0, 31, v6
	ds_bpermute_b32 v8, v4, v7
	v_lshlrev_b32_e32 v5, 1, v5
	v_add_lshl_u32 v5, v5, v6, 2
	v_add_co_ci_u32_e64 v6, s0, 0, v6, s0
	s_waitcnt lgkmcnt(0)
	s_delay_alu instid0(VALU_DEP_1)
	v_dual_add_f32 v7, v7, v8 :: v_dual_lshlrev_b32 v6, 2, v6
	ds_bpermute_b32 v8, v5, v7
	s_waitcnt lgkmcnt(0)
	v_add_f32_e32 v7, v7, v8
	ds_bpermute_b32 v8, v6, v7
	v_cmpx_eq_u32_e32 0, v2
	s_cbranch_execz .LBB407_8
; %bb.7:
	v_lshrrev_b32_e32 v2, 3, v0
	s_waitcnt lgkmcnt(0)
	s_delay_alu instid0(VALU_DEP_1)
	v_dual_add_f32 v7, v7, v8 :: v_dual_and_b32 v2, 60, v2
	ds_store_b32 v2, v7
.LBB407_8:
	s_or_b32 exec_lo, exec_lo, s1
	v_mov_b32_e32 v2, 0
	s_mov_b32 s1, exec_lo
	s_waitcnt lgkmcnt(0)
	s_barrier
	buffer_gl0_inv
	v_cmpx_gt_u32_e32 16, v0
	s_cbranch_execz .LBB407_10
; %bb.9:
	ds_load_b32 v2, v1
.LBB407_10:
	s_or_b32 exec_lo, exec_lo, s1
	s_and_saveexec_b32 s0, vcc_lo
	s_cbranch_execz .LBB407_12
; %bb.11:
	s_waitcnt lgkmcnt(0)
	ds_bpermute_b32 v1, v3, v2
	s_waitcnt lgkmcnt(0)
	v_add_f32_e32 v1, v2, v1
	ds_bpermute_b32 v2, v4, v1
	s_waitcnt lgkmcnt(0)
	v_add_f32_e32 v1, v1, v2
	;; [unrolled: 3-line block ×4, first 2 shown]
.LBB407_12:
	s_or_b32 exec_lo, exec_lo, s0
	s_delay_alu instid0(SALU_CYCLE_1)
	s_mov_b32 s0, exec_lo
	v_cmpx_eq_u32_e32 0, v0
	s_cbranch_execz .LBB407_17
; %bb.13:
	s_cmp_lg_u32 s12, 1
	s_mov_b32 s15, -1
	s_cbranch_scc0 .LBB407_15
; %bb.14:
	s_mul_hi_u32 s1, s12, s2
	s_mul_i32 s0, s12, s2
	s_mov_b32 s15, 0
	s_lshl_b64 s[0:1], s[0:1], 2
	v_mov_b32_e32 v0, 0
	s_add_u32 s4, s4, s0
	s_addc_u32 s5, s5, s1
	s_lshl_b64 s[0:1], s[14:15], 2
	s_delay_alu instid0(SALU_CYCLE_1)
	s_add_u32 s0, s4, s0
	s_addc_u32 s1, s5, s1
	s_waitcnt lgkmcnt(0)
	global_store_b32 v0, v2, s[0:1]
.LBB407_15:
	s_and_not1_b32 vcc_lo, exec_lo, s15
	s_cbranch_vccnz .LBB407_17
; %bb.16:
	s_waitcnt lgkmcnt(0)
	v_cvt_f16_f32_e32 v0, v2
	s_lshl_b64 s[0:1], s[2:3], 1
	v_mov_b32_e32 v1, 0
	s_add_u32 s0, s6, s0
	s_addc_u32 s1, s7, s1
	global_store_b16 v1, v0, s[0:1]
.LBB407_17:
	s_nop 0
	s_sendmsg sendmsg(MSG_DEALLOC_VGPRS)
	s_endpgm
	.section	.rodata,"a",@progbits
	.p2align	6, 0x0
	.amdhsa_kernel _ZL18rocblas_dot_kernelIiLb0ELi512ELi8ELb0EDF16_PKPKDF16_fEviT5_lT_lS4_lS5_liPT6_PT4_
		.amdhsa_group_segment_fixed_size 128
		.amdhsa_private_segment_fixed_size 0
		.amdhsa_kernarg_size 352
		.amdhsa_user_sgpr_count 14
		.amdhsa_user_sgpr_dispatch_ptr 0
		.amdhsa_user_sgpr_queue_ptr 0
		.amdhsa_user_sgpr_kernarg_segment_ptr 1
		.amdhsa_user_sgpr_dispatch_id 0
		.amdhsa_user_sgpr_private_segment_size 0
		.amdhsa_wavefront_size32 1
		.amdhsa_uses_dynamic_stack 0
		.amdhsa_enable_private_segment 0
		.amdhsa_system_sgpr_workgroup_id_x 1
		.amdhsa_system_sgpr_workgroup_id_y 0
		.amdhsa_system_sgpr_workgroup_id_z 1
		.amdhsa_system_sgpr_workgroup_info 0
		.amdhsa_system_vgpr_workitem_id 0
		.amdhsa_next_free_vgpr 9
		.amdhsa_next_free_sgpr 25
		.amdhsa_reserve_vcc 1
		.amdhsa_float_round_mode_32 0
		.amdhsa_float_round_mode_16_64 0
		.amdhsa_float_denorm_mode_32 3
		.amdhsa_float_denorm_mode_16_64 3
		.amdhsa_dx10_clamp 1
		.amdhsa_ieee_mode 1
		.amdhsa_fp16_overflow 0
		.amdhsa_workgroup_processor_mode 1
		.amdhsa_memory_ordered 1
		.amdhsa_forward_progress 0
		.amdhsa_shared_vgpr_count 0
		.amdhsa_exception_fp_ieee_invalid_op 0
		.amdhsa_exception_fp_denorm_src 0
		.amdhsa_exception_fp_ieee_div_zero 0
		.amdhsa_exception_fp_ieee_overflow 0
		.amdhsa_exception_fp_ieee_underflow 0
		.amdhsa_exception_fp_ieee_inexact 0
		.amdhsa_exception_int_div_zero 0
	.end_amdhsa_kernel
	.section	.text._ZL18rocblas_dot_kernelIiLb0ELi512ELi8ELb0EDF16_PKPKDF16_fEviT5_lT_lS4_lS5_liPT6_PT4_,"axG",@progbits,_ZL18rocblas_dot_kernelIiLb0ELi512ELi8ELb0EDF16_PKPKDF16_fEviT5_lT_lS4_lS5_liPT6_PT4_,comdat
.Lfunc_end407:
	.size	_ZL18rocblas_dot_kernelIiLb0ELi512ELi8ELb0EDF16_PKPKDF16_fEviT5_lT_lS4_lS5_liPT6_PT4_, .Lfunc_end407-_ZL18rocblas_dot_kernelIiLb0ELi512ELi8ELb0EDF16_PKPKDF16_fEviT5_lT_lS4_lS5_liPT6_PT4_
                                        ; -- End function
	.section	.AMDGPU.csdata,"",@progbits
; Kernel info:
; codeLenInByte = 988
; NumSgprs: 27
; NumVgprs: 9
; ScratchSize: 0
; MemoryBound: 0
; FloatMode: 240
; IeeeMode: 1
; LDSByteSize: 128 bytes/workgroup (compile time only)
; SGPRBlocks: 3
; VGPRBlocks: 1
; NumSGPRsForWavesPerEU: 27
; NumVGPRsForWavesPerEU: 9
; Occupancy: 16
; WaveLimiterHint : 0
; COMPUTE_PGM_RSRC2:SCRATCH_EN: 0
; COMPUTE_PGM_RSRC2:USER_SGPR: 14
; COMPUTE_PGM_RSRC2:TRAP_HANDLER: 0
; COMPUTE_PGM_RSRC2:TGID_X_EN: 1
; COMPUTE_PGM_RSRC2:TGID_Y_EN: 0
; COMPUTE_PGM_RSRC2:TGID_Z_EN: 1
; COMPUTE_PGM_RSRC2:TIDIG_COMP_CNT: 0
	.section	.text._ZL24rocblas_dot_kernel_magsqIiLb0ELi512ELi8ELb0EDF16_PKPKDF16_fEviT5_lT_liPT6_PT4_,"axG",@progbits,_ZL24rocblas_dot_kernel_magsqIiLb0ELi512ELi8ELb0EDF16_PKPKDF16_fEviT5_lT_liPT6_PT4_,comdat
	.globl	_ZL24rocblas_dot_kernel_magsqIiLb0ELi512ELi8ELb0EDF16_PKPKDF16_fEviT5_lT_liPT6_PT4_ ; -- Begin function _ZL24rocblas_dot_kernel_magsqIiLb0ELi512ELi8ELb0EDF16_PKPKDF16_fEviT5_lT_liPT6_PT4_
	.p2align	8
	.type	_ZL24rocblas_dot_kernel_magsqIiLb0ELi512ELi8ELb0EDF16_PKPKDF16_fEviT5_lT_liPT6_PT4_,@function
_ZL24rocblas_dot_kernel_magsqIiLb0ELi512ELi8ELb0EDF16_PKPKDF16_fEviT5_lT_liPT6_PT4_: ; @_ZL24rocblas_dot_kernel_magsqIiLb0ELi512ELi8ELb0EDF16_PKPKDF16_fEviT5_lT_liPT6_PT4_
; %bb.0:
	s_clause 0x2
	s_load_b32 s11, s[0:1], 0x0
	s_load_b128 s[4:7], s[0:1], 0x30
	s_load_b32 s10, s[0:1], 0x40
	v_lshl_or_b32 v1, s14, 9, v0
	v_mov_b32_e32 v3, 0
	s_mov_b32 s2, s15
	s_mov_b32 s3, 0
	s_mov_b32 s12, exec_lo
	s_waitcnt lgkmcnt(0)
	v_cmpx_gt_i32_e64 s11, v1
	s_cbranch_execz .LBB408_4
; %bb.1:
	s_clause 0x1
	s_load_b128 s[16:19], s[0:1], 0x8
	s_load_b32 s13, s[0:1], 0x18
	s_lshl_b64 s[0:1], s[2:3], 3
	s_mov_b32 s15, s3
	s_waitcnt lgkmcnt(0)
	s_add_u32 s0, s16, s0
	s_addc_u32 s1, s17, s1
	v_mad_i64_i32 v[2:3], null, s13, v1, 0
	s_load_b64 s[8:9], s[0:1], 0x0
	s_lshl_b32 s1, s10, 9
	s_lshl_b64 s[16:17], s[18:19], 1
	v_add_nc_u32_e32 v4, s1, v1
	s_mul_hi_i32 s19, s13, s1
	s_mul_i32 s18, s13, s1
	s_delay_alu instid0(VALU_DEP_2)
	v_lshlrev_b64 v[1:2], 1, v[2:3]
	v_mov_b32_e32 v3, 0
	s_mov_b32 s13, s3
	s_waitcnt lgkmcnt(0)
	s_add_u32 s0, s8, s16
	s_addc_u32 s8, s9, s17
	v_add_co_u32 v1, vcc_lo, s0, v1
	v_add_co_ci_u32_e32 v2, vcc_lo, s8, v2, vcc_lo
	s_lshl_b64 s[8:9], s[18:19], 1
	.p2align	6
.LBB408_2:                              ; =>This Inner Loop Header: Depth=1
	global_load_u16 v5, v[1:2], off
	s_add_i32 s16, s15, 1
	v_cmp_le_i32_e32 vcc_lo, s11, v4
	v_add_co_u32 v1, s0, v1, s8
	s_cmp_gt_u32 s15, 6
	v_add_co_ci_u32_e64 v2, s0, s9, v2, s0
	s_cselect_b32 s0, -1, 0
	v_add_nc_u32_e32 v4, s1, v4
	s_or_b32 s0, s0, vcc_lo
	s_mov_b32 s15, s16
	s_and_b32 s0, exec_lo, s0
	s_delay_alu instid0(SALU_CYCLE_1)
	s_or_b32 s13, s0, s13
	s_waitcnt vmcnt(0)
	v_fma_mix_f32 v3, v5, v5, v3 op_sel_hi:[1,1,0]
	s_and_not1_b32 exec_lo, exec_lo, s13
	s_cbranch_execnz .LBB408_2
; %bb.3:
	s_or_b32 exec_lo, exec_lo, s13
.LBB408_4:
	s_delay_alu instid0(SALU_CYCLE_1) | instskip(SKIP_2) | instid1(VALU_DEP_2)
	s_or_b32 exec_lo, exec_lo, s12
	v_and_b32_e32 v2, 31, v0
	v_cmp_gt_u32_e32 vcc_lo, 32, v0
	v_lshlrev_b32_e32 v1, 2, v2
	s_and_saveexec_b32 s0, vcc_lo
	s_cbranch_execz .LBB408_6
; %bb.5:
	v_mov_b32_e32 v4, 0
	ds_store_b32 v1, v4
.LBB408_6:
	s_or_b32 exec_lo, exec_lo, s0
	v_mbcnt_lo_u32_b32 v6, -1, 0
	s_mov_b32 s1, exec_lo
	s_waitcnt lgkmcnt(0)
	s_barrier
	buffer_gl0_inv
	v_cmp_gt_u32_e64 s0, 16, v6
	s_delay_alu instid0(VALU_DEP_1) | instskip(SKIP_1) | instid1(VALU_DEP_2)
	v_cndmask_b32_e64 v4, 0, 1, s0
	v_cmp_gt_u32_e64 s0, 24, v6
	v_lshlrev_b32_e32 v4, 4, v4
	s_delay_alu instid0(VALU_DEP_1) | instskip(SKIP_4) | instid1(VALU_DEP_2)
	v_add_lshl_u32 v4, v4, v6, 2
	ds_bpermute_b32 v5, v4, v3
	v_cndmask_b32_e64 v4, 0, 1, s0
	v_cmp_gt_u32_e64 s0, 28, v6
	s_waitcnt lgkmcnt(0)
	v_dual_add_f32 v5, v3, v5 :: v_dual_lshlrev_b32 v4, 3, v4
	s_delay_alu instid0(VALU_DEP_2) | instskip(SKIP_1) | instid1(VALU_DEP_3)
	v_cndmask_b32_e64 v3, 0, 1, s0
	v_cmp_gt_u32_e64 s0, 30, v6
	v_add_lshl_u32 v4, v4, v6, 2
	s_delay_alu instid0(VALU_DEP_3)
	v_lshlrev_b32_e32 v3, 2, v3
	ds_bpermute_b32 v7, v4, v5
	v_add_lshl_u32 v3, v3, v6, 2
	s_waitcnt lgkmcnt(0)
	v_add_f32_e32 v7, v5, v7
	v_cndmask_b32_e64 v5, 0, 1, s0
	v_cmp_ne_u32_e64 s0, 31, v6
	ds_bpermute_b32 v8, v3, v7
	v_lshlrev_b32_e32 v5, 1, v5
	s_delay_alu instid0(VALU_DEP_1) | instskip(SKIP_2) | instid1(VALU_DEP_1)
	v_add_lshl_u32 v5, v5, v6, 2
	v_add_co_ci_u32_e64 v6, s0, 0, v6, s0
	s_waitcnt lgkmcnt(0)
	v_dual_add_f32 v7, v7, v8 :: v_dual_lshlrev_b32 v6, 2, v6
	ds_bpermute_b32 v8, v5, v7
	s_waitcnt lgkmcnt(0)
	v_add_f32_e32 v7, v7, v8
	ds_bpermute_b32 v8, v6, v7
	v_cmpx_eq_u32_e32 0, v2
	s_cbranch_execz .LBB408_8
; %bb.7:
	v_lshrrev_b32_e32 v2, 3, v0
	s_waitcnt lgkmcnt(0)
	s_delay_alu instid0(VALU_DEP_1)
	v_dual_add_f32 v7, v7, v8 :: v_dual_and_b32 v2, 60, v2
	ds_store_b32 v2, v7
.LBB408_8:
	s_or_b32 exec_lo, exec_lo, s1
	v_mov_b32_e32 v2, 0
	s_mov_b32 s1, exec_lo
	s_waitcnt lgkmcnt(0)
	s_barrier
	buffer_gl0_inv
	v_cmpx_gt_u32_e32 16, v0
	s_cbranch_execz .LBB408_10
; %bb.9:
	ds_load_b32 v2, v1
.LBB408_10:
	s_or_b32 exec_lo, exec_lo, s1
	s_and_saveexec_b32 s0, vcc_lo
	s_cbranch_execz .LBB408_12
; %bb.11:
	s_waitcnt lgkmcnt(0)
	ds_bpermute_b32 v1, v4, v2
	s_waitcnt lgkmcnt(0)
	v_add_f32_e32 v1, v2, v1
	ds_bpermute_b32 v2, v3, v1
	s_waitcnt lgkmcnt(0)
	v_add_f32_e32 v1, v1, v2
	;; [unrolled: 3-line block ×4, first 2 shown]
.LBB408_12:
	s_or_b32 exec_lo, exec_lo, s0
	s_delay_alu instid0(SALU_CYCLE_1)
	s_mov_b32 s0, exec_lo
	v_cmpx_eq_u32_e32 0, v0
	s_cbranch_execz .LBB408_17
; %bb.13:
	s_cmp_lg_u32 s10, 1
	s_mov_b32 s15, -1
	s_cbranch_scc0 .LBB408_15
; %bb.14:
	s_mul_hi_u32 s1, s10, s2
	s_mul_i32 s0, s10, s2
	s_mov_b32 s15, 0
	s_lshl_b64 s[0:1], s[0:1], 2
	v_mov_b32_e32 v0, 0
	s_add_u32 s4, s4, s0
	s_addc_u32 s5, s5, s1
	s_lshl_b64 s[0:1], s[14:15], 2
	s_delay_alu instid0(SALU_CYCLE_1)
	s_add_u32 s0, s4, s0
	s_addc_u32 s1, s5, s1
	s_waitcnt lgkmcnt(0)
	global_store_b32 v0, v2, s[0:1]
.LBB408_15:
	s_and_not1_b32 vcc_lo, exec_lo, s15
	s_cbranch_vccnz .LBB408_17
; %bb.16:
	s_waitcnt lgkmcnt(0)
	v_cvt_f16_f32_e32 v0, v2
	s_lshl_b64 s[0:1], s[2:3], 1
	v_mov_b32_e32 v1, 0
	s_add_u32 s0, s6, s0
	s_addc_u32 s1, s7, s1
	global_store_b16 v1, v0, s[0:1]
.LBB408_17:
	s_nop 0
	s_sendmsg sendmsg(MSG_DEALLOC_VGPRS)
	s_endpgm
	.section	.rodata,"a",@progbits
	.p2align	6, 0x0
	.amdhsa_kernel _ZL24rocblas_dot_kernel_magsqIiLb0ELi512ELi8ELb0EDF16_PKPKDF16_fEviT5_lT_liPT6_PT4_
		.amdhsa_group_segment_fixed_size 128
		.amdhsa_private_segment_fixed_size 0
		.amdhsa_kernarg_size 320
		.amdhsa_user_sgpr_count 14
		.amdhsa_user_sgpr_dispatch_ptr 0
		.amdhsa_user_sgpr_queue_ptr 0
		.amdhsa_user_sgpr_kernarg_segment_ptr 1
		.amdhsa_user_sgpr_dispatch_id 0
		.amdhsa_user_sgpr_private_segment_size 0
		.amdhsa_wavefront_size32 1
		.amdhsa_uses_dynamic_stack 0
		.amdhsa_enable_private_segment 0
		.amdhsa_system_sgpr_workgroup_id_x 1
		.amdhsa_system_sgpr_workgroup_id_y 0
		.amdhsa_system_sgpr_workgroup_id_z 1
		.amdhsa_system_sgpr_workgroup_info 0
		.amdhsa_system_vgpr_workitem_id 0
		.amdhsa_next_free_vgpr 9
		.amdhsa_next_free_sgpr 20
		.amdhsa_reserve_vcc 1
		.amdhsa_float_round_mode_32 0
		.amdhsa_float_round_mode_16_64 0
		.amdhsa_float_denorm_mode_32 3
		.amdhsa_float_denorm_mode_16_64 3
		.amdhsa_dx10_clamp 1
		.amdhsa_ieee_mode 1
		.amdhsa_fp16_overflow 0
		.amdhsa_workgroup_processor_mode 1
		.amdhsa_memory_ordered 1
		.amdhsa_forward_progress 0
		.amdhsa_shared_vgpr_count 0
		.amdhsa_exception_fp_ieee_invalid_op 0
		.amdhsa_exception_fp_denorm_src 0
		.amdhsa_exception_fp_ieee_div_zero 0
		.amdhsa_exception_fp_ieee_overflow 0
		.amdhsa_exception_fp_ieee_underflow 0
		.amdhsa_exception_fp_ieee_inexact 0
		.amdhsa_exception_int_div_zero 0
	.end_amdhsa_kernel
	.section	.text._ZL24rocblas_dot_kernel_magsqIiLb0ELi512ELi8ELb0EDF16_PKPKDF16_fEviT5_lT_liPT6_PT4_,"axG",@progbits,_ZL24rocblas_dot_kernel_magsqIiLb0ELi512ELi8ELb0EDF16_PKPKDF16_fEviT5_lT_liPT6_PT4_,comdat
.Lfunc_end408:
	.size	_ZL24rocblas_dot_kernel_magsqIiLb0ELi512ELi8ELb0EDF16_PKPKDF16_fEviT5_lT_liPT6_PT4_, .Lfunc_end408-_ZL24rocblas_dot_kernel_magsqIiLb0ELi512ELi8ELb0EDF16_PKPKDF16_fEviT5_lT_liPT6_PT4_
                                        ; -- End function
	.section	.AMDGPU.csdata,"",@progbits
; Kernel info:
; codeLenInByte = 876
; NumSgprs: 22
; NumVgprs: 9
; ScratchSize: 0
; MemoryBound: 0
; FloatMode: 240
; IeeeMode: 1
; LDSByteSize: 128 bytes/workgroup (compile time only)
; SGPRBlocks: 2
; VGPRBlocks: 1
; NumSGPRsForWavesPerEU: 22
; NumVGPRsForWavesPerEU: 9
; Occupancy: 16
; WaveLimiterHint : 0
; COMPUTE_PGM_RSRC2:SCRATCH_EN: 0
; COMPUTE_PGM_RSRC2:USER_SGPR: 14
; COMPUTE_PGM_RSRC2:TRAP_HANDLER: 0
; COMPUTE_PGM_RSRC2:TGID_X_EN: 1
; COMPUTE_PGM_RSRC2:TGID_Y_EN: 0
; COMPUTE_PGM_RSRC2:TGID_Z_EN: 1
; COMPUTE_PGM_RSRC2:TIDIG_COMP_CNT: 0
	.section	.text._ZL28rocblas_dot_batched_4_kernelIiLi32ELi4ELb0EffPKPKDF16_EviT5_lT_lS4_lS5_liPT4_,"axG",@progbits,_ZL28rocblas_dot_batched_4_kernelIiLi32ELi4ELb0EffPKPKDF16_EviT5_lT_lS4_lS5_liPT4_,comdat
	.globl	_ZL28rocblas_dot_batched_4_kernelIiLi32ELi4ELb0EffPKPKDF16_EviT5_lT_lS4_lS5_liPT4_ ; -- Begin function _ZL28rocblas_dot_batched_4_kernelIiLi32ELi4ELb0EffPKPKDF16_EviT5_lT_lS4_lS5_liPT4_
	.p2align	8
	.type	_ZL28rocblas_dot_batched_4_kernelIiLi32ELi4ELb0EffPKPKDF16_EviT5_lT_lS4_lS5_liPT4_,@function
_ZL28rocblas_dot_batched_4_kernelIiLi32ELi4ELb0EffPKPKDF16_EviT5_lT_lS4_lS5_liPT4_: ; @_ZL28rocblas_dot_batched_4_kernelIiLi32ELi4ELb0EffPKPKDF16_EviT5_lT_lS4_lS5_liPT4_
; %bb.0:
	s_load_b32 s2, s[0:1], 0x48
	v_bfe_u32 v1, v0, 10, 10
	s_delay_alu instid0(VALU_DEP_1) | instskip(SKIP_1) | instid1(VALU_DEP_1)
	v_lshl_add_u32 v1, s15, 2, v1
	s_waitcnt lgkmcnt(0)
	v_cmp_gt_u32_e32 vcc_lo, s2, v1
	s_and_saveexec_b32 s2, vcc_lo
	s_cbranch_execz .LBB409_7
; %bb.1:
	s_clause 0x1
	s_load_b32 s12, s[0:1], 0x0
	s_load_b64 s[2:3], s[0:1], 0x50
	v_mov_b32_e32 v2, 0
	v_and_b32_e32 v0, 0x3ff, v0
	s_mov_b32 s13, exec_lo
	s_delay_alu instid0(VALU_DEP_2) | instskip(SKIP_1) | instid1(VALU_DEP_2)
	v_mov_b32_e32 v7, v2
	s_waitcnt lgkmcnt(0)
	v_cmpx_gt_i32_e64 s12, v0
	s_cbranch_execz .LBB409_5
; %bb.2:
	s_clause 0x1
	s_load_b128 s[4:7], s[0:1], 0x8
	s_load_b128 s[8:11], s[0:1], 0x28
	v_lshlrev_b64 v[3:4], 3, v[1:2]
	s_clause 0x1
	s_load_b32 s14, s[0:1], 0x18
	s_load_b32 s0, s[0:1], 0x38
	v_mov_b32_e32 v7, 0
	s_waitcnt lgkmcnt(0)
	v_add_co_u32 v5, vcc_lo, s4, v3
	v_add_co_ci_u32_e32 v6, vcc_lo, s5, v4, vcc_lo
	v_add_co_u32 v3, vcc_lo, s8, v3
	v_add_co_ci_u32_e32 v4, vcc_lo, s9, v4, vcc_lo
	v_mad_i64_i32 v[10:11], null, s0, v0, 0
	global_load_b64 v[5:6], v[5:6], off
	global_load_b64 v[8:9], v[3:4], off
	v_mad_i64_i32 v[3:4], null, s14, v0, 0
	s_lshl_b64 s[4:5], s[6:7], 1
	s_lshl_b64 s[6:7], s[10:11], 1
	s_ashr_i32 s15, s14, 31
	v_lshlrev_b64 v[10:11], 1, v[10:11]
	s_ashr_i32 s1, s0, 31
	s_delay_alu instid0(VALU_DEP_2) | instskip(NEXT) | instid1(VALU_DEP_1)
	v_lshlrev_b64 v[3:4], 1, v[3:4]
	v_add_co_u32 v3, vcc_lo, v3, s4
	s_delay_alu instid0(VALU_DEP_2) | instskip(NEXT) | instid1(VALU_DEP_4)
	v_add_co_ci_u32_e32 v4, vcc_lo, s5, v4, vcc_lo
	v_add_co_u32 v10, vcc_lo, v10, s6
	v_add_co_ci_u32_e32 v11, vcc_lo, s7, v11, vcc_lo
	s_lshl_b64 s[4:5], s[14:15], 6
	s_lshl_b64 s[6:7], s[0:1], 6
	s_mov_b32 s1, 0
	s_waitcnt vmcnt(1)
	v_add_co_u32 v3, vcc_lo, v5, v3
	v_add_co_ci_u32_e32 v4, vcc_lo, v6, v4, vcc_lo
	s_waitcnt vmcnt(0)
	v_add_co_u32 v5, vcc_lo, v8, v10
	v_mov_b32_e32 v8, v0
	v_add_co_ci_u32_e32 v6, vcc_lo, v9, v11, vcc_lo
	.p2align	6
.LBB409_3:                              ; =>This Inner Loop Header: Depth=1
	global_load_u16 v9, v[3:4], off
	global_load_u16 v10, v[5:6], off
	v_add_nc_u32_e32 v8, 32, v8
	v_add_co_u32 v3, vcc_lo, v3, s4
	v_add_co_ci_u32_e32 v4, vcc_lo, s5, v4, vcc_lo
	v_add_co_u32 v5, vcc_lo, v5, s6
	s_delay_alu instid0(VALU_DEP_4) | instskip(SKIP_1) | instid1(VALU_DEP_2)
	v_cmp_le_i32_e64 s0, s12, v8
	v_add_co_ci_u32_e32 v6, vcc_lo, s7, v6, vcc_lo
	s_or_b32 s1, s0, s1
	s_waitcnt vmcnt(0)
	v_fma_mix_f32 v7, v9, v10, v7 op_sel_hi:[1,1,0]
	s_and_not1_b32 exec_lo, exec_lo, s1
	s_cbranch_execnz .LBB409_3
; %bb.4:
	s_or_b32 exec_lo, exec_lo, s1
.LBB409_5:
	s_delay_alu instid0(SALU_CYCLE_1)
	s_or_b32 exec_lo, exec_lo, s13
	v_mbcnt_lo_u32_b32 v3, -1, 0
	s_barrier
	buffer_gl0_inv
	v_cmp_gt_u32_e32 vcc_lo, 16, v3
	v_cndmask_b32_e64 v4, 0, 1, vcc_lo
	v_cmp_gt_u32_e32 vcc_lo, 24, v3
	s_delay_alu instid0(VALU_DEP_2) | instskip(SKIP_2) | instid1(VALU_DEP_3)
	v_lshlrev_b32_e32 v4, 4, v4
	v_cndmask_b32_e64 v5, 0, 1, vcc_lo
	v_cmp_gt_u32_e32 vcc_lo, 28, v3
	v_add_lshl_u32 v4, v4, v3, 2
	v_cndmask_b32_e64 v6, 0, 1, vcc_lo
	v_cmp_gt_u32_e32 vcc_lo, 30, v3
	ds_bpermute_b32 v4, v4, v7
	v_lshlrev_b32_e32 v5, 3, v5
	v_lshlrev_b32_e32 v6, 2, v6
	s_delay_alu instid0(VALU_DEP_1)
	v_add_lshl_u32 v6, v6, v3, 2
	s_waitcnt lgkmcnt(0)
	v_add_f32_e32 v4, v7, v4
	v_add_lshl_u32 v5, v5, v3, 2
	ds_bpermute_b32 v5, v5, v4
	s_waitcnt lgkmcnt(0)
	v_add_f32_e32 v4, v4, v5
	ds_bpermute_b32 v5, v6, v4
	v_cndmask_b32_e64 v6, 0, 1, vcc_lo
	v_cmp_ne_u32_e32 vcc_lo, 31, v3
	s_delay_alu instid0(VALU_DEP_2) | instskip(NEXT) | instid1(VALU_DEP_1)
	v_lshlrev_b32_e32 v6, 1, v6
	v_add_lshl_u32 v6, v6, v3, 2
	s_waitcnt lgkmcnt(0)
	v_add_f32_e32 v4, v4, v5
	ds_bpermute_b32 v5, v6, v4
	v_add_co_ci_u32_e32 v6, vcc_lo, 0, v3, vcc_lo
	v_cmp_eq_u32_e32 vcc_lo, 0, v0
	s_waitcnt lgkmcnt(0)
	s_delay_alu instid0(VALU_DEP_2)
	v_dual_add_f32 v3, v4, v5 :: v_dual_lshlrev_b32 v4, 2, v6
	ds_bpermute_b32 v4, v4, v3
	s_and_b32 exec_lo, exec_lo, vcc_lo
	s_cbranch_execz .LBB409_7
; %bb.6:
	v_lshlrev_b64 v[0:1], 2, v[1:2]
	s_waitcnt lgkmcnt(0)
	v_add_f32_e32 v2, v3, v4
	s_delay_alu instid0(VALU_DEP_2) | instskip(NEXT) | instid1(VALU_DEP_3)
	v_add_co_u32 v0, vcc_lo, s2, v0
	v_add_co_ci_u32_e32 v1, vcc_lo, s3, v1, vcc_lo
	global_store_b32 v[0:1], v2, off
.LBB409_7:
	s_nop 0
	s_sendmsg sendmsg(MSG_DEALLOC_VGPRS)
	s_endpgm
	.section	.rodata,"a",@progbits
	.p2align	6, 0x0
	.amdhsa_kernel _ZL28rocblas_dot_batched_4_kernelIiLi32ELi4ELb0EffPKPKDF16_EviT5_lT_lS4_lS5_liPT4_
		.amdhsa_group_segment_fixed_size 0
		.amdhsa_private_segment_fixed_size 0
		.amdhsa_kernarg_size 88
		.amdhsa_user_sgpr_count 15
		.amdhsa_user_sgpr_dispatch_ptr 0
		.amdhsa_user_sgpr_queue_ptr 0
		.amdhsa_user_sgpr_kernarg_segment_ptr 1
		.amdhsa_user_sgpr_dispatch_id 0
		.amdhsa_user_sgpr_private_segment_size 0
		.amdhsa_wavefront_size32 1
		.amdhsa_uses_dynamic_stack 0
		.amdhsa_enable_private_segment 0
		.amdhsa_system_sgpr_workgroup_id_x 1
		.amdhsa_system_sgpr_workgroup_id_y 0
		.amdhsa_system_sgpr_workgroup_id_z 0
		.amdhsa_system_sgpr_workgroup_info 0
		.amdhsa_system_vgpr_workitem_id 1
		.amdhsa_next_free_vgpr 12
		.amdhsa_next_free_sgpr 16
		.amdhsa_reserve_vcc 1
		.amdhsa_float_round_mode_32 0
		.amdhsa_float_round_mode_16_64 0
		.amdhsa_float_denorm_mode_32 3
		.amdhsa_float_denorm_mode_16_64 3
		.amdhsa_dx10_clamp 1
		.amdhsa_ieee_mode 1
		.amdhsa_fp16_overflow 0
		.amdhsa_workgroup_processor_mode 1
		.amdhsa_memory_ordered 1
		.amdhsa_forward_progress 0
		.amdhsa_shared_vgpr_count 0
		.amdhsa_exception_fp_ieee_invalid_op 0
		.amdhsa_exception_fp_denorm_src 0
		.amdhsa_exception_fp_ieee_div_zero 0
		.amdhsa_exception_fp_ieee_overflow 0
		.amdhsa_exception_fp_ieee_underflow 0
		.amdhsa_exception_fp_ieee_inexact 0
		.amdhsa_exception_int_div_zero 0
	.end_amdhsa_kernel
	.section	.text._ZL28rocblas_dot_batched_4_kernelIiLi32ELi4ELb0EffPKPKDF16_EviT5_lT_lS4_lS5_liPT4_,"axG",@progbits,_ZL28rocblas_dot_batched_4_kernelIiLi32ELi4ELb0EffPKPKDF16_EviT5_lT_lS4_lS5_liPT4_,comdat
.Lfunc_end409:
	.size	_ZL28rocblas_dot_batched_4_kernelIiLi32ELi4ELb0EffPKPKDF16_EviT5_lT_lS4_lS5_liPT4_, .Lfunc_end409-_ZL28rocblas_dot_batched_4_kernelIiLi32ELi4ELb0EffPKPKDF16_EviT5_lT_lS4_lS5_liPT4_
                                        ; -- End function
	.section	.AMDGPU.csdata,"",@progbits
; Kernel info:
; codeLenInByte = 700
; NumSgprs: 18
; NumVgprs: 12
; ScratchSize: 0
; MemoryBound: 0
; FloatMode: 240
; IeeeMode: 1
; LDSByteSize: 0 bytes/workgroup (compile time only)
; SGPRBlocks: 2
; VGPRBlocks: 1
; NumSGPRsForWavesPerEU: 18
; NumVGPRsForWavesPerEU: 12
; Occupancy: 16
; WaveLimiterHint : 0
; COMPUTE_PGM_RSRC2:SCRATCH_EN: 0
; COMPUTE_PGM_RSRC2:USER_SGPR: 15
; COMPUTE_PGM_RSRC2:TRAP_HANDLER: 0
; COMPUTE_PGM_RSRC2:TGID_X_EN: 1
; COMPUTE_PGM_RSRC2:TGID_Y_EN: 0
; COMPUTE_PGM_RSRC2:TGID_Z_EN: 0
; COMPUTE_PGM_RSRC2:TIDIG_COMP_CNT: 1
	.section	.text._ZL28rocblas_dot_batched_4_kernelIiLi64ELi4ELb0EffPKPKDF16_EviT5_lT_lS4_lS5_liPT4_,"axG",@progbits,_ZL28rocblas_dot_batched_4_kernelIiLi64ELi4ELb0EffPKPKDF16_EviT5_lT_lS4_lS5_liPT4_,comdat
	.globl	_ZL28rocblas_dot_batched_4_kernelIiLi64ELi4ELb0EffPKPKDF16_EviT5_lT_lS4_lS5_liPT4_ ; -- Begin function _ZL28rocblas_dot_batched_4_kernelIiLi64ELi4ELb0EffPKPKDF16_EviT5_lT_lS4_lS5_liPT4_
	.p2align	8
	.type	_ZL28rocblas_dot_batched_4_kernelIiLi64ELi4ELb0EffPKPKDF16_EviT5_lT_lS4_lS5_liPT4_,@function
_ZL28rocblas_dot_batched_4_kernelIiLi64ELi4ELb0EffPKPKDF16_EviT5_lT_lS4_lS5_liPT4_: ; @_ZL28rocblas_dot_batched_4_kernelIiLi64ELi4ELb0EffPKPKDF16_EviT5_lT_lS4_lS5_liPT4_
; %bb.0:
	s_load_b32 s2, s[0:1], 0x48
	v_bfe_u32 v1, v0, 10, 10
	s_delay_alu instid0(VALU_DEP_1) | instskip(SKIP_1) | instid1(VALU_DEP_1)
	v_lshl_add_u32 v1, s15, 2, v1
	s_waitcnt lgkmcnt(0)
	v_cmp_gt_u32_e32 vcc_lo, s2, v1
	s_and_saveexec_b32 s2, vcc_lo
	s_cbranch_execz .LBB410_7
; %bb.1:
	s_clause 0x1
	s_load_b32 s12, s[0:1], 0x0
	s_load_b64 s[2:3], s[0:1], 0x50
	v_mov_b32_e32 v2, 0
	v_and_b32_e32 v0, 0x3ff, v0
	s_mov_b32 s13, exec_lo
	s_delay_alu instid0(VALU_DEP_2) | instskip(SKIP_1) | instid1(VALU_DEP_2)
	v_mov_b32_e32 v7, v2
	s_waitcnt lgkmcnt(0)
	v_cmpx_gt_i32_e64 s12, v0
	s_cbranch_execz .LBB410_5
; %bb.2:
	s_clause 0x1
	s_load_b128 s[4:7], s[0:1], 0x8
	s_load_b128 s[8:11], s[0:1], 0x28
	v_lshlrev_b64 v[3:4], 3, v[1:2]
	s_clause 0x1
	s_load_b32 s14, s[0:1], 0x18
	s_load_b32 s0, s[0:1], 0x38
	v_mov_b32_e32 v7, 0
	s_waitcnt lgkmcnt(0)
	v_add_co_u32 v5, vcc_lo, s4, v3
	v_add_co_ci_u32_e32 v6, vcc_lo, s5, v4, vcc_lo
	v_add_co_u32 v3, vcc_lo, s8, v3
	v_add_co_ci_u32_e32 v4, vcc_lo, s9, v4, vcc_lo
	v_mad_i64_i32 v[10:11], null, s0, v0, 0
	global_load_b64 v[5:6], v[5:6], off
	global_load_b64 v[8:9], v[3:4], off
	v_mad_i64_i32 v[3:4], null, s14, v0, 0
	s_lshl_b64 s[4:5], s[6:7], 1
	s_lshl_b64 s[6:7], s[10:11], 1
	s_ashr_i32 s15, s14, 31
	v_lshlrev_b64 v[10:11], 1, v[10:11]
	s_ashr_i32 s1, s0, 31
	s_delay_alu instid0(VALU_DEP_2) | instskip(NEXT) | instid1(VALU_DEP_1)
	v_lshlrev_b64 v[3:4], 1, v[3:4]
	v_add_co_u32 v3, vcc_lo, v3, s4
	s_delay_alu instid0(VALU_DEP_2) | instskip(NEXT) | instid1(VALU_DEP_4)
	v_add_co_ci_u32_e32 v4, vcc_lo, s5, v4, vcc_lo
	v_add_co_u32 v10, vcc_lo, v10, s6
	v_add_co_ci_u32_e32 v11, vcc_lo, s7, v11, vcc_lo
	s_lshl_b64 s[4:5], s[14:15], 7
	s_lshl_b64 s[6:7], s[0:1], 7
	s_mov_b32 s1, 0
	s_waitcnt vmcnt(1)
	v_add_co_u32 v3, vcc_lo, v5, v3
	v_add_co_ci_u32_e32 v4, vcc_lo, v6, v4, vcc_lo
	s_waitcnt vmcnt(0)
	v_add_co_u32 v5, vcc_lo, v8, v10
	v_mov_b32_e32 v8, v0
	v_add_co_ci_u32_e32 v6, vcc_lo, v9, v11, vcc_lo
	.p2align	6
.LBB410_3:                              ; =>This Inner Loop Header: Depth=1
	global_load_u16 v9, v[3:4], off
	global_load_u16 v10, v[5:6], off
	v_add_nc_u32_e32 v8, 64, v8
	v_add_co_u32 v3, vcc_lo, v3, s4
	v_add_co_ci_u32_e32 v4, vcc_lo, s5, v4, vcc_lo
	v_add_co_u32 v5, vcc_lo, v5, s6
	s_delay_alu instid0(VALU_DEP_4) | instskip(SKIP_1) | instid1(VALU_DEP_2)
	v_cmp_le_i32_e64 s0, s12, v8
	v_add_co_ci_u32_e32 v6, vcc_lo, s7, v6, vcc_lo
	s_or_b32 s1, s0, s1
	s_waitcnt vmcnt(0)
	v_fma_mix_f32 v7, v9, v10, v7 op_sel_hi:[1,1,0]
	s_and_not1_b32 exec_lo, exec_lo, s1
	s_cbranch_execnz .LBB410_3
; %bb.4:
	s_or_b32 exec_lo, exec_lo, s1
.LBB410_5:
	s_delay_alu instid0(SALU_CYCLE_1)
	s_or_b32 exec_lo, exec_lo, s13
	v_mbcnt_lo_u32_b32 v3, -1, 0
	s_barrier
	buffer_gl0_inv
	v_lshlrev_b32_e32 v4, 2, v3
	v_cmp_gt_u32_e32 vcc_lo, 16, v3
	ds_bpermute_b32 v4, v4, v7
	v_cndmask_b32_e64 v5, 0, 1, vcc_lo
	v_cmp_gt_u32_e32 vcc_lo, 24, v3
	s_delay_alu instid0(VALU_DEP_2) | instskip(SKIP_2) | instid1(VALU_DEP_2)
	v_lshlrev_b32_e32 v5, 4, v5
	v_cndmask_b32_e64 v6, 0, 1, vcc_lo
	v_cmp_gt_u32_e32 vcc_lo, 28, v3
	v_lshlrev_b32_e32 v6, 3, v6
	s_delay_alu instid0(VALU_DEP_1)
	v_add_lshl_u32 v6, v6, v3, 2
	s_waitcnt lgkmcnt(0)
	v_add_f32_e32 v4, v7, v4
	v_add_lshl_u32 v5, v5, v3, 2
	ds_bpermute_b32 v5, v5, v4
	s_waitcnt lgkmcnt(0)
	v_add_f32_e32 v4, v4, v5
	ds_bpermute_b32 v5, v6, v4
	v_cndmask_b32_e64 v6, 0, 1, vcc_lo
	v_cmp_gt_u32_e32 vcc_lo, 30, v3
	s_delay_alu instid0(VALU_DEP_2) | instskip(NEXT) | instid1(VALU_DEP_1)
	v_lshlrev_b32_e32 v6, 2, v6
	v_add_lshl_u32 v6, v6, v3, 2
	s_waitcnt lgkmcnt(0)
	v_add_f32_e32 v4, v4, v5
	ds_bpermute_b32 v5, v6, v4
	v_cndmask_b32_e64 v6, 0, 1, vcc_lo
	v_cmp_ne_u32_e32 vcc_lo, 31, v3
	s_delay_alu instid0(VALU_DEP_2) | instskip(NEXT) | instid1(VALU_DEP_1)
	v_lshlrev_b32_e32 v6, 1, v6
	v_add_lshl_u32 v6, v6, v3, 2
	s_waitcnt lgkmcnt(0)
	v_add_f32_e32 v4, v4, v5
	ds_bpermute_b32 v5, v6, v4
	v_add_co_ci_u32_e32 v6, vcc_lo, 0, v3, vcc_lo
	v_cmp_eq_u32_e32 vcc_lo, 0, v0
	s_waitcnt lgkmcnt(0)
	s_delay_alu instid0(VALU_DEP_2)
	v_dual_add_f32 v3, v4, v5 :: v_dual_lshlrev_b32 v4, 2, v6
	ds_bpermute_b32 v4, v4, v3
	s_and_b32 exec_lo, exec_lo, vcc_lo
	s_cbranch_execz .LBB410_7
; %bb.6:
	v_lshlrev_b64 v[0:1], 2, v[1:2]
	s_waitcnt lgkmcnt(0)
	v_add_f32_e32 v2, v3, v4
	s_delay_alu instid0(VALU_DEP_2) | instskip(NEXT) | instid1(VALU_DEP_3)
	v_add_co_u32 v0, vcc_lo, s2, v0
	v_add_co_ci_u32_e32 v1, vcc_lo, s3, v1, vcc_lo
	global_store_b32 v[0:1], v2, off
.LBB410_7:
	s_nop 0
	s_sendmsg sendmsg(MSG_DEALLOC_VGPRS)
	s_endpgm
	.section	.rodata,"a",@progbits
	.p2align	6, 0x0
	.amdhsa_kernel _ZL28rocblas_dot_batched_4_kernelIiLi64ELi4ELb0EffPKPKDF16_EviT5_lT_lS4_lS5_liPT4_
		.amdhsa_group_segment_fixed_size 0
		.amdhsa_private_segment_fixed_size 0
		.amdhsa_kernarg_size 88
		.amdhsa_user_sgpr_count 15
		.amdhsa_user_sgpr_dispatch_ptr 0
		.amdhsa_user_sgpr_queue_ptr 0
		.amdhsa_user_sgpr_kernarg_segment_ptr 1
		.amdhsa_user_sgpr_dispatch_id 0
		.amdhsa_user_sgpr_private_segment_size 0
		.amdhsa_wavefront_size32 1
		.amdhsa_uses_dynamic_stack 0
		.amdhsa_enable_private_segment 0
		.amdhsa_system_sgpr_workgroup_id_x 1
		.amdhsa_system_sgpr_workgroup_id_y 0
		.amdhsa_system_sgpr_workgroup_id_z 0
		.amdhsa_system_sgpr_workgroup_info 0
		.amdhsa_system_vgpr_workitem_id 1
		.amdhsa_next_free_vgpr 12
		.amdhsa_next_free_sgpr 16
		.amdhsa_reserve_vcc 1
		.amdhsa_float_round_mode_32 0
		.amdhsa_float_round_mode_16_64 0
		.amdhsa_float_denorm_mode_32 3
		.amdhsa_float_denorm_mode_16_64 3
		.amdhsa_dx10_clamp 1
		.amdhsa_ieee_mode 1
		.amdhsa_fp16_overflow 0
		.amdhsa_workgroup_processor_mode 1
		.amdhsa_memory_ordered 1
		.amdhsa_forward_progress 0
		.amdhsa_shared_vgpr_count 0
		.amdhsa_exception_fp_ieee_invalid_op 0
		.amdhsa_exception_fp_denorm_src 0
		.amdhsa_exception_fp_ieee_div_zero 0
		.amdhsa_exception_fp_ieee_overflow 0
		.amdhsa_exception_fp_ieee_underflow 0
		.amdhsa_exception_fp_ieee_inexact 0
		.amdhsa_exception_int_div_zero 0
	.end_amdhsa_kernel
	.section	.text._ZL28rocblas_dot_batched_4_kernelIiLi64ELi4ELb0EffPKPKDF16_EviT5_lT_lS4_lS5_liPT4_,"axG",@progbits,_ZL28rocblas_dot_batched_4_kernelIiLi64ELi4ELb0EffPKPKDF16_EviT5_lT_lS4_lS5_liPT4_,comdat
.Lfunc_end410:
	.size	_ZL28rocblas_dot_batched_4_kernelIiLi64ELi4ELb0EffPKPKDF16_EviT5_lT_lS4_lS5_liPT4_, .Lfunc_end410-_ZL28rocblas_dot_batched_4_kernelIiLi64ELi4ELb0EffPKPKDF16_EviT5_lT_lS4_lS5_liPT4_
                                        ; -- End function
	.section	.AMDGPU.csdata,"",@progbits
; Kernel info:
; codeLenInByte = 724
; NumSgprs: 18
; NumVgprs: 12
; ScratchSize: 0
; MemoryBound: 0
; FloatMode: 240
; IeeeMode: 1
; LDSByteSize: 0 bytes/workgroup (compile time only)
; SGPRBlocks: 2
; VGPRBlocks: 1
; NumSGPRsForWavesPerEU: 18
; NumVGPRsForWavesPerEU: 12
; Occupancy: 16
; WaveLimiterHint : 0
; COMPUTE_PGM_RSRC2:SCRATCH_EN: 0
; COMPUTE_PGM_RSRC2:USER_SGPR: 15
; COMPUTE_PGM_RSRC2:TRAP_HANDLER: 0
; COMPUTE_PGM_RSRC2:TGID_X_EN: 1
; COMPUTE_PGM_RSRC2:TGID_Y_EN: 0
; COMPUTE_PGM_RSRC2:TGID_Z_EN: 0
; COMPUTE_PGM_RSRC2:TIDIG_COMP_CNT: 1
	.section	.text._ZL18rocblas_dot_kernelIiLb1ELi1024ELi32ELb0EfPKPKDF16_fEviT5_lT_lS4_lS5_liPT6_PT4_,"axG",@progbits,_ZL18rocblas_dot_kernelIiLb1ELi1024ELi32ELb0EfPKPKDF16_fEviT5_lT_lS4_lS5_liPT6_PT4_,comdat
	.globl	_ZL18rocblas_dot_kernelIiLb1ELi1024ELi32ELb0EfPKPKDF16_fEviT5_lT_lS4_lS5_liPT6_PT4_ ; -- Begin function _ZL18rocblas_dot_kernelIiLb1ELi1024ELi32ELb0EfPKPKDF16_fEviT5_lT_lS4_lS5_liPT6_PT4_
	.p2align	8
	.type	_ZL18rocblas_dot_kernelIiLb1ELi1024ELi32ELb0EfPKPKDF16_fEviT5_lT_lS4_lS5_liPT6_PT4_,@function
_ZL18rocblas_dot_kernelIiLb1ELi1024ELi32ELb0EfPKPKDF16_fEviT5_lT_lS4_lS5_liPT6_PT4_: ; @_ZL18rocblas_dot_kernelIiLb1ELi1024ELi32ELb0EfPKPKDF16_fEviT5_lT_lS4_lS5_liPT6_PT4_
; %bb.0:
	s_clause 0x1
	s_load_b32 s10, s[0:1], 0x0
	s_load_b64 s[2:3], s[0:1], 0x58
	v_mov_b32_e32 v5, 0
	s_mov_b32 s8, s15
	s_mov_b32 s9, 0
	s_mov_b32 s11, exec_lo
	s_waitcnt lgkmcnt(0)
	v_cmpx_gt_i32_e64 s10, v0
	s_cbranch_execz .LBB411_4
; %bb.1:
	s_clause 0x4
	s_load_b128 s[12:15], s[0:1], 0x8
	s_load_b128 s[4:7], s[0:1], 0x28
	s_load_b32 s18, s[0:1], 0x18
	s_load_b32 s20, s[0:1], 0x38
	;; [unrolled: 1-line block ×3, first 2 shown]
	s_lshl_b64 s[0:1], s[8:9], 3
	v_mov_b32_e32 v5, 0
	s_waitcnt lgkmcnt(0)
	s_add_u32 s12, s12, s0
	s_addc_u32 s13, s13, s1
	s_add_u32 s0, s4, s0
	s_load_b64 s[12:13], s[12:13], 0x0
	s_addc_u32 s1, s5, s1
	v_mad_i64_i32 v[1:2], null, s18, v0, 0
	s_load_b64 s[16:17], s[0:1], 0x0
	v_mad_i64_i32 v[3:4], null, s20, v0, 0
	s_lshl_b32 s1, s19, 10
	s_lshl_b64 s[4:5], s[14:15], 1
	s_mul_hi_i32 s15, s18, s1
	s_delay_alu instid0(VALU_DEP_2) | instskip(SKIP_2) | instid1(VALU_DEP_3)
	v_lshlrev_b64 v[1:2], 1, v[1:2]
	s_mul_i32 s14, s18, s1
	v_or_b32_e32 v6, s1, v0
	v_lshlrev_b64 v[3:4], 1, v[3:4]
	s_mul_hi_i32 s19, s20, s1
	s_mul_i32 s18, s20, s1
	s_waitcnt lgkmcnt(0)
	s_add_u32 s0, s12, s4
	s_addc_u32 s12, s13, s5
	s_lshl_b64 s[6:7], s[6:7], 1
	s_lshl_b64 s[4:5], s[14:15], 1
	v_add_co_u32 v1, vcc_lo, s0, v1
	s_add_u32 s0, s16, s6
	v_add_co_ci_u32_e32 v2, vcc_lo, s12, v2, vcc_lo
	s_addc_u32 s6, s17, s7
	v_add_co_u32 v3, vcc_lo, s0, v3
	v_add_co_ci_u32_e32 v4, vcc_lo, s6, v4, vcc_lo
	s_lshl_b64 s[6:7], s[18:19], 1
	s_mov_b32 s12, s9
	s_mov_b32 s13, s9
	.p2align	6
.LBB411_2:                              ; =>This Inner Loop Header: Depth=1
	global_load_u16 v7, v[3:4], off
	global_load_u16 v8, v[1:2], off
	v_add_co_u32 v1, s0, v1, s4
	s_delay_alu instid0(VALU_DEP_1)
	v_add_co_ci_u32_e64 v2, s0, s5, v2, s0
	s_add_i32 s14, s13, 1
	v_cmp_le_i32_e32 vcc_lo, s10, v6
	v_add_co_u32 v3, s0, v3, s6
	s_cmp_gt_u32 s13, 30
	v_add_co_ci_u32_e64 v4, s0, s7, v4, s0
	s_cselect_b32 s0, -1, 0
	v_add_nc_u32_e32 v6, s1, v6
	s_or_b32 s0, s0, vcc_lo
	s_mov_b32 s13, s14
	s_and_b32 s0, exec_lo, s0
	s_delay_alu instid0(SALU_CYCLE_1)
	s_or_b32 s12, s0, s12
	s_waitcnt vmcnt(0)
	v_fma_mix_f32 v5, v7, v8, v5 op_sel_hi:[1,1,0]
	s_and_not1_b32 exec_lo, exec_lo, s12
	s_cbranch_execnz .LBB411_2
; %bb.3:
	s_or_b32 exec_lo, exec_lo, s12
.LBB411_4:
	s_delay_alu instid0(SALU_CYCLE_1) | instskip(SKIP_2) | instid1(VALU_DEP_2)
	s_or_b32 exec_lo, exec_lo, s11
	v_and_b32_e32 v7, 31, v0
	v_cmp_gt_u32_e32 vcc_lo, 32, v0
	v_lshlrev_b32_e32 v1, 2, v7
	s_and_saveexec_b32 s0, vcc_lo
	s_cbranch_execz .LBB411_6
; %bb.5:
	v_mov_b32_e32 v2, 0
	ds_store_b32 v1, v2
.LBB411_6:
	s_or_b32 exec_lo, exec_lo, s0
	v_mbcnt_lo_u32_b32 v6, -1, 0
	s_mov_b32 s1, exec_lo
	s_waitcnt lgkmcnt(0)
	s_barrier
	buffer_gl0_inv
	v_cmp_gt_u32_e64 s0, 16, v6
	s_delay_alu instid0(VALU_DEP_1) | instskip(SKIP_1) | instid1(VALU_DEP_2)
	v_cndmask_b32_e64 v2, 0, 1, s0
	v_cmp_gt_u32_e64 s0, 24, v6
	v_lshlrev_b32_e32 v2, 4, v2
	s_delay_alu instid0(VALU_DEP_2) | instskip(SKIP_1) | instid1(VALU_DEP_3)
	v_cndmask_b32_e64 v3, 0, 1, s0
	v_cmp_gt_u32_e64 s0, 28, v6
	v_add_lshl_u32 v2, v2, v6, 2
	ds_bpermute_b32 v4, v2, v5
	s_waitcnt lgkmcnt(0)
	v_add_f32_e32 v5, v5, v4
	v_lshlrev_b32_e32 v3, 3, v3
	v_cndmask_b32_e64 v4, 0, 1, s0
	v_cmp_gt_u32_e64 s0, 30, v6
	s_delay_alu instid0(VALU_DEP_3) | instskip(NEXT) | instid1(VALU_DEP_3)
	v_add_lshl_u32 v3, v3, v6, 2
	v_lshlrev_b32_e32 v4, 2, v4
	ds_bpermute_b32 v8, v3, v5
	v_add_lshl_u32 v4, v4, v6, 2
	s_waitcnt lgkmcnt(0)
	v_add_f32_e32 v8, v5, v8
	v_cndmask_b32_e64 v5, 0, 1, s0
	v_cmp_ne_u32_e64 s0, 31, v6
	ds_bpermute_b32 v9, v4, v8
	v_lshlrev_b32_e32 v5, 1, v5
	s_delay_alu instid0(VALU_DEP_1) | instskip(SKIP_1) | instid1(VALU_DEP_1)
	v_add_lshl_u32 v5, v5, v6, 2
	v_add_co_ci_u32_e64 v6, s0, 0, v6, s0
	v_lshlrev_b32_e32 v6, 2, v6
	s_waitcnt lgkmcnt(0)
	v_add_f32_e32 v8, v8, v9
	ds_bpermute_b32 v9, v5, v8
	s_waitcnt lgkmcnt(0)
	v_add_f32_e32 v8, v8, v9
	ds_bpermute_b32 v9, v6, v8
	v_cmpx_eq_u32_e32 0, v7
	s_cbranch_execz .LBB411_8
; %bb.7:
	v_lshrrev_b32_e32 v7, 3, v0
	s_waitcnt lgkmcnt(0)
	s_delay_alu instid0(VALU_DEP_1)
	v_dual_add_f32 v8, v8, v9 :: v_dual_and_b32 v7, 0x7c, v7
	ds_store_b32 v7, v8
.LBB411_8:
	s_or_b32 exec_lo, exec_lo, s1
	v_mov_b32_e32 v7, 0
	s_waitcnt lgkmcnt(0)
	s_barrier
	buffer_gl0_inv
	s_and_saveexec_b32 s0, vcc_lo
	s_cbranch_execz .LBB411_10
; %bb.9:
	ds_load_b32 v7, v1
.LBB411_10:
	s_or_b32 exec_lo, exec_lo, s0
	s_and_saveexec_b32 s0, vcc_lo
	s_cbranch_execz .LBB411_12
; %bb.11:
	s_waitcnt lgkmcnt(0)
	ds_bpermute_b32 v1, v2, v7
	s_waitcnt lgkmcnt(0)
	v_add_f32_e32 v1, v7, v1
	ds_bpermute_b32 v2, v3, v1
	s_waitcnt lgkmcnt(0)
	v_add_f32_e32 v1, v1, v2
	;; [unrolled: 3-line block ×5, first 2 shown]
.LBB411_12:
	s_or_b32 exec_lo, exec_lo, s0
	s_delay_alu instid0(SALU_CYCLE_1)
	s_mov_b32 s0, exec_lo
	v_cmpx_eq_u32_e32 0, v0
	s_cbranch_execz .LBB411_14
; %bb.13:
	s_lshl_b64 s[0:1], s[8:9], 2
	v_mov_b32_e32 v0, 0
	s_add_u32 s0, s2, s0
	s_addc_u32 s1, s3, s1
	s_waitcnt lgkmcnt(0)
	global_store_b32 v0, v7, s[0:1]
.LBB411_14:
	s_nop 0
	s_sendmsg sendmsg(MSG_DEALLOC_VGPRS)
	s_endpgm
	.section	.rodata,"a",@progbits
	.p2align	6, 0x0
	.amdhsa_kernel _ZL18rocblas_dot_kernelIiLb1ELi1024ELi32ELb0EfPKPKDF16_fEviT5_lT_lS4_lS5_liPT6_PT4_
		.amdhsa_group_segment_fixed_size 128
		.amdhsa_private_segment_fixed_size 0
		.amdhsa_kernarg_size 352
		.amdhsa_user_sgpr_count 14
		.amdhsa_user_sgpr_dispatch_ptr 0
		.amdhsa_user_sgpr_queue_ptr 0
		.amdhsa_user_sgpr_kernarg_segment_ptr 1
		.amdhsa_user_sgpr_dispatch_id 0
		.amdhsa_user_sgpr_private_segment_size 0
		.amdhsa_wavefront_size32 1
		.amdhsa_uses_dynamic_stack 0
		.amdhsa_enable_private_segment 0
		.amdhsa_system_sgpr_workgroup_id_x 1
		.amdhsa_system_sgpr_workgroup_id_y 0
		.amdhsa_system_sgpr_workgroup_id_z 1
		.amdhsa_system_sgpr_workgroup_info 0
		.amdhsa_system_vgpr_workitem_id 0
		.amdhsa_next_free_vgpr 10
		.amdhsa_next_free_sgpr 21
		.amdhsa_reserve_vcc 1
		.amdhsa_float_round_mode_32 0
		.amdhsa_float_round_mode_16_64 0
		.amdhsa_float_denorm_mode_32 3
		.amdhsa_float_denorm_mode_16_64 3
		.amdhsa_dx10_clamp 1
		.amdhsa_ieee_mode 1
		.amdhsa_fp16_overflow 0
		.amdhsa_workgroup_processor_mode 1
		.amdhsa_memory_ordered 1
		.amdhsa_forward_progress 0
		.amdhsa_shared_vgpr_count 0
		.amdhsa_exception_fp_ieee_invalid_op 0
		.amdhsa_exception_fp_denorm_src 0
		.amdhsa_exception_fp_ieee_div_zero 0
		.amdhsa_exception_fp_ieee_overflow 0
		.amdhsa_exception_fp_ieee_underflow 0
		.amdhsa_exception_fp_ieee_inexact 0
		.amdhsa_exception_int_div_zero 0
	.end_amdhsa_kernel
	.section	.text._ZL18rocblas_dot_kernelIiLb1ELi1024ELi32ELb0EfPKPKDF16_fEviT5_lT_lS4_lS5_liPT6_PT4_,"axG",@progbits,_ZL18rocblas_dot_kernelIiLb1ELi1024ELi32ELb0EfPKPKDF16_fEviT5_lT_lS4_lS5_liPT6_PT4_,comdat
.Lfunc_end411:
	.size	_ZL18rocblas_dot_kernelIiLb1ELi1024ELi32ELb0EfPKPKDF16_fEviT5_lT_lS4_lS5_liPT6_PT4_, .Lfunc_end411-_ZL18rocblas_dot_kernelIiLb1ELi1024ELi32ELb0EfPKPKDF16_fEviT5_lT_lS4_lS5_liPT6_PT4_
                                        ; -- End function
	.section	.AMDGPU.csdata,"",@progbits
; Kernel info:
; codeLenInByte = 912
; NumSgprs: 23
; NumVgprs: 10
; ScratchSize: 0
; MemoryBound: 0
; FloatMode: 240
; IeeeMode: 1
; LDSByteSize: 128 bytes/workgroup (compile time only)
; SGPRBlocks: 2
; VGPRBlocks: 1
; NumSGPRsForWavesPerEU: 23
; NumVGPRsForWavesPerEU: 10
; Occupancy: 16
; WaveLimiterHint : 0
; COMPUTE_PGM_RSRC2:SCRATCH_EN: 0
; COMPUTE_PGM_RSRC2:USER_SGPR: 14
; COMPUTE_PGM_RSRC2:TRAP_HANDLER: 0
; COMPUTE_PGM_RSRC2:TGID_X_EN: 1
; COMPUTE_PGM_RSRC2:TGID_Y_EN: 0
; COMPUTE_PGM_RSRC2:TGID_Z_EN: 1
; COMPUTE_PGM_RSRC2:TIDIG_COMP_CNT: 0
	.section	.text._ZL24rocblas_dot_kernel_magsqIiLb1ELi1024ELi32ELb0EfPKPKDF16_fEviT5_lT_liPT6_PT4_,"axG",@progbits,_ZL24rocblas_dot_kernel_magsqIiLb1ELi1024ELi32ELb0EfPKPKDF16_fEviT5_lT_liPT6_PT4_,comdat
	.globl	_ZL24rocblas_dot_kernel_magsqIiLb1ELi1024ELi32ELb0EfPKPKDF16_fEviT5_lT_liPT6_PT4_ ; -- Begin function _ZL24rocblas_dot_kernel_magsqIiLb1ELi1024ELi32ELb0EfPKPKDF16_fEviT5_lT_liPT6_PT4_
	.p2align	8
	.type	_ZL24rocblas_dot_kernel_magsqIiLb1ELi1024ELi32ELb0EfPKPKDF16_fEviT5_lT_liPT6_PT4_,@function
_ZL24rocblas_dot_kernel_magsqIiLb1ELi1024ELi32ELb0EfPKPKDF16_fEviT5_lT_liPT6_PT4_: ; @_ZL24rocblas_dot_kernel_magsqIiLb1ELi1024ELi32ELb0EfPKPKDF16_fEviT5_lT_liPT6_PT4_
; %bb.0:
	s_clause 0x1
	s_load_b32 s8, s[0:1], 0x0
	s_load_b64 s[2:3], s[0:1], 0x38
	v_mov_b32_e32 v3, 0
	s_mov_b32 s4, s15
	s_mov_b32 s5, 0
	s_mov_b32 s9, exec_lo
	s_waitcnt lgkmcnt(0)
	v_cmpx_gt_i32_e64 s8, v0
	s_cbranch_execz .LBB412_4
; %bb.1:
	s_clause 0x2
	s_load_b128 s[12:15], s[0:1], 0x8
	s_load_b32 s16, s[0:1], 0x18
	s_load_b32 s10, s[0:1], 0x40
	s_lshl_b64 s[0:1], s[4:5], 3
	v_mov_b32_e32 v3, 0
	s_waitcnt lgkmcnt(0)
	s_add_u32 s0, s12, s0
	s_addc_u32 s1, s13, s1
	v_mad_i64_i32 v[1:2], null, s16, v0, 0
	s_load_b64 s[6:7], s[0:1], 0x0
	s_lshl_b32 s1, s10, 10
	s_lshl_b64 s[10:11], s[14:15], 1
	v_or_b32_e32 v4, s1, v0
	s_mul_hi_i32 s13, s16, s1
	s_mul_i32 s12, s16, s1
	s_delay_alu instid0(VALU_DEP_2) | instskip(SKIP_3) | instid1(VALU_DEP_1)
	v_lshlrev_b64 v[1:2], 1, v[1:2]
	s_waitcnt lgkmcnt(0)
	s_add_u32 s0, s6, s10
	s_addc_u32 s6, s7, s11
	v_add_co_u32 v1, vcc_lo, s0, v1
	s_delay_alu instid0(VALU_DEP_2)
	v_add_co_ci_u32_e32 v2, vcc_lo, s6, v2, vcc_lo
	s_lshl_b64 s[6:7], s[12:13], 1
	s_mov_b32 s10, s5
	s_mov_b32 s11, s5
	.p2align	6
.LBB412_2:                              ; =>This Inner Loop Header: Depth=1
	global_load_u16 v5, v[1:2], off
	s_add_i32 s12, s11, 1
	v_cmp_le_i32_e32 vcc_lo, s8, v4
	v_add_co_u32 v1, s0, v1, s6
	s_cmp_gt_u32 s11, 30
	v_add_co_ci_u32_e64 v2, s0, s7, v2, s0
	s_cselect_b32 s0, -1, 0
	v_add_nc_u32_e32 v4, s1, v4
	s_or_b32 s0, s0, vcc_lo
	s_mov_b32 s11, s12
	s_and_b32 s0, exec_lo, s0
	s_delay_alu instid0(SALU_CYCLE_1)
	s_or_b32 s10, s0, s10
	s_waitcnt vmcnt(0)
	v_fma_mix_f32 v3, v5, v5, v3 op_sel_hi:[1,1,0]
	s_and_not1_b32 exec_lo, exec_lo, s10
	s_cbranch_execnz .LBB412_2
; %bb.3:
	s_or_b32 exec_lo, exec_lo, s10
.LBB412_4:
	s_delay_alu instid0(SALU_CYCLE_1) | instskip(SKIP_2) | instid1(VALU_DEP_2)
	s_or_b32 exec_lo, exec_lo, s9
	v_and_b32_e32 v7, 31, v0
	v_cmp_gt_u32_e32 vcc_lo, 32, v0
	v_lshlrev_b32_e32 v1, 2, v7
	s_and_saveexec_b32 s0, vcc_lo
	s_cbranch_execz .LBB412_6
; %bb.5:
	v_mov_b32_e32 v2, 0
	ds_store_b32 v1, v2
.LBB412_6:
	s_or_b32 exec_lo, exec_lo, s0
	v_mbcnt_lo_u32_b32 v6, -1, 0
	s_mov_b32 s1, exec_lo
	s_waitcnt lgkmcnt(0)
	s_barrier
	buffer_gl0_inv
	v_cmp_gt_u32_e64 s0, 16, v6
	s_delay_alu instid0(VALU_DEP_1) | instskip(SKIP_1) | instid1(VALU_DEP_2)
	v_cndmask_b32_e64 v2, 0, 1, s0
	v_cmp_gt_u32_e64 s0, 24, v6
	v_lshlrev_b32_e32 v2, 4, v2
	s_delay_alu instid0(VALU_DEP_2) | instskip(SKIP_1) | instid1(VALU_DEP_3)
	v_cndmask_b32_e64 v4, 0, 1, s0
	v_cmp_gt_u32_e64 s0, 28, v6
	v_add_lshl_u32 v2, v2, v6, 2
	s_delay_alu instid0(VALU_DEP_3)
	v_lshlrev_b32_e32 v4, 3, v4
	ds_bpermute_b32 v5, v2, v3
	v_add_lshl_u32 v4, v4, v6, 2
	s_waitcnt lgkmcnt(0)
	v_add_f32_e32 v5, v3, v5
	v_cndmask_b32_e64 v3, 0, 1, s0
	v_cmp_gt_u32_e64 s0, 30, v6
	ds_bpermute_b32 v8, v4, v5
	s_waitcnt lgkmcnt(0)
	v_dual_add_f32 v8, v5, v8 :: v_dual_lshlrev_b32 v3, 2, v3
	s_delay_alu instid0(VALU_DEP_1) | instskip(SKIP_4) | instid1(VALU_DEP_1)
	v_add_lshl_u32 v3, v3, v6, 2
	v_cndmask_b32_e64 v5, 0, 1, s0
	v_cmp_ne_u32_e64 s0, 31, v6
	ds_bpermute_b32 v9, v3, v8
	v_lshlrev_b32_e32 v5, 1, v5
	v_add_lshl_u32 v5, v5, v6, 2
	v_add_co_ci_u32_e64 v6, s0, 0, v6, s0
	s_delay_alu instid0(VALU_DEP_1)
	v_lshlrev_b32_e32 v6, 2, v6
	s_waitcnt lgkmcnt(0)
	v_add_f32_e32 v8, v8, v9
	ds_bpermute_b32 v9, v5, v8
	s_waitcnt lgkmcnt(0)
	v_add_f32_e32 v8, v8, v9
	ds_bpermute_b32 v9, v6, v8
	v_cmpx_eq_u32_e32 0, v7
	s_cbranch_execz .LBB412_8
; %bb.7:
	v_lshrrev_b32_e32 v7, 3, v0
	s_waitcnt lgkmcnt(0)
	s_delay_alu instid0(VALU_DEP_1)
	v_dual_add_f32 v8, v8, v9 :: v_dual_and_b32 v7, 0x7c, v7
	ds_store_b32 v7, v8
.LBB412_8:
	s_or_b32 exec_lo, exec_lo, s1
	v_mov_b32_e32 v7, 0
	s_waitcnt lgkmcnt(0)
	s_barrier
	buffer_gl0_inv
	s_and_saveexec_b32 s0, vcc_lo
	s_cbranch_execz .LBB412_10
; %bb.9:
	ds_load_b32 v7, v1
.LBB412_10:
	s_or_b32 exec_lo, exec_lo, s0
	s_and_saveexec_b32 s0, vcc_lo
	s_cbranch_execz .LBB412_12
; %bb.11:
	s_waitcnt lgkmcnt(0)
	ds_bpermute_b32 v1, v2, v7
	s_waitcnt lgkmcnt(0)
	v_add_f32_e32 v1, v7, v1
	ds_bpermute_b32 v2, v4, v1
	s_waitcnt lgkmcnt(0)
	v_add_f32_e32 v1, v1, v2
	;; [unrolled: 3-line block ×5, first 2 shown]
.LBB412_12:
	s_or_b32 exec_lo, exec_lo, s0
	s_delay_alu instid0(SALU_CYCLE_1)
	s_mov_b32 s0, exec_lo
	v_cmpx_eq_u32_e32 0, v0
	s_cbranch_execz .LBB412_14
; %bb.13:
	s_lshl_b64 s[0:1], s[4:5], 2
	v_mov_b32_e32 v0, 0
	s_add_u32 s0, s2, s0
	s_addc_u32 s1, s3, s1
	s_waitcnt lgkmcnt(0)
	global_store_b32 v0, v7, s[0:1]
.LBB412_14:
	s_nop 0
	s_sendmsg sendmsg(MSG_DEALLOC_VGPRS)
	s_endpgm
	.section	.rodata,"a",@progbits
	.p2align	6, 0x0
	.amdhsa_kernel _ZL24rocblas_dot_kernel_magsqIiLb1ELi1024ELi32ELb0EfPKPKDF16_fEviT5_lT_liPT6_PT4_
		.amdhsa_group_segment_fixed_size 128
		.amdhsa_private_segment_fixed_size 0
		.amdhsa_kernarg_size 320
		.amdhsa_user_sgpr_count 14
		.amdhsa_user_sgpr_dispatch_ptr 0
		.amdhsa_user_sgpr_queue_ptr 0
		.amdhsa_user_sgpr_kernarg_segment_ptr 1
		.amdhsa_user_sgpr_dispatch_id 0
		.amdhsa_user_sgpr_private_segment_size 0
		.amdhsa_wavefront_size32 1
		.amdhsa_uses_dynamic_stack 0
		.amdhsa_enable_private_segment 0
		.amdhsa_system_sgpr_workgroup_id_x 1
		.amdhsa_system_sgpr_workgroup_id_y 0
		.amdhsa_system_sgpr_workgroup_id_z 1
		.amdhsa_system_sgpr_workgroup_info 0
		.amdhsa_system_vgpr_workitem_id 0
		.amdhsa_next_free_vgpr 10
		.amdhsa_next_free_sgpr 17
		.amdhsa_reserve_vcc 1
		.amdhsa_float_round_mode_32 0
		.amdhsa_float_round_mode_16_64 0
		.amdhsa_float_denorm_mode_32 3
		.amdhsa_float_denorm_mode_16_64 3
		.amdhsa_dx10_clamp 1
		.amdhsa_ieee_mode 1
		.amdhsa_fp16_overflow 0
		.amdhsa_workgroup_processor_mode 1
		.amdhsa_memory_ordered 1
		.amdhsa_forward_progress 0
		.amdhsa_shared_vgpr_count 0
		.amdhsa_exception_fp_ieee_invalid_op 0
		.amdhsa_exception_fp_denorm_src 0
		.amdhsa_exception_fp_ieee_div_zero 0
		.amdhsa_exception_fp_ieee_overflow 0
		.amdhsa_exception_fp_ieee_underflow 0
		.amdhsa_exception_fp_ieee_inexact 0
		.amdhsa_exception_int_div_zero 0
	.end_amdhsa_kernel
	.section	.text._ZL24rocblas_dot_kernel_magsqIiLb1ELi1024ELi32ELb0EfPKPKDF16_fEviT5_lT_liPT6_PT4_,"axG",@progbits,_ZL24rocblas_dot_kernel_magsqIiLb1ELi1024ELi32ELb0EfPKPKDF16_fEviT5_lT_liPT6_PT4_,comdat
.Lfunc_end412:
	.size	_ZL24rocblas_dot_kernel_magsqIiLb1ELi1024ELi32ELb0EfPKPKDF16_fEviT5_lT_liPT6_PT4_, .Lfunc_end412-_ZL24rocblas_dot_kernel_magsqIiLb1ELi1024ELi32ELb0EfPKPKDF16_fEviT5_lT_liPT6_PT4_
                                        ; -- End function
	.section	.AMDGPU.csdata,"",@progbits
; Kernel info:
; codeLenInByte = 808
; NumSgprs: 19
; NumVgprs: 10
; ScratchSize: 0
; MemoryBound: 0
; FloatMode: 240
; IeeeMode: 1
; LDSByteSize: 128 bytes/workgroup (compile time only)
; SGPRBlocks: 2
; VGPRBlocks: 1
; NumSGPRsForWavesPerEU: 19
; NumVGPRsForWavesPerEU: 10
; Occupancy: 16
; WaveLimiterHint : 0
; COMPUTE_PGM_RSRC2:SCRATCH_EN: 0
; COMPUTE_PGM_RSRC2:USER_SGPR: 14
; COMPUTE_PGM_RSRC2:TRAP_HANDLER: 0
; COMPUTE_PGM_RSRC2:TGID_X_EN: 1
; COMPUTE_PGM_RSRC2:TGID_Y_EN: 0
; COMPUTE_PGM_RSRC2:TGID_Z_EN: 1
; COMPUTE_PGM_RSRC2:TIDIG_COMP_CNT: 0
	.section	.text._ZL38rocblas_dot_kernel_gfx942_float_doubleIiLi1024EfPKPKDF16_fEviT2_lT_lS4_lS5_lPT3_PT1_,"axG",@progbits,_ZL38rocblas_dot_kernel_gfx942_float_doubleIiLi1024EfPKPKDF16_fEviT2_lT_lS4_lS5_lPT3_PT1_,comdat
	.globl	_ZL38rocblas_dot_kernel_gfx942_float_doubleIiLi1024EfPKPKDF16_fEviT2_lT_lS4_lS5_lPT3_PT1_ ; -- Begin function _ZL38rocblas_dot_kernel_gfx942_float_doubleIiLi1024EfPKPKDF16_fEviT2_lT_lS4_lS5_lPT3_PT1_
	.p2align	8
	.type	_ZL38rocblas_dot_kernel_gfx942_float_doubleIiLi1024EfPKPKDF16_fEviT2_lT_lS4_lS5_lPT3_PT1_,@function
_ZL38rocblas_dot_kernel_gfx942_float_doubleIiLi1024EfPKPKDF16_fEviT2_lT_lS4_lS5_lPT3_PT1_: ; @_ZL38rocblas_dot_kernel_gfx942_float_doubleIiLi1024EfPKPKDF16_fEviT2_lT_lS4_lS5_lPT3_PT1_
; %bb.0:
	s_endpgm
	.section	.rodata,"a",@progbits
	.p2align	6, 0x0
	.amdhsa_kernel _ZL38rocblas_dot_kernel_gfx942_float_doubleIiLi1024EfPKPKDF16_fEviT2_lT_lS4_lS5_lPT3_PT1_
		.amdhsa_group_segment_fixed_size 0
		.amdhsa_private_segment_fixed_size 0
		.amdhsa_kernarg_size 88
		.amdhsa_user_sgpr_count 15
		.amdhsa_user_sgpr_dispatch_ptr 0
		.amdhsa_user_sgpr_queue_ptr 0
		.amdhsa_user_sgpr_kernarg_segment_ptr 1
		.amdhsa_user_sgpr_dispatch_id 0
		.amdhsa_user_sgpr_private_segment_size 0
		.amdhsa_wavefront_size32 1
		.amdhsa_uses_dynamic_stack 0
		.amdhsa_enable_private_segment 0
		.amdhsa_system_sgpr_workgroup_id_x 1
		.amdhsa_system_sgpr_workgroup_id_y 0
		.amdhsa_system_sgpr_workgroup_id_z 0
		.amdhsa_system_sgpr_workgroup_info 0
		.amdhsa_system_vgpr_workitem_id 0
		.amdhsa_next_free_vgpr 1
		.amdhsa_next_free_sgpr 1
		.amdhsa_reserve_vcc 0
		.amdhsa_float_round_mode_32 0
		.amdhsa_float_round_mode_16_64 0
		.amdhsa_float_denorm_mode_32 3
		.amdhsa_float_denorm_mode_16_64 3
		.amdhsa_dx10_clamp 1
		.amdhsa_ieee_mode 1
		.amdhsa_fp16_overflow 0
		.amdhsa_workgroup_processor_mode 1
		.amdhsa_memory_ordered 1
		.amdhsa_forward_progress 0
		.amdhsa_shared_vgpr_count 0
		.amdhsa_exception_fp_ieee_invalid_op 0
		.amdhsa_exception_fp_denorm_src 0
		.amdhsa_exception_fp_ieee_div_zero 0
		.amdhsa_exception_fp_ieee_overflow 0
		.amdhsa_exception_fp_ieee_underflow 0
		.amdhsa_exception_fp_ieee_inexact 0
		.amdhsa_exception_int_div_zero 0
	.end_amdhsa_kernel
	.section	.text._ZL38rocblas_dot_kernel_gfx942_float_doubleIiLi1024EfPKPKDF16_fEviT2_lT_lS4_lS5_lPT3_PT1_,"axG",@progbits,_ZL38rocblas_dot_kernel_gfx942_float_doubleIiLi1024EfPKPKDF16_fEviT2_lT_lS4_lS5_lPT3_PT1_,comdat
.Lfunc_end413:
	.size	_ZL38rocblas_dot_kernel_gfx942_float_doubleIiLi1024EfPKPKDF16_fEviT2_lT_lS4_lS5_lPT3_PT1_, .Lfunc_end413-_ZL38rocblas_dot_kernel_gfx942_float_doubleIiLi1024EfPKPKDF16_fEviT2_lT_lS4_lS5_lPT3_PT1_
                                        ; -- End function
	.section	.AMDGPU.csdata,"",@progbits
; Kernel info:
; codeLenInByte = 4
; NumSgprs: 0
; NumVgprs: 0
; ScratchSize: 0
; MemoryBound: 0
; FloatMode: 240
; IeeeMode: 1
; LDSByteSize: 0 bytes/workgroup (compile time only)
; SGPRBlocks: 0
; VGPRBlocks: 0
; NumSGPRsForWavesPerEU: 1
; NumVGPRsForWavesPerEU: 1
; Occupancy: 16
; WaveLimiterHint : 0
; COMPUTE_PGM_RSRC2:SCRATCH_EN: 0
; COMPUTE_PGM_RSRC2:USER_SGPR: 15
; COMPUTE_PGM_RSRC2:TRAP_HANDLER: 0
; COMPUTE_PGM_RSRC2:TGID_X_EN: 1
; COMPUTE_PGM_RSRC2:TGID_Y_EN: 0
; COMPUTE_PGM_RSRC2:TGID_Z_EN: 0
; COMPUTE_PGM_RSRC2:TIDIG_COMP_CNT: 0
	.section	.text._ZL18rocblas_dot_kernelIiLb0ELi512ELi4ELb0EfPKPKDF16_fEviT5_lT_lS4_lS5_liPT6_PT4_,"axG",@progbits,_ZL18rocblas_dot_kernelIiLb0ELi512ELi4ELb0EfPKPKDF16_fEviT5_lT_lS4_lS5_liPT6_PT4_,comdat
	.globl	_ZL18rocblas_dot_kernelIiLb0ELi512ELi4ELb0EfPKPKDF16_fEviT5_lT_lS4_lS5_liPT6_PT4_ ; -- Begin function _ZL18rocblas_dot_kernelIiLb0ELi512ELi4ELb0EfPKPKDF16_fEviT5_lT_lS4_lS5_liPT6_PT4_
	.p2align	8
	.type	_ZL18rocblas_dot_kernelIiLb0ELi512ELi4ELb0EfPKPKDF16_fEviT5_lT_lS4_lS5_liPT6_PT4_,@function
_ZL18rocblas_dot_kernelIiLb0ELi512ELi4ELb0EfPKPKDF16_fEviT5_lT_lS4_lS5_liPT6_PT4_: ; @_ZL18rocblas_dot_kernelIiLb0ELi512ELi4ELb0EfPKPKDF16_fEviT5_lT_lS4_lS5_liPT6_PT4_
; %bb.0:
	s_clause 0x2
	s_load_b32 s12, s[0:1], 0x60
	s_load_b32 s13, s[0:1], 0x0
	s_load_b128 s[4:7], s[0:1], 0x50
	v_lshl_or_b32 v1, s14, 9, v0
	v_mov_b32_e32 v5, 0
	s_mov_b32 s2, s15
	s_mov_b32 s3, 0
	s_mov_b32 s15, exec_lo
	s_waitcnt lgkmcnt(0)
	v_cmpx_gt_i32_e64 s13, v1
	s_cbranch_execz .LBB414_4
; %bb.1:
	s_clause 0x3
	s_load_b128 s[16:19], s[0:1], 0x8
	s_load_b128 s[8:11], s[0:1], 0x28
	s_load_b32 s22, s[0:1], 0x18
	s_load_b32 s24, s[0:1], 0x38
	s_lshl_b64 s[0:1], s[2:3], 3
	s_waitcnt lgkmcnt(0)
	s_add_u32 s16, s16, s0
	s_addc_u32 s17, s17, s1
	s_add_u32 s0, s8, s0
	s_load_b64 s[16:17], s[16:17], 0x0
	s_addc_u32 s1, s9, s1
	v_mad_i64_i32 v[2:3], null, s22, v1, 0
	s_load_b64 s[20:21], s[0:1], 0x0
	v_mad_i64_i32 v[4:5], null, s24, v1, 0
	s_lshl_b32 s1, s12, 9
	s_lshl_b64 s[8:9], s[18:19], 1
	v_add_nc_u32_e32 v6, s1, v1
	s_delay_alu instid0(VALU_DEP_3) | instskip(SKIP_2) | instid1(VALU_DEP_3)
	v_lshlrev_b64 v[1:2], 1, v[2:3]
	s_mul_hi_i32 s19, s22, s1
	s_mul_i32 s18, s22, s1
	v_lshlrev_b64 v[3:4], 1, v[4:5]
	v_mov_b32_e32 v5, 0
	s_mul_hi_i32 s23, s24, s1
	s_mul_i32 s22, s24, s1
	s_waitcnt lgkmcnt(0)
	s_add_u32 s0, s16, s8
	s_addc_u32 s16, s17, s9
	s_lshl_b64 s[10:11], s[10:11], 1
	s_lshl_b64 s[8:9], s[18:19], 1
	v_add_co_u32 v1, vcc_lo, s0, v1
	s_add_u32 s0, s20, s10
	v_add_co_ci_u32_e32 v2, vcc_lo, s16, v2, vcc_lo
	s_addc_u32 s10, s21, s11
	v_add_co_u32 v3, vcc_lo, s0, v3
	v_add_co_ci_u32_e32 v4, vcc_lo, s10, v4, vcc_lo
	s_lshl_b64 s[10:11], s[22:23], 1
	s_mov_b32 s16, s3
	s_mov_b32 s17, s3
	.p2align	6
.LBB414_2:                              ; =>This Inner Loop Header: Depth=1
	global_load_u16 v7, v[3:4], off
	global_load_u16 v8, v[1:2], off
	v_add_co_u32 v1, s0, v1, s8
	s_delay_alu instid0(VALU_DEP_1)
	v_add_co_ci_u32_e64 v2, s0, s9, v2, s0
	s_add_i32 s18, s17, 1
	v_cmp_le_i32_e32 vcc_lo, s13, v6
	v_add_co_u32 v3, s0, v3, s10
	s_cmp_gt_u32 s17, 2
	v_add_co_ci_u32_e64 v4, s0, s11, v4, s0
	s_cselect_b32 s0, -1, 0
	v_add_nc_u32_e32 v6, s1, v6
	s_or_b32 s0, s0, vcc_lo
	s_mov_b32 s17, s18
	s_and_b32 s0, exec_lo, s0
	s_delay_alu instid0(SALU_CYCLE_1)
	s_or_b32 s16, s0, s16
	s_waitcnt vmcnt(0)
	v_fma_mix_f32 v5, v7, v8, v5 op_sel_hi:[1,1,0]
	s_and_not1_b32 exec_lo, exec_lo, s16
	s_cbranch_execnz .LBB414_2
; %bb.3:
	s_or_b32 exec_lo, exec_lo, s16
.LBB414_4:
	s_delay_alu instid0(SALU_CYCLE_1) | instskip(SKIP_2) | instid1(VALU_DEP_2)
	s_or_b32 exec_lo, exec_lo, s15
	v_and_b32_e32 v2, 31, v0
	v_cmp_gt_u32_e32 vcc_lo, 32, v0
	v_lshlrev_b32_e32 v1, 2, v2
	s_and_saveexec_b32 s0, vcc_lo
	s_cbranch_execz .LBB414_6
; %bb.5:
	v_mov_b32_e32 v3, 0
	ds_store_b32 v1, v3
.LBB414_6:
	s_or_b32 exec_lo, exec_lo, s0
	v_mbcnt_lo_u32_b32 v6, -1, 0
	s_mov_b32 s1, exec_lo
	s_waitcnt lgkmcnt(0)
	s_barrier
	buffer_gl0_inv
	v_cmp_gt_u32_e64 s0, 16, v6
	s_delay_alu instid0(VALU_DEP_1) | instskip(SKIP_1) | instid1(VALU_DEP_2)
	v_cndmask_b32_e64 v3, 0, 1, s0
	v_cmp_gt_u32_e64 s0, 24, v6
	v_lshlrev_b32_e32 v3, 4, v3
	s_delay_alu instid0(VALU_DEP_1) | instskip(SKIP_3) | instid1(VALU_DEP_2)
	v_add_lshl_u32 v3, v3, v6, 2
	ds_bpermute_b32 v4, v3, v5
	v_cndmask_b32_e64 v3, 0, 1, s0
	v_cmp_gt_u32_e64 s0, 28, v6
	v_lshlrev_b32_e32 v3, 3, v3
	s_delay_alu instid0(VALU_DEP_1)
	v_add_lshl_u32 v3, v3, v6, 2
	s_waitcnt lgkmcnt(0)
	v_add_f32_e32 v5, v5, v4
	v_cndmask_b32_e64 v4, 0, 1, s0
	v_cmp_gt_u32_e64 s0, 30, v6
	ds_bpermute_b32 v7, v3, v5
	s_waitcnt lgkmcnt(0)
	v_dual_add_f32 v7, v5, v7 :: v_dual_lshlrev_b32 v4, 2, v4
	s_delay_alu instid0(VALU_DEP_1) | instskip(SKIP_4) | instid1(VALU_DEP_1)
	v_add_lshl_u32 v4, v4, v6, 2
	v_cndmask_b32_e64 v5, 0, 1, s0
	v_cmp_ne_u32_e64 s0, 31, v6
	ds_bpermute_b32 v8, v4, v7
	v_lshlrev_b32_e32 v5, 1, v5
	v_add_lshl_u32 v5, v5, v6, 2
	v_add_co_ci_u32_e64 v6, s0, 0, v6, s0
	s_waitcnt lgkmcnt(0)
	s_delay_alu instid0(VALU_DEP_1)
	v_dual_add_f32 v7, v7, v8 :: v_dual_lshlrev_b32 v6, 2, v6
	ds_bpermute_b32 v8, v5, v7
	s_waitcnt lgkmcnt(0)
	v_add_f32_e32 v7, v7, v8
	ds_bpermute_b32 v8, v6, v7
	v_cmpx_eq_u32_e32 0, v2
	s_cbranch_execz .LBB414_8
; %bb.7:
	v_lshrrev_b32_e32 v2, 3, v0
	s_waitcnt lgkmcnt(0)
	s_delay_alu instid0(VALU_DEP_1)
	v_dual_add_f32 v7, v7, v8 :: v_dual_and_b32 v2, 60, v2
	ds_store_b32 v2, v7
.LBB414_8:
	s_or_b32 exec_lo, exec_lo, s1
	v_mov_b32_e32 v2, 0
	s_mov_b32 s1, exec_lo
	s_waitcnt lgkmcnt(0)
	s_barrier
	buffer_gl0_inv
	v_cmpx_gt_u32_e32 16, v0
	s_cbranch_execz .LBB414_10
; %bb.9:
	ds_load_b32 v2, v1
.LBB414_10:
	s_or_b32 exec_lo, exec_lo, s1
	s_and_saveexec_b32 s0, vcc_lo
	s_cbranch_execz .LBB414_12
; %bb.11:
	s_waitcnt lgkmcnt(0)
	ds_bpermute_b32 v1, v3, v2
	s_waitcnt lgkmcnt(0)
	v_add_f32_e32 v1, v2, v1
	ds_bpermute_b32 v2, v4, v1
	s_waitcnt lgkmcnt(0)
	v_add_f32_e32 v1, v1, v2
	ds_bpermute_b32 v2, v5, v1
	s_waitcnt lgkmcnt(0)
	v_add_f32_e32 v1, v1, v2
	ds_bpermute_b32 v2, v6, v1
	s_waitcnt lgkmcnt(0)
	v_add_f32_e32 v2, v1, v2
.LBB414_12:
	s_or_b32 exec_lo, exec_lo, s0
	s_delay_alu instid0(SALU_CYCLE_1)
	s_mov_b32 s0, exec_lo
	v_cmpx_eq_u32_e32 0, v0
	s_cbranch_execz .LBB414_18
; %bb.13:
	s_cmp_lg_u32 s12, 1
	s_cbranch_scc0 .LBB414_15
; %bb.14:
	s_mul_hi_u32 s1, s12, s2
	s_mul_i32 s0, s12, s2
	s_mov_b32 s15, 0
	s_lshl_b64 s[0:1], s[0:1], 2
	s_delay_alu instid0(SALU_CYCLE_1) | instskip(SKIP_2) | instid1(SALU_CYCLE_1)
	s_add_u32 s4, s4, s0
	s_addc_u32 s5, s5, s1
	s_lshl_b64 s[0:1], s[14:15], 2
	s_add_u32 s0, s4, s0
	s_addc_u32 s1, s5, s1
	s_cbranch_execz .LBB414_16
	s_branch .LBB414_17
.LBB414_15:
                                        ; implicit-def: $sgpr0_sgpr1
.LBB414_16:
	s_lshl_b64 s[0:1], s[2:3], 2
	s_delay_alu instid0(SALU_CYCLE_1)
	s_add_u32 s0, s6, s0
	s_addc_u32 s1, s7, s1
.LBB414_17:
	v_mov_b32_e32 v0, 0
	s_waitcnt lgkmcnt(0)
	global_store_b32 v0, v2, s[0:1]
.LBB414_18:
	s_nop 0
	s_sendmsg sendmsg(MSG_DEALLOC_VGPRS)
	s_endpgm
	.section	.rodata,"a",@progbits
	.p2align	6, 0x0
	.amdhsa_kernel _ZL18rocblas_dot_kernelIiLb0ELi512ELi4ELb0EfPKPKDF16_fEviT5_lT_lS4_lS5_liPT6_PT4_
		.amdhsa_group_segment_fixed_size 128
		.amdhsa_private_segment_fixed_size 0
		.amdhsa_kernarg_size 352
		.amdhsa_user_sgpr_count 14
		.amdhsa_user_sgpr_dispatch_ptr 0
		.amdhsa_user_sgpr_queue_ptr 0
		.amdhsa_user_sgpr_kernarg_segment_ptr 1
		.amdhsa_user_sgpr_dispatch_id 0
		.amdhsa_user_sgpr_private_segment_size 0
		.amdhsa_wavefront_size32 1
		.amdhsa_uses_dynamic_stack 0
		.amdhsa_enable_private_segment 0
		.amdhsa_system_sgpr_workgroup_id_x 1
		.amdhsa_system_sgpr_workgroup_id_y 0
		.amdhsa_system_sgpr_workgroup_id_z 1
		.amdhsa_system_sgpr_workgroup_info 0
		.amdhsa_system_vgpr_workitem_id 0
		.amdhsa_next_free_vgpr 9
		.amdhsa_next_free_sgpr 25
		.amdhsa_reserve_vcc 1
		.amdhsa_float_round_mode_32 0
		.amdhsa_float_round_mode_16_64 0
		.amdhsa_float_denorm_mode_32 3
		.amdhsa_float_denorm_mode_16_64 3
		.amdhsa_dx10_clamp 1
		.amdhsa_ieee_mode 1
		.amdhsa_fp16_overflow 0
		.amdhsa_workgroup_processor_mode 1
		.amdhsa_memory_ordered 1
		.amdhsa_forward_progress 0
		.amdhsa_shared_vgpr_count 0
		.amdhsa_exception_fp_ieee_invalid_op 0
		.amdhsa_exception_fp_denorm_src 0
		.amdhsa_exception_fp_ieee_div_zero 0
		.amdhsa_exception_fp_ieee_overflow 0
		.amdhsa_exception_fp_ieee_underflow 0
		.amdhsa_exception_fp_ieee_inexact 0
		.amdhsa_exception_int_div_zero 0
	.end_amdhsa_kernel
	.section	.text._ZL18rocblas_dot_kernelIiLb0ELi512ELi4ELb0EfPKPKDF16_fEviT5_lT_lS4_lS5_liPT6_PT4_,"axG",@progbits,_ZL18rocblas_dot_kernelIiLb0ELi512ELi4ELb0EfPKPKDF16_fEviT5_lT_lS4_lS5_liPT6_PT4_,comdat
.Lfunc_end414:
	.size	_ZL18rocblas_dot_kernelIiLb0ELi512ELi4ELb0EfPKPKDF16_fEviT5_lT_lS4_lS5_liPT6_PT4_, .Lfunc_end414-_ZL18rocblas_dot_kernelIiLb0ELi512ELi4ELb0EfPKPKDF16_fEviT5_lT_lS4_lS5_liPT6_PT4_
                                        ; -- End function
	.section	.AMDGPU.csdata,"",@progbits
; Kernel info:
; codeLenInByte = 968
; NumSgprs: 27
; NumVgprs: 9
; ScratchSize: 0
; MemoryBound: 0
; FloatMode: 240
; IeeeMode: 1
; LDSByteSize: 128 bytes/workgroup (compile time only)
; SGPRBlocks: 3
; VGPRBlocks: 1
; NumSGPRsForWavesPerEU: 27
; NumVGPRsForWavesPerEU: 9
; Occupancy: 16
; WaveLimiterHint : 0
; COMPUTE_PGM_RSRC2:SCRATCH_EN: 0
; COMPUTE_PGM_RSRC2:USER_SGPR: 14
; COMPUTE_PGM_RSRC2:TRAP_HANDLER: 0
; COMPUTE_PGM_RSRC2:TGID_X_EN: 1
; COMPUTE_PGM_RSRC2:TGID_Y_EN: 0
; COMPUTE_PGM_RSRC2:TGID_Z_EN: 1
; COMPUTE_PGM_RSRC2:TIDIG_COMP_CNT: 0
	.section	.text._ZL24rocblas_dot_kernel_magsqIiLb0ELi512ELi4ELb0EfPKPKDF16_fEviT5_lT_liPT6_PT4_,"axG",@progbits,_ZL24rocblas_dot_kernel_magsqIiLb0ELi512ELi4ELb0EfPKPKDF16_fEviT5_lT_liPT6_PT4_,comdat
	.globl	_ZL24rocblas_dot_kernel_magsqIiLb0ELi512ELi4ELb0EfPKPKDF16_fEviT5_lT_liPT6_PT4_ ; -- Begin function _ZL24rocblas_dot_kernel_magsqIiLb0ELi512ELi4ELb0EfPKPKDF16_fEviT5_lT_liPT6_PT4_
	.p2align	8
	.type	_ZL24rocblas_dot_kernel_magsqIiLb0ELi512ELi4ELb0EfPKPKDF16_fEviT5_lT_liPT6_PT4_,@function
_ZL24rocblas_dot_kernel_magsqIiLb0ELi512ELi4ELb0EfPKPKDF16_fEviT5_lT_liPT6_PT4_: ; @_ZL24rocblas_dot_kernel_magsqIiLb0ELi512ELi4ELb0EfPKPKDF16_fEviT5_lT_liPT6_PT4_
; %bb.0:
	s_clause 0x2
	s_load_b32 s11, s[0:1], 0x0
	s_load_b128 s[4:7], s[0:1], 0x30
	s_load_b32 s10, s[0:1], 0x40
	v_lshl_or_b32 v1, s14, 9, v0
	v_mov_b32_e32 v3, 0
	s_mov_b32 s2, s15
	s_mov_b32 s3, 0
	s_mov_b32 s12, exec_lo
	s_waitcnt lgkmcnt(0)
	v_cmpx_gt_i32_e64 s11, v1
	s_cbranch_execz .LBB415_4
; %bb.1:
	s_clause 0x1
	s_load_b128 s[16:19], s[0:1], 0x8
	s_load_b32 s13, s[0:1], 0x18
	s_lshl_b64 s[0:1], s[2:3], 3
	s_mov_b32 s15, s3
	s_waitcnt lgkmcnt(0)
	s_add_u32 s0, s16, s0
	s_addc_u32 s1, s17, s1
	v_mad_i64_i32 v[2:3], null, s13, v1, 0
	s_load_b64 s[8:9], s[0:1], 0x0
	s_lshl_b32 s1, s10, 9
	s_lshl_b64 s[16:17], s[18:19], 1
	v_add_nc_u32_e32 v4, s1, v1
	s_mul_hi_i32 s19, s13, s1
	s_mul_i32 s18, s13, s1
	s_delay_alu instid0(VALU_DEP_2)
	v_lshlrev_b64 v[1:2], 1, v[2:3]
	v_mov_b32_e32 v3, 0
	s_mov_b32 s13, s3
	s_waitcnt lgkmcnt(0)
	s_add_u32 s0, s8, s16
	s_addc_u32 s8, s9, s17
	v_add_co_u32 v1, vcc_lo, s0, v1
	v_add_co_ci_u32_e32 v2, vcc_lo, s8, v2, vcc_lo
	s_lshl_b64 s[8:9], s[18:19], 1
	.p2align	6
.LBB415_2:                              ; =>This Inner Loop Header: Depth=1
	global_load_u16 v5, v[1:2], off
	s_add_i32 s16, s15, 1
	v_cmp_le_i32_e32 vcc_lo, s11, v4
	v_add_co_u32 v1, s0, v1, s8
	s_cmp_gt_u32 s15, 2
	v_add_co_ci_u32_e64 v2, s0, s9, v2, s0
	s_cselect_b32 s0, -1, 0
	v_add_nc_u32_e32 v4, s1, v4
	s_or_b32 s0, s0, vcc_lo
	s_mov_b32 s15, s16
	s_and_b32 s0, exec_lo, s0
	s_delay_alu instid0(SALU_CYCLE_1)
	s_or_b32 s13, s0, s13
	s_waitcnt vmcnt(0)
	v_fma_mix_f32 v3, v5, v5, v3 op_sel_hi:[1,1,0]
	s_and_not1_b32 exec_lo, exec_lo, s13
	s_cbranch_execnz .LBB415_2
; %bb.3:
	s_or_b32 exec_lo, exec_lo, s13
.LBB415_4:
	s_delay_alu instid0(SALU_CYCLE_1) | instskip(SKIP_2) | instid1(VALU_DEP_2)
	s_or_b32 exec_lo, exec_lo, s12
	v_and_b32_e32 v2, 31, v0
	v_cmp_gt_u32_e32 vcc_lo, 32, v0
	v_lshlrev_b32_e32 v1, 2, v2
	s_and_saveexec_b32 s0, vcc_lo
	s_cbranch_execz .LBB415_6
; %bb.5:
	v_mov_b32_e32 v4, 0
	ds_store_b32 v1, v4
.LBB415_6:
	s_or_b32 exec_lo, exec_lo, s0
	v_mbcnt_lo_u32_b32 v6, -1, 0
	s_mov_b32 s1, exec_lo
	s_waitcnt lgkmcnt(0)
	s_barrier
	buffer_gl0_inv
	v_cmp_gt_u32_e64 s0, 16, v6
	s_delay_alu instid0(VALU_DEP_1) | instskip(SKIP_1) | instid1(VALU_DEP_2)
	v_cndmask_b32_e64 v4, 0, 1, s0
	v_cmp_gt_u32_e64 s0, 24, v6
	v_lshlrev_b32_e32 v4, 4, v4
	s_delay_alu instid0(VALU_DEP_1) | instskip(SKIP_4) | instid1(VALU_DEP_2)
	v_add_lshl_u32 v4, v4, v6, 2
	ds_bpermute_b32 v5, v4, v3
	v_cndmask_b32_e64 v4, 0, 1, s0
	v_cmp_gt_u32_e64 s0, 28, v6
	s_waitcnt lgkmcnt(0)
	v_dual_add_f32 v5, v3, v5 :: v_dual_lshlrev_b32 v4, 3, v4
	s_delay_alu instid0(VALU_DEP_2) | instskip(SKIP_1) | instid1(VALU_DEP_3)
	v_cndmask_b32_e64 v3, 0, 1, s0
	v_cmp_gt_u32_e64 s0, 30, v6
	v_add_lshl_u32 v4, v4, v6, 2
	s_delay_alu instid0(VALU_DEP_3)
	v_lshlrev_b32_e32 v3, 2, v3
	ds_bpermute_b32 v7, v4, v5
	v_add_lshl_u32 v3, v3, v6, 2
	s_waitcnt lgkmcnt(0)
	v_add_f32_e32 v7, v5, v7
	v_cndmask_b32_e64 v5, 0, 1, s0
	v_cmp_ne_u32_e64 s0, 31, v6
	ds_bpermute_b32 v8, v3, v7
	v_lshlrev_b32_e32 v5, 1, v5
	s_delay_alu instid0(VALU_DEP_1) | instskip(SKIP_2) | instid1(VALU_DEP_1)
	v_add_lshl_u32 v5, v5, v6, 2
	v_add_co_ci_u32_e64 v6, s0, 0, v6, s0
	s_waitcnt lgkmcnt(0)
	v_dual_add_f32 v7, v7, v8 :: v_dual_lshlrev_b32 v6, 2, v6
	ds_bpermute_b32 v8, v5, v7
	s_waitcnt lgkmcnt(0)
	v_add_f32_e32 v7, v7, v8
	ds_bpermute_b32 v8, v6, v7
	v_cmpx_eq_u32_e32 0, v2
	s_cbranch_execz .LBB415_8
; %bb.7:
	v_lshrrev_b32_e32 v2, 3, v0
	s_waitcnt lgkmcnt(0)
	s_delay_alu instid0(VALU_DEP_1)
	v_dual_add_f32 v7, v7, v8 :: v_dual_and_b32 v2, 60, v2
	ds_store_b32 v2, v7
.LBB415_8:
	s_or_b32 exec_lo, exec_lo, s1
	v_mov_b32_e32 v2, 0
	s_mov_b32 s1, exec_lo
	s_waitcnt lgkmcnt(0)
	s_barrier
	buffer_gl0_inv
	v_cmpx_gt_u32_e32 16, v0
	s_cbranch_execz .LBB415_10
; %bb.9:
	ds_load_b32 v2, v1
.LBB415_10:
	s_or_b32 exec_lo, exec_lo, s1
	s_and_saveexec_b32 s0, vcc_lo
	s_cbranch_execz .LBB415_12
; %bb.11:
	s_waitcnt lgkmcnt(0)
	ds_bpermute_b32 v1, v4, v2
	s_waitcnt lgkmcnt(0)
	v_add_f32_e32 v1, v2, v1
	ds_bpermute_b32 v2, v3, v1
	s_waitcnt lgkmcnt(0)
	v_add_f32_e32 v1, v1, v2
	;; [unrolled: 3-line block ×4, first 2 shown]
.LBB415_12:
	s_or_b32 exec_lo, exec_lo, s0
	s_delay_alu instid0(SALU_CYCLE_1)
	s_mov_b32 s0, exec_lo
	v_cmpx_eq_u32_e32 0, v0
	s_cbranch_execz .LBB415_18
; %bb.13:
	s_cmp_lg_u32 s10, 1
	s_cbranch_scc0 .LBB415_15
; %bb.14:
	s_mul_hi_u32 s1, s10, s2
	s_mul_i32 s0, s10, s2
	s_mov_b32 s15, 0
	s_lshl_b64 s[0:1], s[0:1], 2
	s_delay_alu instid0(SALU_CYCLE_1) | instskip(SKIP_2) | instid1(SALU_CYCLE_1)
	s_add_u32 s4, s4, s0
	s_addc_u32 s5, s5, s1
	s_lshl_b64 s[0:1], s[14:15], 2
	s_add_u32 s0, s4, s0
	s_addc_u32 s1, s5, s1
	s_cbranch_execz .LBB415_16
	s_branch .LBB415_17
.LBB415_15:
                                        ; implicit-def: $sgpr0_sgpr1
.LBB415_16:
	s_lshl_b64 s[0:1], s[2:3], 2
	s_delay_alu instid0(SALU_CYCLE_1)
	s_add_u32 s0, s6, s0
	s_addc_u32 s1, s7, s1
.LBB415_17:
	v_mov_b32_e32 v0, 0
	s_waitcnt lgkmcnt(0)
	global_store_b32 v0, v2, s[0:1]
.LBB415_18:
	s_nop 0
	s_sendmsg sendmsg(MSG_DEALLOC_VGPRS)
	s_endpgm
	.section	.rodata,"a",@progbits
	.p2align	6, 0x0
	.amdhsa_kernel _ZL24rocblas_dot_kernel_magsqIiLb0ELi512ELi4ELb0EfPKPKDF16_fEviT5_lT_liPT6_PT4_
		.amdhsa_group_segment_fixed_size 128
		.amdhsa_private_segment_fixed_size 0
		.amdhsa_kernarg_size 320
		.amdhsa_user_sgpr_count 14
		.amdhsa_user_sgpr_dispatch_ptr 0
		.amdhsa_user_sgpr_queue_ptr 0
		.amdhsa_user_sgpr_kernarg_segment_ptr 1
		.amdhsa_user_sgpr_dispatch_id 0
		.amdhsa_user_sgpr_private_segment_size 0
		.amdhsa_wavefront_size32 1
		.amdhsa_uses_dynamic_stack 0
		.amdhsa_enable_private_segment 0
		.amdhsa_system_sgpr_workgroup_id_x 1
		.amdhsa_system_sgpr_workgroup_id_y 0
		.amdhsa_system_sgpr_workgroup_id_z 1
		.amdhsa_system_sgpr_workgroup_info 0
		.amdhsa_system_vgpr_workitem_id 0
		.amdhsa_next_free_vgpr 9
		.amdhsa_next_free_sgpr 20
		.amdhsa_reserve_vcc 1
		.amdhsa_float_round_mode_32 0
		.amdhsa_float_round_mode_16_64 0
		.amdhsa_float_denorm_mode_32 3
		.amdhsa_float_denorm_mode_16_64 3
		.amdhsa_dx10_clamp 1
		.amdhsa_ieee_mode 1
		.amdhsa_fp16_overflow 0
		.amdhsa_workgroup_processor_mode 1
		.amdhsa_memory_ordered 1
		.amdhsa_forward_progress 0
		.amdhsa_shared_vgpr_count 0
		.amdhsa_exception_fp_ieee_invalid_op 0
		.amdhsa_exception_fp_denorm_src 0
		.amdhsa_exception_fp_ieee_div_zero 0
		.amdhsa_exception_fp_ieee_overflow 0
		.amdhsa_exception_fp_ieee_underflow 0
		.amdhsa_exception_fp_ieee_inexact 0
		.amdhsa_exception_int_div_zero 0
	.end_amdhsa_kernel
	.section	.text._ZL24rocblas_dot_kernel_magsqIiLb0ELi512ELi4ELb0EfPKPKDF16_fEviT5_lT_liPT6_PT4_,"axG",@progbits,_ZL24rocblas_dot_kernel_magsqIiLb0ELi512ELi4ELb0EfPKPKDF16_fEviT5_lT_liPT6_PT4_,comdat
.Lfunc_end415:
	.size	_ZL24rocblas_dot_kernel_magsqIiLb0ELi512ELi4ELb0EfPKPKDF16_fEviT5_lT_liPT6_PT4_, .Lfunc_end415-_ZL24rocblas_dot_kernel_magsqIiLb0ELi512ELi4ELb0EfPKPKDF16_fEviT5_lT_liPT6_PT4_
                                        ; -- End function
	.section	.AMDGPU.csdata,"",@progbits
; Kernel info:
; codeLenInByte = 856
; NumSgprs: 22
; NumVgprs: 9
; ScratchSize: 0
; MemoryBound: 0
; FloatMode: 240
; IeeeMode: 1
; LDSByteSize: 128 bytes/workgroup (compile time only)
; SGPRBlocks: 2
; VGPRBlocks: 1
; NumSGPRsForWavesPerEU: 22
; NumVGPRsForWavesPerEU: 9
; Occupancy: 16
; WaveLimiterHint : 0
; COMPUTE_PGM_RSRC2:SCRATCH_EN: 0
; COMPUTE_PGM_RSRC2:USER_SGPR: 14
; COMPUTE_PGM_RSRC2:TRAP_HANDLER: 0
; COMPUTE_PGM_RSRC2:TGID_X_EN: 1
; COMPUTE_PGM_RSRC2:TGID_Y_EN: 0
; COMPUTE_PGM_RSRC2:TGID_Z_EN: 1
; COMPUTE_PGM_RSRC2:TIDIG_COMP_CNT: 0
	.section	.text._ZL28rocblas_dot_batched_4_kernelIlLi32ELi4ELb0EfDF16_PKPKDF16_EviT5_lT_lS4_lS5_liPT4_,"axG",@progbits,_ZL28rocblas_dot_batched_4_kernelIlLi32ELi4ELb0EfDF16_PKPKDF16_EviT5_lT_lS4_lS5_liPT4_,comdat
	.globl	_ZL28rocblas_dot_batched_4_kernelIlLi32ELi4ELb0EfDF16_PKPKDF16_EviT5_lT_lS4_lS5_liPT4_ ; -- Begin function _ZL28rocblas_dot_batched_4_kernelIlLi32ELi4ELb0EfDF16_PKPKDF16_EviT5_lT_lS4_lS5_liPT4_
	.p2align	8
	.type	_ZL28rocblas_dot_batched_4_kernelIlLi32ELi4ELb0EfDF16_PKPKDF16_EviT5_lT_lS4_lS5_liPT4_,@function
_ZL28rocblas_dot_batched_4_kernelIlLi32ELi4ELb0EfDF16_PKPKDF16_EviT5_lT_lS4_lS5_liPT4_: ; @_ZL28rocblas_dot_batched_4_kernelIlLi32ELi4ELb0EfDF16_PKPKDF16_EviT5_lT_lS4_lS5_liPT4_
; %bb.0:
	s_load_b32 s2, s[0:1], 0x48
	v_bfe_u32 v1, v0, 10, 10
	s_delay_alu instid0(VALU_DEP_1) | instskip(SKIP_1) | instid1(VALU_DEP_1)
	v_lshl_add_u32 v1, s15, 2, v1
	s_waitcnt lgkmcnt(0)
	v_cmp_gt_u32_e32 vcc_lo, s2, v1
	s_and_saveexec_b32 s2, vcc_lo
	s_cbranch_execz .LBB416_7
; %bb.1:
	s_clause 0x1
	s_load_b32 s10, s[0:1], 0x0
	s_load_b64 s[8:9], s[0:1], 0x50
	v_mov_b32_e32 v2, 0
	v_and_b32_e32 v0, 0x3ff, v0
	s_mov_b32 s11, exec_lo
	s_delay_alu instid0(VALU_DEP_2) | instskip(SKIP_1) | instid1(VALU_DEP_2)
	v_mov_b32_e32 v7, v2
	s_waitcnt lgkmcnt(0)
	v_cmpx_gt_i32_e64 s10, v0
	s_cbranch_execz .LBB416_5
; %bb.2:
	s_clause 0x1
	s_load_b64 s[12:13], s[0:1], 0x8
	s_load_b64 s[14:15], s[0:1], 0x28
	v_lshlrev_b64 v[3:4], 3, v[1:2]
	s_clause 0x1
	s_load_b128 s[4:7], s[0:1], 0x10
	s_load_b128 s[0:3], s[0:1], 0x30
	s_waitcnt lgkmcnt(0)
	s_delay_alu instid0(VALU_DEP_1)
	v_add_co_u32 v5, vcc_lo, s12, v3
	v_add_co_ci_u32_e32 v6, vcc_lo, s13, v4, vcc_lo
	v_add_co_u32 v3, vcc_lo, s14, v3
	v_add_co_ci_u32_e32 v4, vcc_lo, s15, v4, vcc_lo
	v_mad_u64_u32 v[10:11], null, s2, v0, 0
	global_load_b64 v[5:6], v[5:6], off
	global_load_b64 v[8:9], v[3:4], off
	v_mad_u64_u32 v[3:4], null, s6, v0, 0
	s_lshl_b64 s[4:5], s[4:5], 1
	s_lshl_b64 s[0:1], s[0:1], 1
	v_mov_b32_e32 v7, v11
	s_waitcnt vmcnt(1)
	s_delay_alu instid0(VALU_DEP_2) | instskip(SKIP_1) | instid1(VALU_DEP_2)
	v_mad_u64_u32 v[11:12], null, s7, v0, v[4:5]
	s_waitcnt vmcnt(0)
	v_mad_u64_u32 v[12:13], null, s3, v0, v[7:8]
	v_mov_b32_e32 v7, 0
	s_lshl_b64 s[2:3], s[2:3], 6
	s_delay_alu instid0(VALU_DEP_2) | instskip(NEXT) | instid1(VALU_DEP_1)
	v_dual_mov_b32 v4, v11 :: v_dual_mov_b32 v11, v12
	v_lshlrev_b64 v[3:4], 1, v[3:4]
	s_delay_alu instid0(VALU_DEP_2) | instskip(NEXT) | instid1(VALU_DEP_2)
	v_lshlrev_b64 v[10:11], 1, v[10:11]
	v_add_co_u32 v3, vcc_lo, v3, s4
	s_delay_alu instid0(VALU_DEP_3) | instskip(NEXT) | instid1(VALU_DEP_3)
	v_add_co_ci_u32_e32 v4, vcc_lo, s5, v4, vcc_lo
	v_add_co_u32 v10, vcc_lo, v10, s0
	s_delay_alu instid0(VALU_DEP_4) | instskip(NEXT) | instid1(VALU_DEP_4)
	v_add_co_ci_u32_e32 v11, vcc_lo, s1, v11, vcc_lo
	v_add_co_u32 v3, vcc_lo, v5, v3
	s_delay_alu instid0(VALU_DEP_4) | instskip(NEXT) | instid1(VALU_DEP_4)
	v_add_co_ci_u32_e32 v4, vcc_lo, v6, v4, vcc_lo
	v_add_co_u32 v5, vcc_lo, v8, v10
	s_delay_alu instid0(VALU_DEP_4)
	v_add_co_ci_u32_e32 v6, vcc_lo, v9, v11, vcc_lo
	v_mov_b32_e32 v8, v0
	s_lshl_b64 s[4:5], s[6:7], 6
	s_mov_b32 s1, 0
	.p2align	6
.LBB416_3:                              ; =>This Inner Loop Header: Depth=1
	global_load_u16 v9, v[3:4], off
	global_load_u16 v10, v[5:6], off
	v_add_nc_u32_e32 v8, 32, v8
	v_add_co_u32 v3, vcc_lo, v3, s4
	v_add_co_ci_u32_e32 v4, vcc_lo, s5, v4, vcc_lo
	v_add_co_u32 v5, vcc_lo, v5, s2
	s_delay_alu instid0(VALU_DEP_4) | instskip(SKIP_1) | instid1(VALU_DEP_2)
	v_cmp_le_i32_e64 s0, s10, v8
	v_add_co_ci_u32_e32 v6, vcc_lo, s3, v6, vcc_lo
	s_or_b32 s1, s0, s1
	s_waitcnt vmcnt(0)
	v_fma_mix_f32 v7, v9, v10, v7 op_sel_hi:[1,1,0]
	s_and_not1_b32 exec_lo, exec_lo, s1
	s_cbranch_execnz .LBB416_3
; %bb.4:
	s_or_b32 exec_lo, exec_lo, s1
.LBB416_5:
	s_delay_alu instid0(SALU_CYCLE_1)
	s_or_b32 exec_lo, exec_lo, s11
	v_mbcnt_lo_u32_b32 v3, -1, 0
	s_barrier
	buffer_gl0_inv
	v_cmp_gt_u32_e32 vcc_lo, 16, v3
	v_cndmask_b32_e64 v4, 0, 1, vcc_lo
	v_cmp_gt_u32_e32 vcc_lo, 24, v3
	s_delay_alu instid0(VALU_DEP_2) | instskip(SKIP_2) | instid1(VALU_DEP_3)
	v_lshlrev_b32_e32 v4, 4, v4
	v_cndmask_b32_e64 v5, 0, 1, vcc_lo
	v_cmp_gt_u32_e32 vcc_lo, 28, v3
	v_add_lshl_u32 v4, v4, v3, 2
	v_cndmask_b32_e64 v6, 0, 1, vcc_lo
	v_cmp_gt_u32_e32 vcc_lo, 30, v3
	ds_bpermute_b32 v4, v4, v7
	v_lshlrev_b32_e32 v5, 3, v5
	v_lshlrev_b32_e32 v6, 2, v6
	s_delay_alu instid0(VALU_DEP_1)
	v_add_lshl_u32 v6, v6, v3, 2
	s_waitcnt lgkmcnt(0)
	v_add_f32_e32 v4, v7, v4
	v_add_lshl_u32 v5, v5, v3, 2
	ds_bpermute_b32 v5, v5, v4
	s_waitcnt lgkmcnt(0)
	v_add_f32_e32 v4, v4, v5
	ds_bpermute_b32 v5, v6, v4
	v_cndmask_b32_e64 v6, 0, 1, vcc_lo
	v_cmp_ne_u32_e32 vcc_lo, 31, v3
	s_delay_alu instid0(VALU_DEP_2) | instskip(NEXT) | instid1(VALU_DEP_1)
	v_lshlrev_b32_e32 v6, 1, v6
	v_add_lshl_u32 v6, v6, v3, 2
	s_waitcnt lgkmcnt(0)
	v_add_f32_e32 v4, v4, v5
	ds_bpermute_b32 v5, v6, v4
	v_add_co_ci_u32_e32 v6, vcc_lo, 0, v3, vcc_lo
	v_cmp_eq_u32_e32 vcc_lo, 0, v0
	s_waitcnt lgkmcnt(0)
	s_delay_alu instid0(VALU_DEP_2)
	v_dual_add_f32 v3, v4, v5 :: v_dual_lshlrev_b32 v4, 2, v6
	ds_bpermute_b32 v4, v4, v3
	s_and_b32 exec_lo, exec_lo, vcc_lo
	s_cbranch_execz .LBB416_7
; %bb.6:
	v_lshlrev_b64 v[0:1], 1, v[1:2]
	s_waitcnt lgkmcnt(0)
	v_add_f32_e32 v2, v3, v4
	s_delay_alu instid0(VALU_DEP_1) | instskip(NEXT) | instid1(VALU_DEP_3)
	v_cvt_f16_f32_e32 v2, v2
	v_add_co_u32 v0, vcc_lo, s8, v0
	s_delay_alu instid0(VALU_DEP_4)
	v_add_co_ci_u32_e32 v1, vcc_lo, s9, v1, vcc_lo
	global_store_b16 v[0:1], v2, off
.LBB416_7:
	s_nop 0
	s_sendmsg sendmsg(MSG_DEALLOC_VGPRS)
	s_endpgm
	.section	.rodata,"a",@progbits
	.p2align	6, 0x0
	.amdhsa_kernel _ZL28rocblas_dot_batched_4_kernelIlLi32ELi4ELb0EfDF16_PKPKDF16_EviT5_lT_lS4_lS5_liPT4_
		.amdhsa_group_segment_fixed_size 0
		.amdhsa_private_segment_fixed_size 0
		.amdhsa_kernarg_size 88
		.amdhsa_user_sgpr_count 15
		.amdhsa_user_sgpr_dispatch_ptr 0
		.amdhsa_user_sgpr_queue_ptr 0
		.amdhsa_user_sgpr_kernarg_segment_ptr 1
		.amdhsa_user_sgpr_dispatch_id 0
		.amdhsa_user_sgpr_private_segment_size 0
		.amdhsa_wavefront_size32 1
		.amdhsa_uses_dynamic_stack 0
		.amdhsa_enable_private_segment 0
		.amdhsa_system_sgpr_workgroup_id_x 1
		.amdhsa_system_sgpr_workgroup_id_y 0
		.amdhsa_system_sgpr_workgroup_id_z 0
		.amdhsa_system_sgpr_workgroup_info 0
		.amdhsa_system_vgpr_workitem_id 1
		.amdhsa_next_free_vgpr 14
		.amdhsa_next_free_sgpr 16
		.amdhsa_reserve_vcc 1
		.amdhsa_float_round_mode_32 0
		.amdhsa_float_round_mode_16_64 0
		.amdhsa_float_denorm_mode_32 3
		.amdhsa_float_denorm_mode_16_64 3
		.amdhsa_dx10_clamp 1
		.amdhsa_ieee_mode 1
		.amdhsa_fp16_overflow 0
		.amdhsa_workgroup_processor_mode 1
		.amdhsa_memory_ordered 1
		.amdhsa_forward_progress 0
		.amdhsa_shared_vgpr_count 0
		.amdhsa_exception_fp_ieee_invalid_op 0
		.amdhsa_exception_fp_denorm_src 0
		.amdhsa_exception_fp_ieee_div_zero 0
		.amdhsa_exception_fp_ieee_overflow 0
		.amdhsa_exception_fp_ieee_underflow 0
		.amdhsa_exception_fp_ieee_inexact 0
		.amdhsa_exception_int_div_zero 0
	.end_amdhsa_kernel
	.section	.text._ZL28rocblas_dot_batched_4_kernelIlLi32ELi4ELb0EfDF16_PKPKDF16_EviT5_lT_lS4_lS5_liPT4_,"axG",@progbits,_ZL28rocblas_dot_batched_4_kernelIlLi32ELi4ELb0EfDF16_PKPKDF16_EviT5_lT_lS4_lS5_liPT4_,comdat
.Lfunc_end416:
	.size	_ZL28rocblas_dot_batched_4_kernelIlLi32ELi4ELb0EfDF16_PKPKDF16_EviT5_lT_lS4_lS5_liPT4_, .Lfunc_end416-_ZL28rocblas_dot_batched_4_kernelIlLi32ELi4ELb0EfDF16_PKPKDF16_EviT5_lT_lS4_lS5_liPT4_
                                        ; -- End function
	.section	.AMDGPU.csdata,"",@progbits
; Kernel info:
; codeLenInByte = 752
; NumSgprs: 18
; NumVgprs: 14
; ScratchSize: 0
; MemoryBound: 0
; FloatMode: 240
; IeeeMode: 1
; LDSByteSize: 0 bytes/workgroup (compile time only)
; SGPRBlocks: 2
; VGPRBlocks: 1
; NumSGPRsForWavesPerEU: 18
; NumVGPRsForWavesPerEU: 14
; Occupancy: 16
; WaveLimiterHint : 0
; COMPUTE_PGM_RSRC2:SCRATCH_EN: 0
; COMPUTE_PGM_RSRC2:USER_SGPR: 15
; COMPUTE_PGM_RSRC2:TRAP_HANDLER: 0
; COMPUTE_PGM_RSRC2:TGID_X_EN: 1
; COMPUTE_PGM_RSRC2:TGID_Y_EN: 0
; COMPUTE_PGM_RSRC2:TGID_Z_EN: 0
; COMPUTE_PGM_RSRC2:TIDIG_COMP_CNT: 1
	.section	.text._ZL28rocblas_dot_batched_4_kernelIlLi64ELi4ELb0EfDF16_PKPKDF16_EviT5_lT_lS4_lS5_liPT4_,"axG",@progbits,_ZL28rocblas_dot_batched_4_kernelIlLi64ELi4ELb0EfDF16_PKPKDF16_EviT5_lT_lS4_lS5_liPT4_,comdat
	.globl	_ZL28rocblas_dot_batched_4_kernelIlLi64ELi4ELb0EfDF16_PKPKDF16_EviT5_lT_lS4_lS5_liPT4_ ; -- Begin function _ZL28rocblas_dot_batched_4_kernelIlLi64ELi4ELb0EfDF16_PKPKDF16_EviT5_lT_lS4_lS5_liPT4_
	.p2align	8
	.type	_ZL28rocblas_dot_batched_4_kernelIlLi64ELi4ELb0EfDF16_PKPKDF16_EviT5_lT_lS4_lS5_liPT4_,@function
_ZL28rocblas_dot_batched_4_kernelIlLi64ELi4ELb0EfDF16_PKPKDF16_EviT5_lT_lS4_lS5_liPT4_: ; @_ZL28rocblas_dot_batched_4_kernelIlLi64ELi4ELb0EfDF16_PKPKDF16_EviT5_lT_lS4_lS5_liPT4_
; %bb.0:
	s_load_b32 s2, s[0:1], 0x48
	v_bfe_u32 v1, v0, 10, 10
	s_delay_alu instid0(VALU_DEP_1) | instskip(SKIP_1) | instid1(VALU_DEP_1)
	v_lshl_add_u32 v1, s15, 2, v1
	s_waitcnt lgkmcnt(0)
	v_cmp_gt_u32_e32 vcc_lo, s2, v1
	s_and_saveexec_b32 s2, vcc_lo
	s_cbranch_execz .LBB417_7
; %bb.1:
	s_clause 0x1
	s_load_b32 s10, s[0:1], 0x0
	s_load_b64 s[8:9], s[0:1], 0x50
	v_mov_b32_e32 v2, 0
	v_and_b32_e32 v0, 0x3ff, v0
	s_mov_b32 s11, exec_lo
	s_delay_alu instid0(VALU_DEP_2) | instskip(SKIP_1) | instid1(VALU_DEP_2)
	v_mov_b32_e32 v7, v2
	s_waitcnt lgkmcnt(0)
	v_cmpx_gt_i32_e64 s10, v0
	s_cbranch_execz .LBB417_5
; %bb.2:
	s_clause 0x1
	s_load_b64 s[12:13], s[0:1], 0x8
	s_load_b64 s[14:15], s[0:1], 0x28
	v_lshlrev_b64 v[3:4], 3, v[1:2]
	s_clause 0x1
	s_load_b128 s[4:7], s[0:1], 0x10
	s_load_b128 s[0:3], s[0:1], 0x30
	s_waitcnt lgkmcnt(0)
	s_delay_alu instid0(VALU_DEP_1)
	v_add_co_u32 v5, vcc_lo, s12, v3
	v_add_co_ci_u32_e32 v6, vcc_lo, s13, v4, vcc_lo
	v_add_co_u32 v3, vcc_lo, s14, v3
	v_add_co_ci_u32_e32 v4, vcc_lo, s15, v4, vcc_lo
	v_mad_u64_u32 v[10:11], null, s2, v0, 0
	global_load_b64 v[5:6], v[5:6], off
	global_load_b64 v[8:9], v[3:4], off
	v_mad_u64_u32 v[3:4], null, s6, v0, 0
	s_lshl_b64 s[4:5], s[4:5], 1
	s_lshl_b64 s[0:1], s[0:1], 1
	v_mov_b32_e32 v7, v11
	s_waitcnt vmcnt(1)
	s_delay_alu instid0(VALU_DEP_2) | instskip(SKIP_1) | instid1(VALU_DEP_2)
	v_mad_u64_u32 v[11:12], null, s7, v0, v[4:5]
	s_waitcnt vmcnt(0)
	v_mad_u64_u32 v[12:13], null, s3, v0, v[7:8]
	v_mov_b32_e32 v7, 0
	s_lshl_b64 s[2:3], s[2:3], 7
	s_delay_alu instid0(VALU_DEP_2) | instskip(NEXT) | instid1(VALU_DEP_1)
	v_dual_mov_b32 v4, v11 :: v_dual_mov_b32 v11, v12
	v_lshlrev_b64 v[3:4], 1, v[3:4]
	s_delay_alu instid0(VALU_DEP_2) | instskip(NEXT) | instid1(VALU_DEP_2)
	v_lshlrev_b64 v[10:11], 1, v[10:11]
	v_add_co_u32 v3, vcc_lo, v3, s4
	s_delay_alu instid0(VALU_DEP_3) | instskip(NEXT) | instid1(VALU_DEP_3)
	v_add_co_ci_u32_e32 v4, vcc_lo, s5, v4, vcc_lo
	v_add_co_u32 v10, vcc_lo, v10, s0
	s_delay_alu instid0(VALU_DEP_4) | instskip(NEXT) | instid1(VALU_DEP_4)
	v_add_co_ci_u32_e32 v11, vcc_lo, s1, v11, vcc_lo
	v_add_co_u32 v3, vcc_lo, v5, v3
	s_delay_alu instid0(VALU_DEP_4) | instskip(NEXT) | instid1(VALU_DEP_4)
	v_add_co_ci_u32_e32 v4, vcc_lo, v6, v4, vcc_lo
	v_add_co_u32 v5, vcc_lo, v8, v10
	s_delay_alu instid0(VALU_DEP_4)
	v_add_co_ci_u32_e32 v6, vcc_lo, v9, v11, vcc_lo
	v_mov_b32_e32 v8, v0
	s_lshl_b64 s[4:5], s[6:7], 7
	s_mov_b32 s1, 0
	.p2align	6
.LBB417_3:                              ; =>This Inner Loop Header: Depth=1
	global_load_u16 v9, v[3:4], off
	global_load_u16 v10, v[5:6], off
	v_add_nc_u32_e32 v8, 64, v8
	v_add_co_u32 v3, vcc_lo, v3, s4
	v_add_co_ci_u32_e32 v4, vcc_lo, s5, v4, vcc_lo
	v_add_co_u32 v5, vcc_lo, v5, s2
	s_delay_alu instid0(VALU_DEP_4) | instskip(SKIP_1) | instid1(VALU_DEP_2)
	v_cmp_le_i32_e64 s0, s10, v8
	v_add_co_ci_u32_e32 v6, vcc_lo, s3, v6, vcc_lo
	s_or_b32 s1, s0, s1
	s_waitcnt vmcnt(0)
	v_fma_mix_f32 v7, v9, v10, v7 op_sel_hi:[1,1,0]
	s_and_not1_b32 exec_lo, exec_lo, s1
	s_cbranch_execnz .LBB417_3
; %bb.4:
	s_or_b32 exec_lo, exec_lo, s1
.LBB417_5:
	s_delay_alu instid0(SALU_CYCLE_1)
	s_or_b32 exec_lo, exec_lo, s11
	v_mbcnt_lo_u32_b32 v3, -1, 0
	s_barrier
	buffer_gl0_inv
	v_lshlrev_b32_e32 v4, 2, v3
	v_cmp_gt_u32_e32 vcc_lo, 16, v3
	ds_bpermute_b32 v4, v4, v7
	v_cndmask_b32_e64 v5, 0, 1, vcc_lo
	v_cmp_gt_u32_e32 vcc_lo, 24, v3
	s_delay_alu instid0(VALU_DEP_2) | instskip(SKIP_2) | instid1(VALU_DEP_2)
	v_lshlrev_b32_e32 v5, 4, v5
	v_cndmask_b32_e64 v6, 0, 1, vcc_lo
	v_cmp_gt_u32_e32 vcc_lo, 28, v3
	v_lshlrev_b32_e32 v6, 3, v6
	s_delay_alu instid0(VALU_DEP_1)
	v_add_lshl_u32 v6, v6, v3, 2
	s_waitcnt lgkmcnt(0)
	v_add_f32_e32 v4, v7, v4
	v_add_lshl_u32 v5, v5, v3, 2
	ds_bpermute_b32 v5, v5, v4
	s_waitcnt lgkmcnt(0)
	v_add_f32_e32 v4, v4, v5
	ds_bpermute_b32 v5, v6, v4
	v_cndmask_b32_e64 v6, 0, 1, vcc_lo
	v_cmp_gt_u32_e32 vcc_lo, 30, v3
	s_delay_alu instid0(VALU_DEP_2) | instskip(NEXT) | instid1(VALU_DEP_1)
	v_lshlrev_b32_e32 v6, 2, v6
	v_add_lshl_u32 v6, v6, v3, 2
	s_waitcnt lgkmcnt(0)
	v_add_f32_e32 v4, v4, v5
	ds_bpermute_b32 v5, v6, v4
	v_cndmask_b32_e64 v6, 0, 1, vcc_lo
	v_cmp_ne_u32_e32 vcc_lo, 31, v3
	s_delay_alu instid0(VALU_DEP_2) | instskip(NEXT) | instid1(VALU_DEP_1)
	v_lshlrev_b32_e32 v6, 1, v6
	v_add_lshl_u32 v6, v6, v3, 2
	s_waitcnt lgkmcnt(0)
	v_add_f32_e32 v4, v4, v5
	ds_bpermute_b32 v5, v6, v4
	v_add_co_ci_u32_e32 v6, vcc_lo, 0, v3, vcc_lo
	v_cmp_eq_u32_e32 vcc_lo, 0, v0
	s_waitcnt lgkmcnt(0)
	s_delay_alu instid0(VALU_DEP_2)
	v_dual_add_f32 v3, v4, v5 :: v_dual_lshlrev_b32 v4, 2, v6
	ds_bpermute_b32 v4, v4, v3
	s_and_b32 exec_lo, exec_lo, vcc_lo
	s_cbranch_execz .LBB417_7
; %bb.6:
	v_lshlrev_b64 v[0:1], 1, v[1:2]
	s_waitcnt lgkmcnt(0)
	v_add_f32_e32 v2, v3, v4
	s_delay_alu instid0(VALU_DEP_1) | instskip(NEXT) | instid1(VALU_DEP_3)
	v_cvt_f16_f32_e32 v2, v2
	v_add_co_u32 v0, vcc_lo, s8, v0
	s_delay_alu instid0(VALU_DEP_4)
	v_add_co_ci_u32_e32 v1, vcc_lo, s9, v1, vcc_lo
	global_store_b16 v[0:1], v2, off
.LBB417_7:
	s_nop 0
	s_sendmsg sendmsg(MSG_DEALLOC_VGPRS)
	s_endpgm
	.section	.rodata,"a",@progbits
	.p2align	6, 0x0
	.amdhsa_kernel _ZL28rocblas_dot_batched_4_kernelIlLi64ELi4ELb0EfDF16_PKPKDF16_EviT5_lT_lS4_lS5_liPT4_
		.amdhsa_group_segment_fixed_size 0
		.amdhsa_private_segment_fixed_size 0
		.amdhsa_kernarg_size 88
		.amdhsa_user_sgpr_count 15
		.amdhsa_user_sgpr_dispatch_ptr 0
		.amdhsa_user_sgpr_queue_ptr 0
		.amdhsa_user_sgpr_kernarg_segment_ptr 1
		.amdhsa_user_sgpr_dispatch_id 0
		.amdhsa_user_sgpr_private_segment_size 0
		.amdhsa_wavefront_size32 1
		.amdhsa_uses_dynamic_stack 0
		.amdhsa_enable_private_segment 0
		.amdhsa_system_sgpr_workgroup_id_x 1
		.amdhsa_system_sgpr_workgroup_id_y 0
		.amdhsa_system_sgpr_workgroup_id_z 0
		.amdhsa_system_sgpr_workgroup_info 0
		.amdhsa_system_vgpr_workitem_id 1
		.amdhsa_next_free_vgpr 14
		.amdhsa_next_free_sgpr 16
		.amdhsa_reserve_vcc 1
		.amdhsa_float_round_mode_32 0
		.amdhsa_float_round_mode_16_64 0
		.amdhsa_float_denorm_mode_32 3
		.amdhsa_float_denorm_mode_16_64 3
		.amdhsa_dx10_clamp 1
		.amdhsa_ieee_mode 1
		.amdhsa_fp16_overflow 0
		.amdhsa_workgroup_processor_mode 1
		.amdhsa_memory_ordered 1
		.amdhsa_forward_progress 0
		.amdhsa_shared_vgpr_count 0
		.amdhsa_exception_fp_ieee_invalid_op 0
		.amdhsa_exception_fp_denorm_src 0
		.amdhsa_exception_fp_ieee_div_zero 0
		.amdhsa_exception_fp_ieee_overflow 0
		.amdhsa_exception_fp_ieee_underflow 0
		.amdhsa_exception_fp_ieee_inexact 0
		.amdhsa_exception_int_div_zero 0
	.end_amdhsa_kernel
	.section	.text._ZL28rocblas_dot_batched_4_kernelIlLi64ELi4ELb0EfDF16_PKPKDF16_EviT5_lT_lS4_lS5_liPT4_,"axG",@progbits,_ZL28rocblas_dot_batched_4_kernelIlLi64ELi4ELb0EfDF16_PKPKDF16_EviT5_lT_lS4_lS5_liPT4_,comdat
.Lfunc_end417:
	.size	_ZL28rocblas_dot_batched_4_kernelIlLi64ELi4ELb0EfDF16_PKPKDF16_EviT5_lT_lS4_lS5_liPT4_, .Lfunc_end417-_ZL28rocblas_dot_batched_4_kernelIlLi64ELi4ELb0EfDF16_PKPKDF16_EviT5_lT_lS4_lS5_liPT4_
                                        ; -- End function
	.section	.AMDGPU.csdata,"",@progbits
; Kernel info:
; codeLenInByte = 776
; NumSgprs: 18
; NumVgprs: 14
; ScratchSize: 0
; MemoryBound: 0
; FloatMode: 240
; IeeeMode: 1
; LDSByteSize: 0 bytes/workgroup (compile time only)
; SGPRBlocks: 2
; VGPRBlocks: 1
; NumSGPRsForWavesPerEU: 18
; NumVGPRsForWavesPerEU: 14
; Occupancy: 16
; WaveLimiterHint : 0
; COMPUTE_PGM_RSRC2:SCRATCH_EN: 0
; COMPUTE_PGM_RSRC2:USER_SGPR: 15
; COMPUTE_PGM_RSRC2:TRAP_HANDLER: 0
; COMPUTE_PGM_RSRC2:TGID_X_EN: 1
; COMPUTE_PGM_RSRC2:TGID_Y_EN: 0
; COMPUTE_PGM_RSRC2:TGID_Z_EN: 0
; COMPUTE_PGM_RSRC2:TIDIG_COMP_CNT: 1
	.section	.text._ZL18rocblas_dot_kernelIlLb1ELi1024ELi32ELb0EDF16_PKPKDF16_fEviT5_lT_lS4_lS5_liPT6_PT4_,"axG",@progbits,_ZL18rocblas_dot_kernelIlLb1ELi1024ELi32ELb0EDF16_PKPKDF16_fEviT5_lT_lS4_lS5_liPT6_PT4_,comdat
	.globl	_ZL18rocblas_dot_kernelIlLb1ELi1024ELi32ELb0EDF16_PKPKDF16_fEviT5_lT_lS4_lS5_liPT6_PT4_ ; -- Begin function _ZL18rocblas_dot_kernelIlLb1ELi1024ELi32ELb0EDF16_PKPKDF16_fEviT5_lT_lS4_lS5_liPT6_PT4_
	.p2align	8
	.type	_ZL18rocblas_dot_kernelIlLb1ELi1024ELi32ELb0EDF16_PKPKDF16_fEviT5_lT_lS4_lS5_liPT6_PT4_,@function
_ZL18rocblas_dot_kernelIlLb1ELi1024ELi32ELb0EDF16_PKPKDF16_fEviT5_lT_lS4_lS5_liPT6_PT4_: ; @_ZL18rocblas_dot_kernelIlLb1ELi1024ELi32ELb0EDF16_PKPKDF16_fEviT5_lT_lS4_lS5_liPT6_PT4_
; %bb.0:
	s_clause 0x1
	s_load_b32 s14, s[0:1], 0x0
	s_load_b64 s[2:3], s[0:1], 0x58
	v_mov_b32_e32 v5, 0
	s_mov_b32 s12, s15
	s_mov_b32 s13, 0
	s_mov_b32 s15, exec_lo
	s_waitcnt lgkmcnt(0)
	v_cmpx_gt_i32_e64 s14, v0
	s_cbranch_execz .LBB418_4
; %bb.1:
	s_clause 0x4
	s_load_b64 s[16:17], s[0:1], 0x8
	s_load_b128 s[8:11], s[0:1], 0x10
	s_load_b128 s[4:7], s[0:1], 0x30
	s_load_b64 s[18:19], s[0:1], 0x28
	s_load_b32 s20, s[0:1], 0x60
	s_lshl_b64 s[0:1], s[12:13], 3
	s_waitcnt lgkmcnt(0)
	s_add_u32 s16, s16, s0
	v_mad_u64_u32 v[1:2], null, s10, v0, 0
	v_mad_u64_u32 v[3:4], null, s6, v0, 0
	s_addc_u32 s17, s17, s1
	s_add_u32 s18, s18, s0
	s_load_b64 s[16:17], s[16:17], 0x0
	s_addc_u32 s19, s19, s1
	s_lshl_b64 s[8:9], s[8:9], 1
	s_load_b64 s[18:19], s[18:19], 0x0
	s_delay_alu instid0(VALU_DEP_1) | instskip(SKIP_2) | instid1(SALU_CYCLE_1)
	v_mad_u64_u32 v[7:8], null, s11, v0, v[2:3]
	v_mov_b32_e32 v5, 0
	s_lshl_b32 s1, s20, 10
	s_mul_hi_u32 s0, s10, s1
	s_mul_i32 s11, s11, s1
	s_mul_i32 s20, s10, s1
	s_delay_alu instid0(VALU_DEP_2) | instskip(SKIP_3) | instid1(VALU_DEP_2)
	v_mov_b32_e32 v2, v7
	v_mad_u64_u32 v[8:9], null, s7, v0, v[4:5]
	s_mul_hi_u32 s23, s6, s1
	s_mul_i32 s22, s6, s1
	v_lshlrev_b64 v[1:2], 1, v[1:2]
	s_mul_i32 s7, s7, s1
	v_or_b32_e32 v6, s1, v0
	s_waitcnt lgkmcnt(0)
	s_add_u32 s16, s16, s8
	v_mov_b32_e32 v4, v8
	s_addc_u32 s17, s17, s9
	s_ashr_i32 s24, s1, 31
	s_lshl_b64 s[8:9], s[4:5], 1
	s_mul_i32 s4, s10, s24
	v_lshlrev_b64 v[3:4], 1, v[3:4]
	s_add_i32 s0, s0, s4
	v_add_co_u32 v1, vcc_lo, s16, v1
	s_add_i32 s21, s0, s11
	s_mul_i32 s0, s6, s24
	s_lshl_b64 s[4:5], s[20:21], 1
	s_add_u32 s6, s18, s8
	v_add_co_ci_u32_e32 v2, vcc_lo, s17, v2, vcc_lo
	s_addc_u32 s8, s19, s9
	v_add_co_u32 v3, vcc_lo, s6, v3
	s_add_i32 s0, s23, s0
	v_add_co_ci_u32_e32 v4, vcc_lo, s8, v4, vcc_lo
	s_add_i32 s23, s0, s7
	s_mov_b32 s8, s13
	s_lshl_b64 s[6:7], s[22:23], 1
	s_mov_b32 s9, s13
	.p2align	6
.LBB418_2:                              ; =>This Inner Loop Header: Depth=1
	global_load_u16 v7, v[3:4], off
	global_load_u16 v8, v[1:2], off
	v_add_co_u32 v1, s0, v1, s4
	s_delay_alu instid0(VALU_DEP_1)
	v_add_co_ci_u32_e64 v2, s0, s5, v2, s0
	s_add_i32 s10, s9, 1
	v_cmp_le_i32_e32 vcc_lo, s14, v6
	v_add_co_u32 v3, s0, v3, s6
	s_cmp_gt_u32 s9, 30
	v_add_co_ci_u32_e64 v4, s0, s7, v4, s0
	s_cselect_b32 s0, -1, 0
	v_add_nc_u32_e32 v6, s1, v6
	s_or_b32 s0, s0, vcc_lo
	s_mov_b32 s9, s10
	s_and_b32 s0, exec_lo, s0
	s_delay_alu instid0(SALU_CYCLE_1)
	s_or_b32 s8, s0, s8
	s_waitcnt vmcnt(0)
	v_fma_mix_f32 v5, v7, v8, v5 op_sel_hi:[1,1,0]
	s_and_not1_b32 exec_lo, exec_lo, s8
	s_cbranch_execnz .LBB418_2
; %bb.3:
	s_or_b32 exec_lo, exec_lo, s8
.LBB418_4:
	s_delay_alu instid0(SALU_CYCLE_1) | instskip(SKIP_2) | instid1(VALU_DEP_2)
	s_or_b32 exec_lo, exec_lo, s15
	v_and_b32_e32 v7, 31, v0
	v_cmp_gt_u32_e32 vcc_lo, 32, v0
	v_lshlrev_b32_e32 v1, 2, v7
	s_and_saveexec_b32 s0, vcc_lo
	s_cbranch_execz .LBB418_6
; %bb.5:
	v_mov_b32_e32 v2, 0
	ds_store_b32 v1, v2
.LBB418_6:
	s_or_b32 exec_lo, exec_lo, s0
	v_mbcnt_lo_u32_b32 v6, -1, 0
	s_mov_b32 s1, exec_lo
	s_waitcnt lgkmcnt(0)
	s_barrier
	buffer_gl0_inv
	v_cmp_gt_u32_e64 s0, 16, v6
	s_delay_alu instid0(VALU_DEP_1) | instskip(SKIP_1) | instid1(VALU_DEP_2)
	v_cndmask_b32_e64 v2, 0, 1, s0
	v_cmp_gt_u32_e64 s0, 24, v6
	v_lshlrev_b32_e32 v2, 4, v2
	s_delay_alu instid0(VALU_DEP_2) | instskip(SKIP_1) | instid1(VALU_DEP_3)
	v_cndmask_b32_e64 v3, 0, 1, s0
	v_cmp_gt_u32_e64 s0, 28, v6
	v_add_lshl_u32 v2, v2, v6, 2
	ds_bpermute_b32 v4, v2, v5
	s_waitcnt lgkmcnt(0)
	v_add_f32_e32 v5, v5, v4
	v_lshlrev_b32_e32 v3, 3, v3
	v_cndmask_b32_e64 v4, 0, 1, s0
	v_cmp_gt_u32_e64 s0, 30, v6
	s_delay_alu instid0(VALU_DEP_3) | instskip(NEXT) | instid1(VALU_DEP_3)
	v_add_lshl_u32 v3, v3, v6, 2
	v_lshlrev_b32_e32 v4, 2, v4
	ds_bpermute_b32 v8, v3, v5
	v_add_lshl_u32 v4, v4, v6, 2
	s_waitcnt lgkmcnt(0)
	v_add_f32_e32 v8, v5, v8
	v_cndmask_b32_e64 v5, 0, 1, s0
	v_cmp_ne_u32_e64 s0, 31, v6
	ds_bpermute_b32 v9, v4, v8
	v_lshlrev_b32_e32 v5, 1, v5
	s_delay_alu instid0(VALU_DEP_1) | instskip(SKIP_1) | instid1(VALU_DEP_1)
	v_add_lshl_u32 v5, v5, v6, 2
	v_add_co_ci_u32_e64 v6, s0, 0, v6, s0
	v_lshlrev_b32_e32 v6, 2, v6
	s_waitcnt lgkmcnt(0)
	v_add_f32_e32 v8, v8, v9
	ds_bpermute_b32 v9, v5, v8
	s_waitcnt lgkmcnt(0)
	v_add_f32_e32 v8, v8, v9
	ds_bpermute_b32 v9, v6, v8
	v_cmpx_eq_u32_e32 0, v7
	s_cbranch_execz .LBB418_8
; %bb.7:
	v_lshrrev_b32_e32 v7, 3, v0
	s_waitcnt lgkmcnt(0)
	s_delay_alu instid0(VALU_DEP_1)
	v_dual_add_f32 v8, v8, v9 :: v_dual_and_b32 v7, 0x7c, v7
	ds_store_b32 v7, v8
.LBB418_8:
	s_or_b32 exec_lo, exec_lo, s1
	v_mov_b32_e32 v7, 0
	s_waitcnt lgkmcnt(0)
	s_barrier
	buffer_gl0_inv
	s_and_saveexec_b32 s0, vcc_lo
	s_cbranch_execz .LBB418_10
; %bb.9:
	ds_load_b32 v7, v1
.LBB418_10:
	s_or_b32 exec_lo, exec_lo, s0
	s_and_saveexec_b32 s0, vcc_lo
	s_cbranch_execz .LBB418_12
; %bb.11:
	s_waitcnt lgkmcnt(0)
	ds_bpermute_b32 v1, v2, v7
	s_waitcnt lgkmcnt(0)
	v_add_f32_e32 v1, v7, v1
	ds_bpermute_b32 v2, v3, v1
	s_waitcnt lgkmcnt(0)
	v_add_f32_e32 v1, v1, v2
	;; [unrolled: 3-line block ×5, first 2 shown]
.LBB418_12:
	s_or_b32 exec_lo, exec_lo, s0
	s_delay_alu instid0(SALU_CYCLE_1)
	s_mov_b32 s0, exec_lo
	v_cmpx_eq_u32_e32 0, v0
	s_cbranch_execz .LBB418_14
; %bb.13:
	s_waitcnt lgkmcnt(0)
	v_cvt_f16_f32_e32 v0, v7
	s_lshl_b64 s[0:1], s[12:13], 1
	v_mov_b32_e32 v1, 0
	s_add_u32 s0, s2, s0
	s_addc_u32 s1, s3, s1
	global_store_b16 v1, v0, s[0:1]
.LBB418_14:
	s_nop 0
	s_sendmsg sendmsg(MSG_DEALLOC_VGPRS)
	s_endpgm
	.section	.rodata,"a",@progbits
	.p2align	6, 0x0
	.amdhsa_kernel _ZL18rocblas_dot_kernelIlLb1ELi1024ELi32ELb0EDF16_PKPKDF16_fEviT5_lT_lS4_lS5_liPT6_PT4_
		.amdhsa_group_segment_fixed_size 128
		.amdhsa_private_segment_fixed_size 0
		.amdhsa_kernarg_size 352
		.amdhsa_user_sgpr_count 14
		.amdhsa_user_sgpr_dispatch_ptr 0
		.amdhsa_user_sgpr_queue_ptr 0
		.amdhsa_user_sgpr_kernarg_segment_ptr 1
		.amdhsa_user_sgpr_dispatch_id 0
		.amdhsa_user_sgpr_private_segment_size 0
		.amdhsa_wavefront_size32 1
		.amdhsa_uses_dynamic_stack 0
		.amdhsa_enable_private_segment 0
		.amdhsa_system_sgpr_workgroup_id_x 1
		.amdhsa_system_sgpr_workgroup_id_y 0
		.amdhsa_system_sgpr_workgroup_id_z 1
		.amdhsa_system_sgpr_workgroup_info 0
		.amdhsa_system_vgpr_workitem_id 0
		.amdhsa_next_free_vgpr 10
		.amdhsa_next_free_sgpr 25
		.amdhsa_reserve_vcc 1
		.amdhsa_float_round_mode_32 0
		.amdhsa_float_round_mode_16_64 0
		.amdhsa_float_denorm_mode_32 3
		.amdhsa_float_denorm_mode_16_64 3
		.amdhsa_dx10_clamp 1
		.amdhsa_ieee_mode 1
		.amdhsa_fp16_overflow 0
		.amdhsa_workgroup_processor_mode 1
		.amdhsa_memory_ordered 1
		.amdhsa_forward_progress 0
		.amdhsa_shared_vgpr_count 0
		.amdhsa_exception_fp_ieee_invalid_op 0
		.amdhsa_exception_fp_denorm_src 0
		.amdhsa_exception_fp_ieee_div_zero 0
		.amdhsa_exception_fp_ieee_overflow 0
		.amdhsa_exception_fp_ieee_underflow 0
		.amdhsa_exception_fp_ieee_inexact 0
		.amdhsa_exception_int_div_zero 0
	.end_amdhsa_kernel
	.section	.text._ZL18rocblas_dot_kernelIlLb1ELi1024ELi32ELb0EDF16_PKPKDF16_fEviT5_lT_lS4_lS5_liPT6_PT4_,"axG",@progbits,_ZL18rocblas_dot_kernelIlLb1ELi1024ELi32ELb0EDF16_PKPKDF16_fEviT5_lT_lS4_lS5_liPT6_PT4_,comdat
.Lfunc_end418:
	.size	_ZL18rocblas_dot_kernelIlLb1ELi1024ELi32ELb0EDF16_PKPKDF16_fEviT5_lT_lS4_lS5_liPT6_PT4_, .Lfunc_end418-_ZL18rocblas_dot_kernelIlLb1ELi1024ELi32ELb0EDF16_PKPKDF16_fEviT5_lT_lS4_lS5_liPT6_PT4_
                                        ; -- End function
	.section	.AMDGPU.csdata,"",@progbits
; Kernel info:
; codeLenInByte = 980
; NumSgprs: 27
; NumVgprs: 10
; ScratchSize: 0
; MemoryBound: 0
; FloatMode: 240
; IeeeMode: 1
; LDSByteSize: 128 bytes/workgroup (compile time only)
; SGPRBlocks: 3
; VGPRBlocks: 1
; NumSGPRsForWavesPerEU: 27
; NumVGPRsForWavesPerEU: 10
; Occupancy: 16
; WaveLimiterHint : 0
; COMPUTE_PGM_RSRC2:SCRATCH_EN: 0
; COMPUTE_PGM_RSRC2:USER_SGPR: 14
; COMPUTE_PGM_RSRC2:TRAP_HANDLER: 0
; COMPUTE_PGM_RSRC2:TGID_X_EN: 1
; COMPUTE_PGM_RSRC2:TGID_Y_EN: 0
; COMPUTE_PGM_RSRC2:TGID_Z_EN: 1
; COMPUTE_PGM_RSRC2:TIDIG_COMP_CNT: 0
	.section	.text._ZL24rocblas_dot_kernel_magsqIlLb1ELi1024ELi32ELb0EDF16_PKPKDF16_fEviT5_lT_liPT6_PT4_,"axG",@progbits,_ZL24rocblas_dot_kernel_magsqIlLb1ELi1024ELi32ELb0EDF16_PKPKDF16_fEviT5_lT_liPT6_PT4_,comdat
	.globl	_ZL24rocblas_dot_kernel_magsqIlLb1ELi1024ELi32ELb0EDF16_PKPKDF16_fEviT5_lT_liPT6_PT4_ ; -- Begin function _ZL24rocblas_dot_kernel_magsqIlLb1ELi1024ELi32ELb0EDF16_PKPKDF16_fEviT5_lT_liPT6_PT4_
	.p2align	8
	.type	_ZL24rocblas_dot_kernel_magsqIlLb1ELi1024ELi32ELb0EDF16_PKPKDF16_fEviT5_lT_liPT6_PT4_,@function
_ZL24rocblas_dot_kernel_magsqIlLb1ELi1024ELi32ELb0EDF16_PKPKDF16_fEviT5_lT_liPT6_PT4_: ; @_ZL24rocblas_dot_kernel_magsqIlLb1ELi1024ELi32ELb0EDF16_PKPKDF16_fEviT5_lT_liPT6_PT4_
; %bb.0:
	s_clause 0x1
	s_load_b32 s8, s[0:1], 0x0
	s_load_b64 s[2:3], s[0:1], 0x38
	v_mov_b32_e32 v3, 0
	s_mov_b32 s4, s15
	s_mov_b32 s5, 0
	s_mov_b32 s9, exec_lo
	s_waitcnt lgkmcnt(0)
	v_cmpx_gt_i32_e64 s8, v0
	s_cbranch_execz .LBB419_4
; %bb.1:
	s_clause 0x1
	s_load_b64 s[6:7], s[0:1], 0x8
	s_load_b128 s[12:15], s[0:1], 0x10
	s_lshl_b64 s[10:11], s[4:5], 3
	s_load_b32 s16, s[0:1], 0x40
	s_waitcnt lgkmcnt(0)
	s_add_u32 s0, s6, s10
	v_mad_u64_u32 v[1:2], null, s14, v0, 0
	s_addc_u32 s1, s7, s11
	s_lshl_b64 s[10:11], s[12:13], 1
	s_load_b64 s[6:7], s[0:1], 0x0
	s_lshl_b32 s1, s16, 10
	s_delay_alu instid0(SALU_CYCLE_1) | instskip(NEXT) | instid1(VALU_DEP_1)
	s_mul_hi_u32 s0, s14, s1
	v_mad_u64_u32 v[3:4], null, s15, v0, v[2:3]
	v_or_b32_e32 v4, s1, v0
	s_delay_alu instid0(VALU_DEP_2) | instskip(NEXT) | instid1(VALU_DEP_1)
	v_dual_mov_b32 v2, v3 :: v_dual_mov_b32 v3, 0
	v_lshlrev_b64 v[1:2], 1, v[1:2]
	s_waitcnt lgkmcnt(0)
	s_add_u32 s10, s6, s10
	s_addc_u32 s11, s7, s11
	s_ashr_i32 s6, s1, 31
	s_delay_alu instid0(VALU_DEP_1)
	v_add_co_u32 v1, vcc_lo, s10, v1
	s_mul_i32 s6, s14, s6
	s_mul_i32 s7, s15, s1
	s_add_i32 s0, s0, s6
	v_add_co_ci_u32_e32 v2, vcc_lo, s11, v2, vcc_lo
	s_mul_i32 s6, s14, s1
	s_add_i32 s7, s0, s7
	s_mov_b32 s10, s5
	s_lshl_b64 s[6:7], s[6:7], 1
	s_mov_b32 s11, s5
	.p2align	6
.LBB419_2:                              ; =>This Inner Loop Header: Depth=1
	global_load_u16 v5, v[1:2], off
	s_add_i32 s12, s11, 1
	v_cmp_le_i32_e32 vcc_lo, s8, v4
	v_add_co_u32 v1, s0, v1, s6
	s_cmp_gt_u32 s11, 30
	v_add_co_ci_u32_e64 v2, s0, s7, v2, s0
	s_cselect_b32 s0, -1, 0
	v_add_nc_u32_e32 v4, s1, v4
	s_or_b32 s0, s0, vcc_lo
	s_mov_b32 s11, s12
	s_and_b32 s0, exec_lo, s0
	s_delay_alu instid0(SALU_CYCLE_1)
	s_or_b32 s10, s0, s10
	s_waitcnt vmcnt(0)
	v_fma_mix_f32 v3, v5, v5, v3 op_sel_hi:[1,1,0]
	s_and_not1_b32 exec_lo, exec_lo, s10
	s_cbranch_execnz .LBB419_2
; %bb.3:
	s_or_b32 exec_lo, exec_lo, s10
.LBB419_4:
	s_delay_alu instid0(SALU_CYCLE_1) | instskip(SKIP_2) | instid1(VALU_DEP_2)
	s_or_b32 exec_lo, exec_lo, s9
	v_and_b32_e32 v7, 31, v0
	v_cmp_gt_u32_e32 vcc_lo, 32, v0
	v_lshlrev_b32_e32 v1, 2, v7
	s_and_saveexec_b32 s0, vcc_lo
	s_cbranch_execz .LBB419_6
; %bb.5:
	v_mov_b32_e32 v2, 0
	ds_store_b32 v1, v2
.LBB419_6:
	s_or_b32 exec_lo, exec_lo, s0
	v_mbcnt_lo_u32_b32 v6, -1, 0
	s_mov_b32 s1, exec_lo
	s_waitcnt lgkmcnt(0)
	s_barrier
	buffer_gl0_inv
	v_cmp_gt_u32_e64 s0, 16, v6
	s_delay_alu instid0(VALU_DEP_1) | instskip(SKIP_1) | instid1(VALU_DEP_2)
	v_cndmask_b32_e64 v2, 0, 1, s0
	v_cmp_gt_u32_e64 s0, 24, v6
	v_lshlrev_b32_e32 v2, 4, v2
	s_delay_alu instid0(VALU_DEP_2) | instskip(SKIP_1) | instid1(VALU_DEP_3)
	v_cndmask_b32_e64 v4, 0, 1, s0
	v_cmp_gt_u32_e64 s0, 28, v6
	v_add_lshl_u32 v2, v2, v6, 2
	s_delay_alu instid0(VALU_DEP_3)
	v_lshlrev_b32_e32 v4, 3, v4
	ds_bpermute_b32 v5, v2, v3
	v_add_lshl_u32 v4, v4, v6, 2
	s_waitcnt lgkmcnt(0)
	v_add_f32_e32 v5, v3, v5
	v_cndmask_b32_e64 v3, 0, 1, s0
	v_cmp_gt_u32_e64 s0, 30, v6
	ds_bpermute_b32 v8, v4, v5
	s_waitcnt lgkmcnt(0)
	v_dual_add_f32 v8, v5, v8 :: v_dual_lshlrev_b32 v3, 2, v3
	s_delay_alu instid0(VALU_DEP_1) | instskip(SKIP_4) | instid1(VALU_DEP_1)
	v_add_lshl_u32 v3, v3, v6, 2
	v_cndmask_b32_e64 v5, 0, 1, s0
	v_cmp_ne_u32_e64 s0, 31, v6
	ds_bpermute_b32 v9, v3, v8
	v_lshlrev_b32_e32 v5, 1, v5
	v_add_lshl_u32 v5, v5, v6, 2
	v_add_co_ci_u32_e64 v6, s0, 0, v6, s0
	s_delay_alu instid0(VALU_DEP_1)
	v_lshlrev_b32_e32 v6, 2, v6
	s_waitcnt lgkmcnt(0)
	v_add_f32_e32 v8, v8, v9
	ds_bpermute_b32 v9, v5, v8
	s_waitcnt lgkmcnt(0)
	v_add_f32_e32 v8, v8, v9
	ds_bpermute_b32 v9, v6, v8
	v_cmpx_eq_u32_e32 0, v7
	s_cbranch_execz .LBB419_8
; %bb.7:
	v_lshrrev_b32_e32 v7, 3, v0
	s_waitcnt lgkmcnt(0)
	s_delay_alu instid0(VALU_DEP_1)
	v_dual_add_f32 v8, v8, v9 :: v_dual_and_b32 v7, 0x7c, v7
	ds_store_b32 v7, v8
.LBB419_8:
	s_or_b32 exec_lo, exec_lo, s1
	v_mov_b32_e32 v7, 0
	s_waitcnt lgkmcnt(0)
	s_barrier
	buffer_gl0_inv
	s_and_saveexec_b32 s0, vcc_lo
	s_cbranch_execz .LBB419_10
; %bb.9:
	ds_load_b32 v7, v1
.LBB419_10:
	s_or_b32 exec_lo, exec_lo, s0
	s_and_saveexec_b32 s0, vcc_lo
	s_cbranch_execz .LBB419_12
; %bb.11:
	s_waitcnt lgkmcnt(0)
	ds_bpermute_b32 v1, v2, v7
	s_waitcnt lgkmcnt(0)
	v_add_f32_e32 v1, v7, v1
	ds_bpermute_b32 v2, v4, v1
	s_waitcnt lgkmcnt(0)
	v_add_f32_e32 v1, v1, v2
	;; [unrolled: 3-line block ×5, first 2 shown]
.LBB419_12:
	s_or_b32 exec_lo, exec_lo, s0
	s_delay_alu instid0(SALU_CYCLE_1)
	s_mov_b32 s0, exec_lo
	v_cmpx_eq_u32_e32 0, v0
	s_cbranch_execz .LBB419_14
; %bb.13:
	s_waitcnt lgkmcnt(0)
	v_cvt_f16_f32_e32 v0, v7
	s_lshl_b64 s[0:1], s[4:5], 1
	v_mov_b32_e32 v1, 0
	s_add_u32 s0, s2, s0
	s_addc_u32 s1, s3, s1
	global_store_b16 v1, v0, s[0:1]
.LBB419_14:
	s_nop 0
	s_sendmsg sendmsg(MSG_DEALLOC_VGPRS)
	s_endpgm
	.section	.rodata,"a",@progbits
	.p2align	6, 0x0
	.amdhsa_kernel _ZL24rocblas_dot_kernel_magsqIlLb1ELi1024ELi32ELb0EDF16_PKPKDF16_fEviT5_lT_liPT6_PT4_
		.amdhsa_group_segment_fixed_size 128
		.amdhsa_private_segment_fixed_size 0
		.amdhsa_kernarg_size 320
		.amdhsa_user_sgpr_count 14
		.amdhsa_user_sgpr_dispatch_ptr 0
		.amdhsa_user_sgpr_queue_ptr 0
		.amdhsa_user_sgpr_kernarg_segment_ptr 1
		.amdhsa_user_sgpr_dispatch_id 0
		.amdhsa_user_sgpr_private_segment_size 0
		.amdhsa_wavefront_size32 1
		.amdhsa_uses_dynamic_stack 0
		.amdhsa_enable_private_segment 0
		.amdhsa_system_sgpr_workgroup_id_x 1
		.amdhsa_system_sgpr_workgroup_id_y 0
		.amdhsa_system_sgpr_workgroup_id_z 1
		.amdhsa_system_sgpr_workgroup_info 0
		.amdhsa_system_vgpr_workitem_id 0
		.amdhsa_next_free_vgpr 10
		.amdhsa_next_free_sgpr 17
		.amdhsa_reserve_vcc 1
		.amdhsa_float_round_mode_32 0
		.amdhsa_float_round_mode_16_64 0
		.amdhsa_float_denorm_mode_32 3
		.amdhsa_float_denorm_mode_16_64 3
		.amdhsa_dx10_clamp 1
		.amdhsa_ieee_mode 1
		.amdhsa_fp16_overflow 0
		.amdhsa_workgroup_processor_mode 1
		.amdhsa_memory_ordered 1
		.amdhsa_forward_progress 0
		.amdhsa_shared_vgpr_count 0
		.amdhsa_exception_fp_ieee_invalid_op 0
		.amdhsa_exception_fp_denorm_src 0
		.amdhsa_exception_fp_ieee_div_zero 0
		.amdhsa_exception_fp_ieee_overflow 0
		.amdhsa_exception_fp_ieee_underflow 0
		.amdhsa_exception_fp_ieee_inexact 0
		.amdhsa_exception_int_div_zero 0
	.end_amdhsa_kernel
	.section	.text._ZL24rocblas_dot_kernel_magsqIlLb1ELi1024ELi32ELb0EDF16_PKPKDF16_fEviT5_lT_liPT6_PT4_,"axG",@progbits,_ZL24rocblas_dot_kernel_magsqIlLb1ELi1024ELi32ELb0EDF16_PKPKDF16_fEviT5_lT_liPT6_PT4_,comdat
.Lfunc_end419:
	.size	_ZL24rocblas_dot_kernel_magsqIlLb1ELi1024ELi32ELb0EDF16_PKPKDF16_fEviT5_lT_liPT6_PT4_, .Lfunc_end419-_ZL24rocblas_dot_kernel_magsqIlLb1ELi1024ELi32ELb0EDF16_PKPKDF16_fEviT5_lT_liPT6_PT4_
                                        ; -- End function
	.section	.AMDGPU.csdata,"",@progbits
; Kernel info:
; codeLenInByte = 848
; NumSgprs: 19
; NumVgprs: 10
; ScratchSize: 0
; MemoryBound: 0
; FloatMode: 240
; IeeeMode: 1
; LDSByteSize: 128 bytes/workgroup (compile time only)
; SGPRBlocks: 2
; VGPRBlocks: 1
; NumSGPRsForWavesPerEU: 19
; NumVGPRsForWavesPerEU: 10
; Occupancy: 16
; WaveLimiterHint : 0
; COMPUTE_PGM_RSRC2:SCRATCH_EN: 0
; COMPUTE_PGM_RSRC2:USER_SGPR: 14
; COMPUTE_PGM_RSRC2:TRAP_HANDLER: 0
; COMPUTE_PGM_RSRC2:TGID_X_EN: 1
; COMPUTE_PGM_RSRC2:TGID_Y_EN: 0
; COMPUTE_PGM_RSRC2:TGID_Z_EN: 1
; COMPUTE_PGM_RSRC2:TIDIG_COMP_CNT: 0
	.section	.text._ZL38rocblas_dot_kernel_gfx942_float_doubleIlLi1024EDF16_PKPKDF16_fEviT2_lT_lS4_lS5_lPT3_PT1_,"axG",@progbits,_ZL38rocblas_dot_kernel_gfx942_float_doubleIlLi1024EDF16_PKPKDF16_fEviT2_lT_lS4_lS5_lPT3_PT1_,comdat
	.globl	_ZL38rocblas_dot_kernel_gfx942_float_doubleIlLi1024EDF16_PKPKDF16_fEviT2_lT_lS4_lS5_lPT3_PT1_ ; -- Begin function _ZL38rocblas_dot_kernel_gfx942_float_doubleIlLi1024EDF16_PKPKDF16_fEviT2_lT_lS4_lS5_lPT3_PT1_
	.p2align	8
	.type	_ZL38rocblas_dot_kernel_gfx942_float_doubleIlLi1024EDF16_PKPKDF16_fEviT2_lT_lS4_lS5_lPT3_PT1_,@function
_ZL38rocblas_dot_kernel_gfx942_float_doubleIlLi1024EDF16_PKPKDF16_fEviT2_lT_lS4_lS5_lPT3_PT1_: ; @_ZL38rocblas_dot_kernel_gfx942_float_doubleIlLi1024EDF16_PKPKDF16_fEviT2_lT_lS4_lS5_lPT3_PT1_
; %bb.0:
	s_endpgm
	.section	.rodata,"a",@progbits
	.p2align	6, 0x0
	.amdhsa_kernel _ZL38rocblas_dot_kernel_gfx942_float_doubleIlLi1024EDF16_PKPKDF16_fEviT2_lT_lS4_lS5_lPT3_PT1_
		.amdhsa_group_segment_fixed_size 0
		.amdhsa_private_segment_fixed_size 0
		.amdhsa_kernarg_size 88
		.amdhsa_user_sgpr_count 15
		.amdhsa_user_sgpr_dispatch_ptr 0
		.amdhsa_user_sgpr_queue_ptr 0
		.amdhsa_user_sgpr_kernarg_segment_ptr 1
		.amdhsa_user_sgpr_dispatch_id 0
		.amdhsa_user_sgpr_private_segment_size 0
		.amdhsa_wavefront_size32 1
		.amdhsa_uses_dynamic_stack 0
		.amdhsa_enable_private_segment 0
		.amdhsa_system_sgpr_workgroup_id_x 1
		.amdhsa_system_sgpr_workgroup_id_y 0
		.amdhsa_system_sgpr_workgroup_id_z 0
		.amdhsa_system_sgpr_workgroup_info 0
		.amdhsa_system_vgpr_workitem_id 0
		.amdhsa_next_free_vgpr 1
		.amdhsa_next_free_sgpr 1
		.amdhsa_reserve_vcc 0
		.amdhsa_float_round_mode_32 0
		.amdhsa_float_round_mode_16_64 0
		.amdhsa_float_denorm_mode_32 3
		.amdhsa_float_denorm_mode_16_64 3
		.amdhsa_dx10_clamp 1
		.amdhsa_ieee_mode 1
		.amdhsa_fp16_overflow 0
		.amdhsa_workgroup_processor_mode 1
		.amdhsa_memory_ordered 1
		.amdhsa_forward_progress 0
		.amdhsa_shared_vgpr_count 0
		.amdhsa_exception_fp_ieee_invalid_op 0
		.amdhsa_exception_fp_denorm_src 0
		.amdhsa_exception_fp_ieee_div_zero 0
		.amdhsa_exception_fp_ieee_overflow 0
		.amdhsa_exception_fp_ieee_underflow 0
		.amdhsa_exception_fp_ieee_inexact 0
		.amdhsa_exception_int_div_zero 0
	.end_amdhsa_kernel
	.section	.text._ZL38rocblas_dot_kernel_gfx942_float_doubleIlLi1024EDF16_PKPKDF16_fEviT2_lT_lS4_lS5_lPT3_PT1_,"axG",@progbits,_ZL38rocblas_dot_kernel_gfx942_float_doubleIlLi1024EDF16_PKPKDF16_fEviT2_lT_lS4_lS5_lPT3_PT1_,comdat
.Lfunc_end420:
	.size	_ZL38rocblas_dot_kernel_gfx942_float_doubleIlLi1024EDF16_PKPKDF16_fEviT2_lT_lS4_lS5_lPT3_PT1_, .Lfunc_end420-_ZL38rocblas_dot_kernel_gfx942_float_doubleIlLi1024EDF16_PKPKDF16_fEviT2_lT_lS4_lS5_lPT3_PT1_
                                        ; -- End function
	.section	.AMDGPU.csdata,"",@progbits
; Kernel info:
; codeLenInByte = 4
; NumSgprs: 0
; NumVgprs: 0
; ScratchSize: 0
; MemoryBound: 0
; FloatMode: 240
; IeeeMode: 1
; LDSByteSize: 0 bytes/workgroup (compile time only)
; SGPRBlocks: 0
; VGPRBlocks: 0
; NumSGPRsForWavesPerEU: 1
; NumVGPRsForWavesPerEU: 1
; Occupancy: 16
; WaveLimiterHint : 0
; COMPUTE_PGM_RSRC2:SCRATCH_EN: 0
; COMPUTE_PGM_RSRC2:USER_SGPR: 15
; COMPUTE_PGM_RSRC2:TRAP_HANDLER: 0
; COMPUTE_PGM_RSRC2:TGID_X_EN: 1
; COMPUTE_PGM_RSRC2:TGID_Y_EN: 0
; COMPUTE_PGM_RSRC2:TGID_Z_EN: 0
; COMPUTE_PGM_RSRC2:TIDIG_COMP_CNT: 0
	.section	.text._ZL18rocblas_dot_kernelIlLb0ELi512ELi8ELb0EDF16_PKPKDF16_fEviT5_lT_lS4_lS5_liPT6_PT4_,"axG",@progbits,_ZL18rocblas_dot_kernelIlLb0ELi512ELi8ELb0EDF16_PKPKDF16_fEviT5_lT_lS4_lS5_liPT6_PT4_,comdat
	.globl	_ZL18rocblas_dot_kernelIlLb0ELi512ELi8ELb0EDF16_PKPKDF16_fEviT5_lT_lS4_lS5_liPT6_PT4_ ; -- Begin function _ZL18rocblas_dot_kernelIlLb0ELi512ELi8ELb0EDF16_PKPKDF16_fEviT5_lT_lS4_lS5_liPT6_PT4_
	.p2align	8
	.type	_ZL18rocblas_dot_kernelIlLb0ELi512ELi8ELb0EDF16_PKPKDF16_fEviT5_lT_lS4_lS5_liPT6_PT4_,@function
_ZL18rocblas_dot_kernelIlLb0ELi512ELi8ELb0EDF16_PKPKDF16_fEviT5_lT_lS4_lS5_liPT6_PT4_: ; @_ZL18rocblas_dot_kernelIlLb0ELi512ELi8ELb0EDF16_PKPKDF16_fEviT5_lT_lS4_lS5_liPT6_PT4_
; %bb.0:
	s_clause 0x2
	s_load_b32 s12, s[0:1], 0x60
	s_load_b32 s13, s[0:1], 0x0
	s_load_b128 s[4:7], s[0:1], 0x50
	v_lshl_or_b32 v1, s14, 9, v0
	v_mov_b32_e32 v5, 0
	s_mov_b32 s2, s15
	s_mov_b32 s3, 0
	s_mov_b32 s15, exec_lo
	s_waitcnt lgkmcnt(0)
	v_cmpx_gt_i32_e64 s13, v1
	s_cbranch_execz .LBB421_4
; %bb.1:
	s_clause 0x3
	s_load_b64 s[20:21], s[0:1], 0x8
	s_load_b128 s[16:19], s[0:1], 0x10
	s_load_b128 s[8:11], s[0:1], 0x30
	s_load_b64 s[0:1], s[0:1], 0x28
	s_lshl_b64 s[22:23], s[2:3], 3
	v_ashrrev_i32_e32 v4, 31, v1
	s_waitcnt lgkmcnt(0)
	s_add_u32 s20, s20, s22
	s_addc_u32 s21, s21, s23
	v_mul_lo_u32 v9, s19, v1
	s_load_b64 s[20:21], s[20:21], 0x0
	s_add_u32 s22, s0, s22
	s_addc_u32 s23, s1, s23
	v_mul_lo_u32 v10, s18, v4
	v_mad_u64_u32 v[2:3], null, s18, v1, 0
	s_load_b64 s[22:23], s[22:23], 0x0
	v_mul_lo_u32 v11, s11, v1
	v_mul_lo_u32 v4, s10, v4
	v_mad_u64_u32 v[7:8], null, s10, v1, 0
	s_lshl_b64 s[16:17], s[16:17], 1
	s_delay_alu instid0(VALU_DEP_4) | instskip(SKIP_1) | instid1(SALU_CYCLE_1)
	v_add3_u32 v3, v3, v10, v9
	s_lshl_b32 s1, s12, 9
	v_dual_mov_b32 v5, 0 :: v_dual_add_nc_u32 v6, s1, v1
	s_mul_hi_u32 s0, s18, s1
	s_delay_alu instid0(VALU_DEP_3)
	v_add3_u32 v8, v8, v4, v11
	v_lshlrev_b64 v[1:2], 1, v[2:3]
	s_mul_i32 s19, s19, s1
	s_waitcnt lgkmcnt(0)
	s_add_u32 s20, s20, s16
	s_addc_u32 s21, s21, s17
	s_ashr_i32 s28, s1, 31
	v_lshlrev_b64 v[3:4], 1, v[7:8]
	s_mul_i32 s16, s18, s28
	s_mul_i32 s24, s18, s1
	s_add_i32 s0, s0, s16
	s_lshl_b64 s[16:17], s[8:9], 1
	s_add_i32 s25, s0, s19
	v_add_co_u32 v1, vcc_lo, s20, v1
	s_lshl_b64 s[8:9], s[24:25], 1
	s_mul_hi_u32 s27, s10, s1
	s_mul_i32 s26, s10, s1
	s_mul_i32 s0, s10, s28
	s_add_u32 s10, s22, s16
	v_add_co_ci_u32_e32 v2, vcc_lo, s21, v2, vcc_lo
	s_addc_u32 s16, s23, s17
	v_add_co_u32 v3, vcc_lo, s10, v3
	s_mul_i32 s11, s11, s1
	s_add_i32 s0, s27, s0
	v_add_co_ci_u32_e32 v4, vcc_lo, s16, v4, vcc_lo
	s_add_i32 s27, s0, s11
	s_mov_b32 s16, s3
	s_lshl_b64 s[10:11], s[26:27], 1
	s_mov_b32 s17, s3
	.p2align	6
.LBB421_2:                              ; =>This Inner Loop Header: Depth=1
	global_load_u16 v7, v[3:4], off
	global_load_u16 v8, v[1:2], off
	v_add_co_u32 v1, s0, v1, s8
	s_delay_alu instid0(VALU_DEP_1)
	v_add_co_ci_u32_e64 v2, s0, s9, v2, s0
	s_add_i32 s18, s17, 1
	v_cmp_le_i32_e32 vcc_lo, s13, v6
	v_add_co_u32 v3, s0, v3, s10
	s_cmp_gt_u32 s17, 6
	v_add_co_ci_u32_e64 v4, s0, s11, v4, s0
	s_cselect_b32 s0, -1, 0
	v_add_nc_u32_e32 v6, s1, v6
	s_or_b32 s0, s0, vcc_lo
	s_mov_b32 s17, s18
	s_and_b32 s0, exec_lo, s0
	s_delay_alu instid0(SALU_CYCLE_1)
	s_or_b32 s16, s0, s16
	s_waitcnt vmcnt(0)
	v_fma_mix_f32 v5, v7, v8, v5 op_sel_hi:[1,1,0]
	s_and_not1_b32 exec_lo, exec_lo, s16
	s_cbranch_execnz .LBB421_2
; %bb.3:
	s_or_b32 exec_lo, exec_lo, s16
.LBB421_4:
	s_delay_alu instid0(SALU_CYCLE_1) | instskip(SKIP_2) | instid1(VALU_DEP_2)
	s_or_b32 exec_lo, exec_lo, s15
	v_and_b32_e32 v2, 31, v0
	v_cmp_gt_u32_e32 vcc_lo, 32, v0
	v_lshlrev_b32_e32 v1, 2, v2
	s_and_saveexec_b32 s0, vcc_lo
	s_cbranch_execz .LBB421_6
; %bb.5:
	v_mov_b32_e32 v3, 0
	ds_store_b32 v1, v3
.LBB421_6:
	s_or_b32 exec_lo, exec_lo, s0
	v_mbcnt_lo_u32_b32 v6, -1, 0
	s_mov_b32 s1, exec_lo
	s_waitcnt lgkmcnt(0)
	s_barrier
	buffer_gl0_inv
	v_cmp_gt_u32_e64 s0, 16, v6
	s_delay_alu instid0(VALU_DEP_1) | instskip(SKIP_1) | instid1(VALU_DEP_2)
	v_cndmask_b32_e64 v3, 0, 1, s0
	v_cmp_gt_u32_e64 s0, 24, v6
	v_lshlrev_b32_e32 v3, 4, v3
	s_delay_alu instid0(VALU_DEP_1) | instskip(SKIP_3) | instid1(VALU_DEP_2)
	v_add_lshl_u32 v3, v3, v6, 2
	ds_bpermute_b32 v4, v3, v5
	v_cndmask_b32_e64 v3, 0, 1, s0
	v_cmp_gt_u32_e64 s0, 28, v6
	v_lshlrev_b32_e32 v3, 3, v3
	s_delay_alu instid0(VALU_DEP_1)
	v_add_lshl_u32 v3, v3, v6, 2
	s_waitcnt lgkmcnt(0)
	v_add_f32_e32 v5, v5, v4
	v_cndmask_b32_e64 v4, 0, 1, s0
	v_cmp_gt_u32_e64 s0, 30, v6
	ds_bpermute_b32 v7, v3, v5
	s_waitcnt lgkmcnt(0)
	v_dual_add_f32 v7, v5, v7 :: v_dual_lshlrev_b32 v4, 2, v4
	s_delay_alu instid0(VALU_DEP_1) | instskip(SKIP_4) | instid1(VALU_DEP_1)
	v_add_lshl_u32 v4, v4, v6, 2
	v_cndmask_b32_e64 v5, 0, 1, s0
	v_cmp_ne_u32_e64 s0, 31, v6
	ds_bpermute_b32 v8, v4, v7
	v_lshlrev_b32_e32 v5, 1, v5
	v_add_lshl_u32 v5, v5, v6, 2
	v_add_co_ci_u32_e64 v6, s0, 0, v6, s0
	s_waitcnt lgkmcnt(0)
	s_delay_alu instid0(VALU_DEP_1)
	v_dual_add_f32 v7, v7, v8 :: v_dual_lshlrev_b32 v6, 2, v6
	ds_bpermute_b32 v8, v5, v7
	s_waitcnt lgkmcnt(0)
	v_add_f32_e32 v7, v7, v8
	ds_bpermute_b32 v8, v6, v7
	v_cmpx_eq_u32_e32 0, v2
	s_cbranch_execz .LBB421_8
; %bb.7:
	v_lshrrev_b32_e32 v2, 3, v0
	s_waitcnt lgkmcnt(0)
	s_delay_alu instid0(VALU_DEP_1)
	v_dual_add_f32 v7, v7, v8 :: v_dual_and_b32 v2, 60, v2
	ds_store_b32 v2, v7
.LBB421_8:
	s_or_b32 exec_lo, exec_lo, s1
	v_mov_b32_e32 v2, 0
	s_mov_b32 s1, exec_lo
	s_waitcnt lgkmcnt(0)
	s_barrier
	buffer_gl0_inv
	v_cmpx_gt_u32_e32 16, v0
	s_cbranch_execz .LBB421_10
; %bb.9:
	ds_load_b32 v2, v1
.LBB421_10:
	s_or_b32 exec_lo, exec_lo, s1
	s_and_saveexec_b32 s0, vcc_lo
	s_cbranch_execz .LBB421_12
; %bb.11:
	s_waitcnt lgkmcnt(0)
	ds_bpermute_b32 v1, v3, v2
	s_waitcnt lgkmcnt(0)
	v_add_f32_e32 v1, v2, v1
	ds_bpermute_b32 v2, v4, v1
	s_waitcnt lgkmcnt(0)
	v_add_f32_e32 v1, v1, v2
	ds_bpermute_b32 v2, v5, v1
	s_waitcnt lgkmcnt(0)
	v_add_f32_e32 v1, v1, v2
	ds_bpermute_b32 v2, v6, v1
	s_waitcnt lgkmcnt(0)
	v_add_f32_e32 v2, v1, v2
.LBB421_12:
	s_or_b32 exec_lo, exec_lo, s0
	s_delay_alu instid0(SALU_CYCLE_1)
	s_mov_b32 s0, exec_lo
	v_cmpx_eq_u32_e32 0, v0
	s_cbranch_execz .LBB421_17
; %bb.13:
	s_cmp_lg_u32 s12, 1
	s_mov_b32 s15, -1
	s_cbranch_scc0 .LBB421_15
; %bb.14:
	s_mul_hi_u32 s1, s12, s2
	s_mul_i32 s0, s12, s2
	s_mov_b32 s15, 0
	s_lshl_b64 s[0:1], s[0:1], 2
	v_mov_b32_e32 v0, 0
	s_add_u32 s4, s4, s0
	s_addc_u32 s5, s5, s1
	s_lshl_b64 s[0:1], s[14:15], 2
	s_delay_alu instid0(SALU_CYCLE_1)
	s_add_u32 s0, s4, s0
	s_addc_u32 s1, s5, s1
	s_waitcnt lgkmcnt(0)
	global_store_b32 v0, v2, s[0:1]
.LBB421_15:
	s_and_not1_b32 vcc_lo, exec_lo, s15
	s_cbranch_vccnz .LBB421_17
; %bb.16:
	s_waitcnt lgkmcnt(0)
	v_cvt_f16_f32_e32 v0, v2
	s_lshl_b64 s[0:1], s[2:3], 1
	v_mov_b32_e32 v1, 0
	s_add_u32 s0, s6, s0
	s_addc_u32 s1, s7, s1
	global_store_b16 v1, v0, s[0:1]
.LBB421_17:
	s_nop 0
	s_sendmsg sendmsg(MSG_DEALLOC_VGPRS)
	s_endpgm
	.section	.rodata,"a",@progbits
	.p2align	6, 0x0
	.amdhsa_kernel _ZL18rocblas_dot_kernelIlLb0ELi512ELi8ELb0EDF16_PKPKDF16_fEviT5_lT_lS4_lS5_liPT6_PT4_
		.amdhsa_group_segment_fixed_size 128
		.amdhsa_private_segment_fixed_size 0
		.amdhsa_kernarg_size 352
		.amdhsa_user_sgpr_count 14
		.amdhsa_user_sgpr_dispatch_ptr 0
		.amdhsa_user_sgpr_queue_ptr 0
		.amdhsa_user_sgpr_kernarg_segment_ptr 1
		.amdhsa_user_sgpr_dispatch_id 0
		.amdhsa_user_sgpr_private_segment_size 0
		.amdhsa_wavefront_size32 1
		.amdhsa_uses_dynamic_stack 0
		.amdhsa_enable_private_segment 0
		.amdhsa_system_sgpr_workgroup_id_x 1
		.amdhsa_system_sgpr_workgroup_id_y 0
		.amdhsa_system_sgpr_workgroup_id_z 1
		.amdhsa_system_sgpr_workgroup_info 0
		.amdhsa_system_vgpr_workitem_id 0
		.amdhsa_next_free_vgpr 12
		.amdhsa_next_free_sgpr 29
		.amdhsa_reserve_vcc 1
		.amdhsa_float_round_mode_32 0
		.amdhsa_float_round_mode_16_64 0
		.amdhsa_float_denorm_mode_32 3
		.amdhsa_float_denorm_mode_16_64 3
		.amdhsa_dx10_clamp 1
		.amdhsa_ieee_mode 1
		.amdhsa_fp16_overflow 0
		.amdhsa_workgroup_processor_mode 1
		.amdhsa_memory_ordered 1
		.amdhsa_forward_progress 0
		.amdhsa_shared_vgpr_count 0
		.amdhsa_exception_fp_ieee_invalid_op 0
		.amdhsa_exception_fp_denorm_src 0
		.amdhsa_exception_fp_ieee_div_zero 0
		.amdhsa_exception_fp_ieee_overflow 0
		.amdhsa_exception_fp_ieee_underflow 0
		.amdhsa_exception_fp_ieee_inexact 0
		.amdhsa_exception_int_div_zero 0
	.end_amdhsa_kernel
	.section	.text._ZL18rocblas_dot_kernelIlLb0ELi512ELi8ELb0EDF16_PKPKDF16_fEviT5_lT_lS4_lS5_liPT6_PT4_,"axG",@progbits,_ZL18rocblas_dot_kernelIlLb0ELi512ELi8ELb0EDF16_PKPKDF16_fEviT5_lT_lS4_lS5_liPT6_PT4_,comdat
.Lfunc_end421:
	.size	_ZL18rocblas_dot_kernelIlLb0ELi512ELi8ELb0EDF16_PKPKDF16_fEviT5_lT_lS4_lS5_liPT6_PT4_, .Lfunc_end421-_ZL18rocblas_dot_kernelIlLb0ELi512ELi8ELb0EDF16_PKPKDF16_fEviT5_lT_lS4_lS5_liPT6_PT4_
                                        ; -- End function
	.section	.AMDGPU.csdata,"",@progbits
; Kernel info:
; codeLenInByte = 1080
; NumSgprs: 31
; NumVgprs: 12
; ScratchSize: 0
; MemoryBound: 0
; FloatMode: 240
; IeeeMode: 1
; LDSByteSize: 128 bytes/workgroup (compile time only)
; SGPRBlocks: 3
; VGPRBlocks: 1
; NumSGPRsForWavesPerEU: 31
; NumVGPRsForWavesPerEU: 12
; Occupancy: 16
; WaveLimiterHint : 0
; COMPUTE_PGM_RSRC2:SCRATCH_EN: 0
; COMPUTE_PGM_RSRC2:USER_SGPR: 14
; COMPUTE_PGM_RSRC2:TRAP_HANDLER: 0
; COMPUTE_PGM_RSRC2:TGID_X_EN: 1
; COMPUTE_PGM_RSRC2:TGID_Y_EN: 0
; COMPUTE_PGM_RSRC2:TGID_Z_EN: 1
; COMPUTE_PGM_RSRC2:TIDIG_COMP_CNT: 0
	.section	.text._ZL24rocblas_dot_kernel_magsqIlLb0ELi512ELi8ELb0EDF16_PKPKDF16_fEviT5_lT_liPT6_PT4_,"axG",@progbits,_ZL24rocblas_dot_kernel_magsqIlLb0ELi512ELi8ELb0EDF16_PKPKDF16_fEviT5_lT_liPT6_PT4_,comdat
	.globl	_ZL24rocblas_dot_kernel_magsqIlLb0ELi512ELi8ELb0EDF16_PKPKDF16_fEviT5_lT_liPT6_PT4_ ; -- Begin function _ZL24rocblas_dot_kernel_magsqIlLb0ELi512ELi8ELb0EDF16_PKPKDF16_fEviT5_lT_liPT6_PT4_
	.p2align	8
	.type	_ZL24rocblas_dot_kernel_magsqIlLb0ELi512ELi8ELb0EDF16_PKPKDF16_fEviT5_lT_liPT6_PT4_,@function
_ZL24rocblas_dot_kernel_magsqIlLb0ELi512ELi8ELb0EDF16_PKPKDF16_fEviT5_lT_liPT6_PT4_: ; @_ZL24rocblas_dot_kernel_magsqIlLb0ELi512ELi8ELb0EDF16_PKPKDF16_fEviT5_lT_liPT6_PT4_
; %bb.0:
	s_clause 0x2
	s_load_b32 s11, s[0:1], 0x0
	s_load_b128 s[4:7], s[0:1], 0x30
	s_load_b32 s10, s[0:1], 0x40
	v_lshl_or_b32 v1, s14, 9, v0
	v_mov_b32_e32 v3, 0
	s_mov_b32 s8, s15
	s_mov_b32 s9, 0
	s_mov_b32 s12, exec_lo
	s_waitcnt lgkmcnt(0)
	v_cmpx_gt_i32_e64 s11, v1
	s_cbranch_execz .LBB422_4
; %bb.1:
	s_clause 0x1
	s_load_b64 s[16:17], s[0:1], 0x8
	s_load_b128 s[0:3], s[0:1], 0x10
	s_lshl_b64 s[18:19], s[8:9], 3
	v_ashrrev_i32_e32 v2, 31, v1
	s_waitcnt lgkmcnt(0)
	s_add_u32 s16, s16, s18
	s_addc_u32 s17, s17, s19
	v_mul_lo_u32 v4, s3, v1
	s_load_b64 s[16:17], s[16:17], 0x0
	v_mul_lo_u32 v2, s2, v2
	v_mad_u64_u32 v[5:6], null, s2, v1, 0
	s_lshl_b32 s13, s10, 9
	v_mov_b32_e32 v3, 0
	s_lshl_b64 s[0:1], s[0:1], 1
	s_mul_hi_u32 s15, s2, s13
	s_mul_i32 s3, s3, s13
	s_delay_alu instid0(VALU_DEP_2) | instskip(SKIP_1) | instid1(VALU_DEP_2)
	v_add3_u32 v6, v6, v2, v4
	v_add_nc_u32_e32 v4, s13, v1
	v_lshlrev_b64 v[1:2], 1, v[5:6]
	s_waitcnt lgkmcnt(0)
	s_add_u32 s0, s16, s0
	s_addc_u32 s1, s17, s1
	s_ashr_i32 s16, s13, 31
	s_delay_alu instid0(VALU_DEP_1)
	v_add_co_u32 v1, vcc_lo, s0, v1
	s_mul_i32 s16, s2, s16
	v_add_co_ci_u32_e32 v2, vcc_lo, s1, v2, vcc_lo
	s_add_i32 s15, s15, s16
	s_mul_i32 s2, s2, s13
	s_add_i32 s3, s15, s3
	s_mov_b32 s1, s9
	s_lshl_b64 s[2:3], s[2:3], 1
	s_mov_b32 s15, s9
	.p2align	6
.LBB422_2:                              ; =>This Inner Loop Header: Depth=1
	global_load_u16 v5, v[1:2], off
	s_add_i32 s16, s15, 1
	v_cmp_le_i32_e32 vcc_lo, s11, v4
	v_add_co_u32 v1, s0, v1, s2
	s_cmp_gt_u32 s15, 6
	v_add_co_ci_u32_e64 v2, s0, s3, v2, s0
	s_cselect_b32 s0, -1, 0
	v_add_nc_u32_e32 v4, s13, v4
	s_or_b32 s0, s0, vcc_lo
	s_mov_b32 s15, s16
	s_and_b32 s0, exec_lo, s0
	s_delay_alu instid0(SALU_CYCLE_1)
	s_or_b32 s1, s0, s1
	s_waitcnt vmcnt(0)
	v_fma_mix_f32 v3, v5, v5, v3 op_sel_hi:[1,1,0]
	s_and_not1_b32 exec_lo, exec_lo, s1
	s_cbranch_execnz .LBB422_2
; %bb.3:
	s_or_b32 exec_lo, exec_lo, s1
.LBB422_4:
	s_delay_alu instid0(SALU_CYCLE_1) | instskip(SKIP_2) | instid1(VALU_DEP_2)
	s_or_b32 exec_lo, exec_lo, s12
	v_and_b32_e32 v2, 31, v0
	v_cmp_gt_u32_e32 vcc_lo, 32, v0
	v_lshlrev_b32_e32 v1, 2, v2
	s_and_saveexec_b32 s0, vcc_lo
	s_cbranch_execz .LBB422_6
; %bb.5:
	v_mov_b32_e32 v4, 0
	ds_store_b32 v1, v4
.LBB422_6:
	s_or_b32 exec_lo, exec_lo, s0
	v_mbcnt_lo_u32_b32 v6, -1, 0
	s_mov_b32 s1, exec_lo
	s_waitcnt lgkmcnt(0)
	s_barrier
	buffer_gl0_inv
	v_cmp_gt_u32_e64 s0, 16, v6
	s_delay_alu instid0(VALU_DEP_1) | instskip(SKIP_1) | instid1(VALU_DEP_2)
	v_cndmask_b32_e64 v4, 0, 1, s0
	v_cmp_gt_u32_e64 s0, 24, v6
	v_lshlrev_b32_e32 v4, 4, v4
	s_delay_alu instid0(VALU_DEP_1) | instskip(SKIP_4) | instid1(VALU_DEP_2)
	v_add_lshl_u32 v4, v4, v6, 2
	ds_bpermute_b32 v5, v4, v3
	v_cndmask_b32_e64 v4, 0, 1, s0
	v_cmp_gt_u32_e64 s0, 28, v6
	s_waitcnt lgkmcnt(0)
	v_dual_add_f32 v5, v3, v5 :: v_dual_lshlrev_b32 v4, 3, v4
	s_delay_alu instid0(VALU_DEP_2) | instskip(SKIP_1) | instid1(VALU_DEP_3)
	v_cndmask_b32_e64 v3, 0, 1, s0
	v_cmp_gt_u32_e64 s0, 30, v6
	v_add_lshl_u32 v4, v4, v6, 2
	s_delay_alu instid0(VALU_DEP_3)
	v_lshlrev_b32_e32 v3, 2, v3
	ds_bpermute_b32 v7, v4, v5
	v_add_lshl_u32 v3, v3, v6, 2
	s_waitcnt lgkmcnt(0)
	v_add_f32_e32 v7, v5, v7
	v_cndmask_b32_e64 v5, 0, 1, s0
	v_cmp_ne_u32_e64 s0, 31, v6
	ds_bpermute_b32 v8, v3, v7
	v_lshlrev_b32_e32 v5, 1, v5
	s_delay_alu instid0(VALU_DEP_1) | instskip(SKIP_2) | instid1(VALU_DEP_1)
	v_add_lshl_u32 v5, v5, v6, 2
	v_add_co_ci_u32_e64 v6, s0, 0, v6, s0
	s_waitcnt lgkmcnt(0)
	v_dual_add_f32 v7, v7, v8 :: v_dual_lshlrev_b32 v6, 2, v6
	ds_bpermute_b32 v8, v5, v7
	s_waitcnt lgkmcnt(0)
	v_add_f32_e32 v7, v7, v8
	ds_bpermute_b32 v8, v6, v7
	v_cmpx_eq_u32_e32 0, v2
	s_cbranch_execz .LBB422_8
; %bb.7:
	v_lshrrev_b32_e32 v2, 3, v0
	s_waitcnt lgkmcnt(0)
	s_delay_alu instid0(VALU_DEP_1)
	v_dual_add_f32 v7, v7, v8 :: v_dual_and_b32 v2, 60, v2
	ds_store_b32 v2, v7
.LBB422_8:
	s_or_b32 exec_lo, exec_lo, s1
	v_mov_b32_e32 v2, 0
	s_mov_b32 s1, exec_lo
	s_waitcnt lgkmcnt(0)
	s_barrier
	buffer_gl0_inv
	v_cmpx_gt_u32_e32 16, v0
	s_cbranch_execz .LBB422_10
; %bb.9:
	ds_load_b32 v2, v1
.LBB422_10:
	s_or_b32 exec_lo, exec_lo, s1
	s_and_saveexec_b32 s0, vcc_lo
	s_cbranch_execz .LBB422_12
; %bb.11:
	s_waitcnt lgkmcnt(0)
	ds_bpermute_b32 v1, v4, v2
	s_waitcnt lgkmcnt(0)
	v_add_f32_e32 v1, v2, v1
	ds_bpermute_b32 v2, v3, v1
	s_waitcnt lgkmcnt(0)
	v_add_f32_e32 v1, v1, v2
	;; [unrolled: 3-line block ×4, first 2 shown]
.LBB422_12:
	s_or_b32 exec_lo, exec_lo, s0
	s_delay_alu instid0(SALU_CYCLE_1)
	s_mov_b32 s0, exec_lo
	v_cmpx_eq_u32_e32 0, v0
	s_cbranch_execz .LBB422_17
; %bb.13:
	s_cmp_lg_u32 s10, 1
	s_mov_b32 s15, -1
	s_cbranch_scc0 .LBB422_15
; %bb.14:
	s_mul_hi_u32 s1, s10, s8
	s_mul_i32 s0, s10, s8
	s_mov_b32 s15, 0
	s_lshl_b64 s[0:1], s[0:1], 2
	v_mov_b32_e32 v0, 0
	s_add_u32 s2, s4, s0
	s_addc_u32 s3, s5, s1
	s_lshl_b64 s[0:1], s[14:15], 2
	s_delay_alu instid0(SALU_CYCLE_1)
	s_add_u32 s0, s2, s0
	s_addc_u32 s1, s3, s1
	s_waitcnt lgkmcnt(0)
	global_store_b32 v0, v2, s[0:1]
.LBB422_15:
	s_and_not1_b32 vcc_lo, exec_lo, s15
	s_cbranch_vccnz .LBB422_17
; %bb.16:
	s_waitcnt lgkmcnt(0)
	v_cvt_f16_f32_e32 v0, v2
	s_lshl_b64 s[0:1], s[8:9], 1
	v_mov_b32_e32 v1, 0
	s_add_u32 s0, s6, s0
	s_addc_u32 s1, s7, s1
	global_store_b16 v1, v0, s[0:1]
.LBB422_17:
	s_nop 0
	s_sendmsg sendmsg(MSG_DEALLOC_VGPRS)
	s_endpgm
	.section	.rodata,"a",@progbits
	.p2align	6, 0x0
	.amdhsa_kernel _ZL24rocblas_dot_kernel_magsqIlLb0ELi512ELi8ELb0EDF16_PKPKDF16_fEviT5_lT_liPT6_PT4_
		.amdhsa_group_segment_fixed_size 128
		.amdhsa_private_segment_fixed_size 0
		.amdhsa_kernarg_size 320
		.amdhsa_user_sgpr_count 14
		.amdhsa_user_sgpr_dispatch_ptr 0
		.amdhsa_user_sgpr_queue_ptr 0
		.amdhsa_user_sgpr_kernarg_segment_ptr 1
		.amdhsa_user_sgpr_dispatch_id 0
		.amdhsa_user_sgpr_private_segment_size 0
		.amdhsa_wavefront_size32 1
		.amdhsa_uses_dynamic_stack 0
		.amdhsa_enable_private_segment 0
		.amdhsa_system_sgpr_workgroup_id_x 1
		.amdhsa_system_sgpr_workgroup_id_y 0
		.amdhsa_system_sgpr_workgroup_id_z 1
		.amdhsa_system_sgpr_workgroup_info 0
		.amdhsa_system_vgpr_workitem_id 0
		.amdhsa_next_free_vgpr 9
		.amdhsa_next_free_sgpr 20
		.amdhsa_reserve_vcc 1
		.amdhsa_float_round_mode_32 0
		.amdhsa_float_round_mode_16_64 0
		.amdhsa_float_denorm_mode_32 3
		.amdhsa_float_denorm_mode_16_64 3
		.amdhsa_dx10_clamp 1
		.amdhsa_ieee_mode 1
		.amdhsa_fp16_overflow 0
		.amdhsa_workgroup_processor_mode 1
		.amdhsa_memory_ordered 1
		.amdhsa_forward_progress 0
		.amdhsa_shared_vgpr_count 0
		.amdhsa_exception_fp_ieee_invalid_op 0
		.amdhsa_exception_fp_denorm_src 0
		.amdhsa_exception_fp_ieee_div_zero 0
		.amdhsa_exception_fp_ieee_overflow 0
		.amdhsa_exception_fp_ieee_underflow 0
		.amdhsa_exception_fp_ieee_inexact 0
		.amdhsa_exception_int_div_zero 0
	.end_amdhsa_kernel
	.section	.text._ZL24rocblas_dot_kernel_magsqIlLb0ELi512ELi8ELb0EDF16_PKPKDF16_fEviT5_lT_liPT6_PT4_,"axG",@progbits,_ZL24rocblas_dot_kernel_magsqIlLb0ELi512ELi8ELb0EDF16_PKPKDF16_fEviT5_lT_liPT6_PT4_,comdat
.Lfunc_end422:
	.size	_ZL24rocblas_dot_kernel_magsqIlLb0ELi512ELi8ELb0EDF16_PKPKDF16_fEviT5_lT_liPT6_PT4_, .Lfunc_end422-_ZL24rocblas_dot_kernel_magsqIlLb0ELi512ELi8ELb0EDF16_PKPKDF16_fEviT5_lT_liPT6_PT4_
                                        ; -- End function
	.section	.AMDGPU.csdata,"",@progbits
; Kernel info:
; codeLenInByte = 928
; NumSgprs: 22
; NumVgprs: 9
; ScratchSize: 0
; MemoryBound: 0
; FloatMode: 240
; IeeeMode: 1
; LDSByteSize: 128 bytes/workgroup (compile time only)
; SGPRBlocks: 2
; VGPRBlocks: 1
; NumSGPRsForWavesPerEU: 22
; NumVGPRsForWavesPerEU: 9
; Occupancy: 16
; WaveLimiterHint : 0
; COMPUTE_PGM_RSRC2:SCRATCH_EN: 0
; COMPUTE_PGM_RSRC2:USER_SGPR: 14
; COMPUTE_PGM_RSRC2:TRAP_HANDLER: 0
; COMPUTE_PGM_RSRC2:TGID_X_EN: 1
; COMPUTE_PGM_RSRC2:TGID_Y_EN: 0
; COMPUTE_PGM_RSRC2:TGID_Z_EN: 1
; COMPUTE_PGM_RSRC2:TIDIG_COMP_CNT: 0
	.section	.text._ZL28rocblas_dot_batched_4_kernelIiLi32ELi4ELb0EddPKfEviT5_lT_lS2_lS3_liPT4_,"axG",@progbits,_ZL28rocblas_dot_batched_4_kernelIiLi32ELi4ELb0EddPKfEviT5_lT_lS2_lS3_liPT4_,comdat
	.globl	_ZL28rocblas_dot_batched_4_kernelIiLi32ELi4ELb0EddPKfEviT5_lT_lS2_lS3_liPT4_ ; -- Begin function _ZL28rocblas_dot_batched_4_kernelIiLi32ELi4ELb0EddPKfEviT5_lT_lS2_lS3_liPT4_
	.p2align	8
	.type	_ZL28rocblas_dot_batched_4_kernelIiLi32ELi4ELb0EddPKfEviT5_lT_lS2_lS3_liPT4_,@function
_ZL28rocblas_dot_batched_4_kernelIiLi32ELi4ELb0EddPKfEviT5_lT_lS2_lS3_liPT4_: ; @_ZL28rocblas_dot_batched_4_kernelIiLi32ELi4ELb0EddPKfEviT5_lT_lS2_lS3_liPT4_
; %bb.0:
	s_load_b32 s2, s[0:1], 0x48
	v_bfe_u32 v1, v0, 10, 10
	s_delay_alu instid0(VALU_DEP_1) | instskip(SKIP_1) | instid1(VALU_DEP_1)
	v_lshl_add_u32 v1, s15, 2, v1
	s_waitcnt lgkmcnt(0)
	v_cmp_gt_u32_e32 vcc_lo, s2, v1
	s_and_saveexec_b32 s2, vcc_lo
	s_cbranch_execz .LBB423_7
; %bb.1:
	s_clause 0x1
	s_load_b32 s12, s[0:1], 0x0
	s_load_b64 s[2:3], s[0:1], 0x50
	v_dual_mov_b32 v3, 0 :: v_dual_and_b32 v0, 0x3ff, v0
	v_mov_b32_e32 v2, 0
	v_mov_b32_e32 v4, 0
	s_mov_b32 s13, exec_lo
	s_waitcnt lgkmcnt(0)
	v_cmpx_gt_i32_e64 s12, v0
	s_cbranch_execz .LBB423_5
; %bb.2:
	s_clause 0x5
	s_load_b128 s[4:7], s[0:1], 0x20
	s_load_b64 s[14:15], s[0:1], 0x40
	s_load_b32 s16, s[0:1], 0x18
	s_load_b32 s18, s[0:1], 0x38
	s_load_b128 s[8:11], s[0:1], 0x8
	s_load_b64 s[0:1], s[0:1], 0x30
	s_waitcnt lgkmcnt(0)
	v_mad_u64_u32 v[5:6], null, s4, v1, 0
	v_mad_u64_u32 v[7:8], null, s14, v1, 0
	v_mad_i64_i32 v[9:10], null, s16, v0, 0
	s_ashr_i32 s17, s16, 31
	s_ashr_i32 s19, s18, 31
	s_delay_alu instid0(VALU_DEP_2) | instskip(NEXT) | instid1(VALU_DEP_2)
	v_mad_u64_u32 v[11:12], null, s5, v1, v[6:7]
	v_mad_u64_u32 v[12:13], null, s15, v1, v[8:9]
	v_mov_b32_e32 v3, 0
	v_mad_i64_i32 v[13:14], null, s18, v0, 0
	v_lshlrev_b64 v[9:10], 2, v[9:10]
	v_mov_b32_e32 v6, v11
	s_lshl_b64 s[4:5], s[10:11], 2
	v_mov_b32_e32 v8, v12
	s_add_u32 s8, s8, s4
	s_addc_u32 s9, s9, s5
	v_lshlrev_b64 v[5:6], 2, v[5:6]
	v_lshlrev_b64 v[11:12], 2, v[13:14]
	;; [unrolled: 1-line block ×3, first 2 shown]
	s_lshl_b64 s[0:1], s[0:1], 2
	s_lshl_b64 s[4:5], s[16:17], 7
	s_add_u32 s0, s6, s0
	v_add_co_u32 v5, vcc_lo, v9, v5
	v_add_co_ci_u32_e32 v6, vcc_lo, v10, v6, vcc_lo
	v_add_co_u32 v7, vcc_lo, v11, v7
	v_add_co_ci_u32_e32 v8, vcc_lo, v12, v8, vcc_lo
	s_delay_alu instid0(VALU_DEP_4) | instskip(NEXT) | instid1(VALU_DEP_4)
	v_add_co_u32 v5, vcc_lo, s8, v5
	v_add_co_ci_u32_e32 v6, vcc_lo, s9, v6, vcc_lo
	s_addc_u32 s1, s7, s1
	v_add_co_u32 v7, vcc_lo, s0, v7
	v_dual_mov_b32 v4, 0 :: v_dual_mov_b32 v9, v0
	v_add_co_ci_u32_e32 v8, vcc_lo, s1, v8, vcc_lo
	s_lshl_b64 s[6:7], s[18:19], 7
	s_mov_b32 s1, 0
	.p2align	6
.LBB423_3:                              ; =>This Inner Loop Header: Depth=1
	global_load_b32 v10, v[5:6], off
	global_load_b32 v12, v[7:8], off
	v_add_nc_u32_e32 v9, 32, v9
	v_add_co_u32 v5, vcc_lo, v5, s4
	v_add_co_ci_u32_e32 v6, vcc_lo, s5, v6, vcc_lo
	s_delay_alu instid0(VALU_DEP_3) | instskip(SKIP_1) | instid1(VALU_DEP_1)
	v_cmp_le_i32_e32 vcc_lo, s12, v9
	v_add_co_u32 v7, s0, v7, s6
	v_add_co_ci_u32_e64 v8, s0, s7, v8, s0
	s_or_b32 s1, vcc_lo, s1
	s_waitcnt vmcnt(1)
	v_cvt_f64_f32_e32 v[10:11], v10
	s_waitcnt vmcnt(0)
	v_cvt_f64_f32_e32 v[12:13], v12
	s_delay_alu instid0(VALU_DEP_1)
	v_fma_f64 v[3:4], v[10:11], v[12:13], v[3:4]
	s_and_not1_b32 exec_lo, exec_lo, s1
	s_cbranch_execnz .LBB423_3
; %bb.4:
	s_or_b32 exec_lo, exec_lo, s1
.LBB423_5:
	s_delay_alu instid0(SALU_CYCLE_1)
	s_or_b32 exec_lo, exec_lo, s13
	v_mbcnt_lo_u32_b32 v7, -1, 0
	s_barrier
	buffer_gl0_inv
	v_cmp_gt_u32_e32 vcc_lo, 16, v7
	v_cndmask_b32_e64 v5, 0, 1, vcc_lo
	v_cmp_gt_u32_e32 vcc_lo, 24, v7
	s_delay_alu instid0(VALU_DEP_2) | instskip(NEXT) | instid1(VALU_DEP_1)
	v_lshlrev_b32_e32 v5, 4, v5
	v_add_lshl_u32 v6, v5, v7, 2
	ds_bpermute_b32 v5, v6, v3
	ds_bpermute_b32 v6, v6, v4
	s_waitcnt lgkmcnt(0)
	v_add_f64 v[3:4], v[3:4], v[5:6]
	v_cndmask_b32_e64 v5, 0, 1, vcc_lo
	v_cmp_gt_u32_e32 vcc_lo, 28, v7
	s_delay_alu instid0(VALU_DEP_2) | instskip(NEXT) | instid1(VALU_DEP_1)
	v_lshlrev_b32_e32 v5, 3, v5
	v_add_lshl_u32 v6, v5, v7, 2
	ds_bpermute_b32 v5, v6, v3
	ds_bpermute_b32 v6, v6, v4
	s_waitcnt lgkmcnt(0)
	v_add_f64 v[3:4], v[3:4], v[5:6]
	;; [unrolled: 9-line block ×3, first 2 shown]
	v_cndmask_b32_e64 v5, 0, 1, vcc_lo
	v_cmp_ne_u32_e32 vcc_lo, 31, v7
	s_delay_alu instid0(VALU_DEP_2) | instskip(NEXT) | instid1(VALU_DEP_1)
	v_lshlrev_b32_e32 v5, 1, v5
	v_add_lshl_u32 v6, v5, v7, 2
	ds_bpermute_b32 v5, v6, v3
	ds_bpermute_b32 v6, v6, v4
	s_waitcnt lgkmcnt(0)
	v_add_f64 v[3:4], v[3:4], v[5:6]
	v_add_co_ci_u32_e32 v5, vcc_lo, 0, v7, vcc_lo
	v_cmp_eq_u32_e32 vcc_lo, 0, v0
	s_delay_alu instid0(VALU_DEP_2)
	v_lshlrev_b32_e32 v6, 2, v5
	ds_bpermute_b32 v5, v6, v3
	ds_bpermute_b32 v6, v6, v4
	s_and_b32 exec_lo, exec_lo, vcc_lo
	s_cbranch_execz .LBB423_7
; %bb.6:
	s_waitcnt lgkmcnt(0)
	v_add_f64 v[3:4], v[3:4], v[5:6]
	v_lshlrev_b64 v[0:1], 3, v[1:2]
	s_delay_alu instid0(VALU_DEP_1) | instskip(NEXT) | instid1(VALU_DEP_2)
	v_add_co_u32 v0, vcc_lo, s2, v0
	v_add_co_ci_u32_e32 v1, vcc_lo, s3, v1, vcc_lo
	global_store_b64 v[0:1], v[3:4], off
.LBB423_7:
	s_nop 0
	s_sendmsg sendmsg(MSG_DEALLOC_VGPRS)
	s_endpgm
	.section	.rodata,"a",@progbits
	.p2align	6, 0x0
	.amdhsa_kernel _ZL28rocblas_dot_batched_4_kernelIiLi32ELi4ELb0EddPKfEviT5_lT_lS2_lS3_liPT4_
		.amdhsa_group_segment_fixed_size 0
		.amdhsa_private_segment_fixed_size 0
		.amdhsa_kernarg_size 88
		.amdhsa_user_sgpr_count 15
		.amdhsa_user_sgpr_dispatch_ptr 0
		.amdhsa_user_sgpr_queue_ptr 0
		.amdhsa_user_sgpr_kernarg_segment_ptr 1
		.amdhsa_user_sgpr_dispatch_id 0
		.amdhsa_user_sgpr_private_segment_size 0
		.amdhsa_wavefront_size32 1
		.amdhsa_uses_dynamic_stack 0
		.amdhsa_enable_private_segment 0
		.amdhsa_system_sgpr_workgroup_id_x 1
		.amdhsa_system_sgpr_workgroup_id_y 0
		.amdhsa_system_sgpr_workgroup_id_z 0
		.amdhsa_system_sgpr_workgroup_info 0
		.amdhsa_system_vgpr_workitem_id 1
		.amdhsa_next_free_vgpr 15
		.amdhsa_next_free_sgpr 20
		.amdhsa_reserve_vcc 1
		.amdhsa_float_round_mode_32 0
		.amdhsa_float_round_mode_16_64 0
		.amdhsa_float_denorm_mode_32 3
		.amdhsa_float_denorm_mode_16_64 3
		.amdhsa_dx10_clamp 1
		.amdhsa_ieee_mode 1
		.amdhsa_fp16_overflow 0
		.amdhsa_workgroup_processor_mode 1
		.amdhsa_memory_ordered 1
		.amdhsa_forward_progress 0
		.amdhsa_shared_vgpr_count 0
		.amdhsa_exception_fp_ieee_invalid_op 0
		.amdhsa_exception_fp_denorm_src 0
		.amdhsa_exception_fp_ieee_div_zero 0
		.amdhsa_exception_fp_ieee_overflow 0
		.amdhsa_exception_fp_ieee_underflow 0
		.amdhsa_exception_fp_ieee_inexact 0
		.amdhsa_exception_int_div_zero 0
	.end_amdhsa_kernel
	.section	.text._ZL28rocblas_dot_batched_4_kernelIiLi32ELi4ELb0EddPKfEviT5_lT_lS2_lS3_liPT4_,"axG",@progbits,_ZL28rocblas_dot_batched_4_kernelIiLi32ELi4ELb0EddPKfEviT5_lT_lS2_lS3_liPT4_,comdat
.Lfunc_end423:
	.size	_ZL28rocblas_dot_batched_4_kernelIiLi32ELi4ELb0EddPKfEviT5_lT_lS2_lS3_liPT4_, .Lfunc_end423-_ZL28rocblas_dot_batched_4_kernelIiLi32ELi4ELb0EddPKfEviT5_lT_lS2_lS3_liPT4_
                                        ; -- End function
	.section	.AMDGPU.csdata,"",@progbits
; Kernel info:
; codeLenInByte = 812
; NumSgprs: 22
; NumVgprs: 15
; ScratchSize: 0
; MemoryBound: 0
; FloatMode: 240
; IeeeMode: 1
; LDSByteSize: 0 bytes/workgroup (compile time only)
; SGPRBlocks: 2
; VGPRBlocks: 1
; NumSGPRsForWavesPerEU: 22
; NumVGPRsForWavesPerEU: 15
; Occupancy: 16
; WaveLimiterHint : 0
; COMPUTE_PGM_RSRC2:SCRATCH_EN: 0
; COMPUTE_PGM_RSRC2:USER_SGPR: 15
; COMPUTE_PGM_RSRC2:TRAP_HANDLER: 0
; COMPUTE_PGM_RSRC2:TGID_X_EN: 1
; COMPUTE_PGM_RSRC2:TGID_Y_EN: 0
; COMPUTE_PGM_RSRC2:TGID_Z_EN: 0
; COMPUTE_PGM_RSRC2:TIDIG_COMP_CNT: 1
	.section	.text._ZL28rocblas_dot_batched_4_kernelIiLi64ELi4ELb0EddPKfEviT5_lT_lS2_lS3_liPT4_,"axG",@progbits,_ZL28rocblas_dot_batched_4_kernelIiLi64ELi4ELb0EddPKfEviT5_lT_lS2_lS3_liPT4_,comdat
	.globl	_ZL28rocblas_dot_batched_4_kernelIiLi64ELi4ELb0EddPKfEviT5_lT_lS2_lS3_liPT4_ ; -- Begin function _ZL28rocblas_dot_batched_4_kernelIiLi64ELi4ELb0EddPKfEviT5_lT_lS2_lS3_liPT4_
	.p2align	8
	.type	_ZL28rocblas_dot_batched_4_kernelIiLi64ELi4ELb0EddPKfEviT5_lT_lS2_lS3_liPT4_,@function
_ZL28rocblas_dot_batched_4_kernelIiLi64ELi4ELb0EddPKfEviT5_lT_lS2_lS3_liPT4_: ; @_ZL28rocblas_dot_batched_4_kernelIiLi64ELi4ELb0EddPKfEviT5_lT_lS2_lS3_liPT4_
; %bb.0:
	s_load_b32 s2, s[0:1], 0x48
	v_bfe_u32 v1, v0, 10, 10
	s_delay_alu instid0(VALU_DEP_1) | instskip(SKIP_1) | instid1(VALU_DEP_1)
	v_lshl_add_u32 v1, s15, 2, v1
	s_waitcnt lgkmcnt(0)
	v_cmp_gt_u32_e32 vcc_lo, s2, v1
	s_and_saveexec_b32 s2, vcc_lo
	s_cbranch_execz .LBB424_7
; %bb.1:
	s_clause 0x1
	s_load_b32 s12, s[0:1], 0x0
	s_load_b64 s[2:3], s[0:1], 0x50
	v_dual_mov_b32 v3, 0 :: v_dual_and_b32 v0, 0x3ff, v0
	v_mov_b32_e32 v2, 0
	v_mov_b32_e32 v4, 0
	s_mov_b32 s13, exec_lo
	s_waitcnt lgkmcnt(0)
	v_cmpx_gt_i32_e64 s12, v0
	s_cbranch_execz .LBB424_5
; %bb.2:
	s_clause 0x5
	s_load_b128 s[4:7], s[0:1], 0x20
	s_load_b64 s[14:15], s[0:1], 0x40
	s_load_b32 s16, s[0:1], 0x18
	s_load_b32 s18, s[0:1], 0x38
	s_load_b128 s[8:11], s[0:1], 0x8
	s_load_b64 s[0:1], s[0:1], 0x30
	s_waitcnt lgkmcnt(0)
	v_mad_u64_u32 v[5:6], null, s4, v1, 0
	v_mad_u64_u32 v[7:8], null, s14, v1, 0
	v_mad_i64_i32 v[9:10], null, s16, v0, 0
	s_ashr_i32 s17, s16, 31
	s_ashr_i32 s19, s18, 31
	s_delay_alu instid0(VALU_DEP_2) | instskip(NEXT) | instid1(VALU_DEP_2)
	v_mad_u64_u32 v[11:12], null, s5, v1, v[6:7]
	v_mad_u64_u32 v[12:13], null, s15, v1, v[8:9]
	v_mov_b32_e32 v3, 0
	v_mad_i64_i32 v[13:14], null, s18, v0, 0
	v_lshlrev_b64 v[9:10], 2, v[9:10]
	v_mov_b32_e32 v6, v11
	s_lshl_b64 s[4:5], s[10:11], 2
	v_mov_b32_e32 v8, v12
	s_add_u32 s8, s8, s4
	s_addc_u32 s9, s9, s5
	v_lshlrev_b64 v[5:6], 2, v[5:6]
	v_lshlrev_b64 v[11:12], 2, v[13:14]
	;; [unrolled: 1-line block ×3, first 2 shown]
	s_lshl_b64 s[0:1], s[0:1], 2
	s_lshl_b64 s[4:5], s[16:17], 8
	s_add_u32 s0, s6, s0
	v_add_co_u32 v5, vcc_lo, v9, v5
	v_add_co_ci_u32_e32 v6, vcc_lo, v10, v6, vcc_lo
	v_add_co_u32 v7, vcc_lo, v11, v7
	v_add_co_ci_u32_e32 v8, vcc_lo, v12, v8, vcc_lo
	s_delay_alu instid0(VALU_DEP_4) | instskip(NEXT) | instid1(VALU_DEP_4)
	v_add_co_u32 v5, vcc_lo, s8, v5
	v_add_co_ci_u32_e32 v6, vcc_lo, s9, v6, vcc_lo
	s_addc_u32 s1, s7, s1
	v_add_co_u32 v7, vcc_lo, s0, v7
	v_dual_mov_b32 v4, 0 :: v_dual_mov_b32 v9, v0
	v_add_co_ci_u32_e32 v8, vcc_lo, s1, v8, vcc_lo
	s_lshl_b64 s[6:7], s[18:19], 8
	s_mov_b32 s1, 0
	.p2align	6
.LBB424_3:                              ; =>This Inner Loop Header: Depth=1
	global_load_b32 v10, v[5:6], off
	global_load_b32 v12, v[7:8], off
	v_add_nc_u32_e32 v9, 64, v9
	v_add_co_u32 v5, vcc_lo, v5, s4
	v_add_co_ci_u32_e32 v6, vcc_lo, s5, v6, vcc_lo
	s_delay_alu instid0(VALU_DEP_3) | instskip(SKIP_1) | instid1(VALU_DEP_1)
	v_cmp_le_i32_e32 vcc_lo, s12, v9
	v_add_co_u32 v7, s0, v7, s6
	v_add_co_ci_u32_e64 v8, s0, s7, v8, s0
	s_or_b32 s1, vcc_lo, s1
	s_waitcnt vmcnt(1)
	v_cvt_f64_f32_e32 v[10:11], v10
	s_waitcnt vmcnt(0)
	v_cvt_f64_f32_e32 v[12:13], v12
	s_delay_alu instid0(VALU_DEP_1)
	v_fma_f64 v[3:4], v[10:11], v[12:13], v[3:4]
	s_and_not1_b32 exec_lo, exec_lo, s1
	s_cbranch_execnz .LBB424_3
; %bb.4:
	s_or_b32 exec_lo, exec_lo, s1
.LBB424_5:
	s_delay_alu instid0(SALU_CYCLE_1)
	s_or_b32 exec_lo, exec_lo, s13
	v_mbcnt_lo_u32_b32 v7, -1, 0
	s_barrier
	buffer_gl0_inv
	v_lshlrev_b32_e32 v6, 2, v7
	v_cmp_gt_u32_e32 vcc_lo, 16, v7
	ds_bpermute_b32 v5, v6, v3
	ds_bpermute_b32 v6, v6, v4
	s_waitcnt lgkmcnt(0)
	v_add_f64 v[3:4], v[3:4], v[5:6]
	v_cndmask_b32_e64 v5, 0, 1, vcc_lo
	v_cmp_gt_u32_e32 vcc_lo, 24, v7
	s_delay_alu instid0(VALU_DEP_2) | instskip(NEXT) | instid1(VALU_DEP_1)
	v_lshlrev_b32_e32 v5, 4, v5
	v_add_lshl_u32 v6, v5, v7, 2
	ds_bpermute_b32 v5, v6, v3
	ds_bpermute_b32 v6, v6, v4
	s_waitcnt lgkmcnt(0)
	v_add_f64 v[3:4], v[3:4], v[5:6]
	v_cndmask_b32_e64 v5, 0, 1, vcc_lo
	v_cmp_gt_u32_e32 vcc_lo, 28, v7
	s_delay_alu instid0(VALU_DEP_2) | instskip(NEXT) | instid1(VALU_DEP_1)
	v_lshlrev_b32_e32 v5, 3, v5
	v_add_lshl_u32 v6, v5, v7, 2
	;; [unrolled: 9-line block ×3, first 2 shown]
	ds_bpermute_b32 v5, v6, v3
	ds_bpermute_b32 v6, v6, v4
	s_waitcnt lgkmcnt(0)
	v_add_f64 v[3:4], v[3:4], v[5:6]
	v_cndmask_b32_e64 v5, 0, 1, vcc_lo
	v_cmp_ne_u32_e32 vcc_lo, 31, v7
	s_delay_alu instid0(VALU_DEP_2) | instskip(NEXT) | instid1(VALU_DEP_1)
	v_lshlrev_b32_e32 v5, 1, v5
	v_add_lshl_u32 v6, v5, v7, 2
	ds_bpermute_b32 v5, v6, v3
	ds_bpermute_b32 v6, v6, v4
	s_waitcnt lgkmcnt(0)
	v_add_f64 v[3:4], v[3:4], v[5:6]
	v_add_co_ci_u32_e32 v5, vcc_lo, 0, v7, vcc_lo
	v_cmp_eq_u32_e32 vcc_lo, 0, v0
	s_delay_alu instid0(VALU_DEP_2)
	v_lshlrev_b32_e32 v6, 2, v5
	ds_bpermute_b32 v5, v6, v3
	ds_bpermute_b32 v6, v6, v4
	s_and_b32 exec_lo, exec_lo, vcc_lo
	s_cbranch_execz .LBB424_7
; %bb.6:
	s_waitcnt lgkmcnt(0)
	v_add_f64 v[3:4], v[3:4], v[5:6]
	v_lshlrev_b64 v[0:1], 3, v[1:2]
	s_delay_alu instid0(VALU_DEP_1) | instskip(NEXT) | instid1(VALU_DEP_2)
	v_add_co_u32 v0, vcc_lo, s2, v0
	v_add_co_ci_u32_e32 v1, vcc_lo, s3, v1, vcc_lo
	global_store_b64 v[0:1], v[3:4], off
.LBB424_7:
	s_nop 0
	s_sendmsg sendmsg(MSG_DEALLOC_VGPRS)
	s_endpgm
	.section	.rodata,"a",@progbits
	.p2align	6, 0x0
	.amdhsa_kernel _ZL28rocblas_dot_batched_4_kernelIiLi64ELi4ELb0EddPKfEviT5_lT_lS2_lS3_liPT4_
		.amdhsa_group_segment_fixed_size 0
		.amdhsa_private_segment_fixed_size 0
		.amdhsa_kernarg_size 88
		.amdhsa_user_sgpr_count 15
		.amdhsa_user_sgpr_dispatch_ptr 0
		.amdhsa_user_sgpr_queue_ptr 0
		.amdhsa_user_sgpr_kernarg_segment_ptr 1
		.amdhsa_user_sgpr_dispatch_id 0
		.amdhsa_user_sgpr_private_segment_size 0
		.amdhsa_wavefront_size32 1
		.amdhsa_uses_dynamic_stack 0
		.amdhsa_enable_private_segment 0
		.amdhsa_system_sgpr_workgroup_id_x 1
		.amdhsa_system_sgpr_workgroup_id_y 0
		.amdhsa_system_sgpr_workgroup_id_z 0
		.amdhsa_system_sgpr_workgroup_info 0
		.amdhsa_system_vgpr_workitem_id 1
		.amdhsa_next_free_vgpr 15
		.amdhsa_next_free_sgpr 20
		.amdhsa_reserve_vcc 1
		.amdhsa_float_round_mode_32 0
		.amdhsa_float_round_mode_16_64 0
		.amdhsa_float_denorm_mode_32 3
		.amdhsa_float_denorm_mode_16_64 3
		.amdhsa_dx10_clamp 1
		.amdhsa_ieee_mode 1
		.amdhsa_fp16_overflow 0
		.amdhsa_workgroup_processor_mode 1
		.amdhsa_memory_ordered 1
		.amdhsa_forward_progress 0
		.amdhsa_shared_vgpr_count 0
		.amdhsa_exception_fp_ieee_invalid_op 0
		.amdhsa_exception_fp_denorm_src 0
		.amdhsa_exception_fp_ieee_div_zero 0
		.amdhsa_exception_fp_ieee_overflow 0
		.amdhsa_exception_fp_ieee_underflow 0
		.amdhsa_exception_fp_ieee_inexact 0
		.amdhsa_exception_int_div_zero 0
	.end_amdhsa_kernel
	.section	.text._ZL28rocblas_dot_batched_4_kernelIiLi64ELi4ELb0EddPKfEviT5_lT_lS2_lS3_liPT4_,"axG",@progbits,_ZL28rocblas_dot_batched_4_kernelIiLi64ELi4ELb0EddPKfEviT5_lT_lS2_lS3_liPT4_,comdat
.Lfunc_end424:
	.size	_ZL28rocblas_dot_batched_4_kernelIiLi64ELi4ELb0EddPKfEviT5_lT_lS2_lS3_liPT4_, .Lfunc_end424-_ZL28rocblas_dot_batched_4_kernelIiLi64ELi4ELb0EddPKfEviT5_lT_lS2_lS3_liPT4_
                                        ; -- End function
	.section	.AMDGPU.csdata,"",@progbits
; Kernel info:
; codeLenInByte = 844
; NumSgprs: 22
; NumVgprs: 15
; ScratchSize: 0
; MemoryBound: 0
; FloatMode: 240
; IeeeMode: 1
; LDSByteSize: 0 bytes/workgroup (compile time only)
; SGPRBlocks: 2
; VGPRBlocks: 1
; NumSGPRsForWavesPerEU: 22
; NumVGPRsForWavesPerEU: 15
; Occupancy: 16
; WaveLimiterHint : 0
; COMPUTE_PGM_RSRC2:SCRATCH_EN: 0
; COMPUTE_PGM_RSRC2:USER_SGPR: 15
; COMPUTE_PGM_RSRC2:TRAP_HANDLER: 0
; COMPUTE_PGM_RSRC2:TGID_X_EN: 1
; COMPUTE_PGM_RSRC2:TGID_Y_EN: 0
; COMPUTE_PGM_RSRC2:TGID_Z_EN: 0
; COMPUTE_PGM_RSRC2:TIDIG_COMP_CNT: 1
	.section	.text._ZL26rocblas_dot_kernel_inc1by2ILb1ELi1024ELi32ELb0EdPKfdEviT4_llS2_lliPT5_PT3_,"axG",@progbits,_ZL26rocblas_dot_kernel_inc1by2ILb1ELi1024ELi32ELb0EdPKfdEviT4_llS2_lliPT5_PT3_,comdat
	.globl	_ZL26rocblas_dot_kernel_inc1by2ILb1ELi1024ELi32ELb0EdPKfdEviT4_llS2_lliPT5_PT3_ ; -- Begin function _ZL26rocblas_dot_kernel_inc1by2ILb1ELi1024ELi32ELb0EdPKfdEviT4_llS2_lliPT5_PT3_
	.p2align	8
	.type	_ZL26rocblas_dot_kernel_inc1by2ILb1ELi1024ELi32ELb0EdPKfdEviT4_llS2_lliPT5_PT3_,@function
_ZL26rocblas_dot_kernel_inc1by2ILb1ELi1024ELi32ELb0EdPKfdEviT4_llS2_lliPT5_PT3_: ; @_ZL26rocblas_dot_kernel_inc1by2ILb1ELi1024ELi32ELb0EdPKfdEviT4_llS2_lliPT5_PT3_
; %bb.0:
	s_clause 0x1
	s_load_b32 s10, s[0:1], 0x0
	s_load_b64 s[2:3], s[0:1], 0x48
	v_mov_b32_e32 v1, 0
	v_mov_b32_e32 v2, 0
	s_mov_b32 s8, s15
	s_mov_b32 s9, 0
	s_mov_b32 s11, exec_lo
	s_waitcnt lgkmcnt(0)
	v_cmpx_gt_i32_e64 s10, v0
	s_cbranch_execz .LBB425_4
; %bb.1:
	s_clause 0x3
	s_load_b128 s[12:15], s[0:1], 0x28
	s_load_b128 s[4:7], s[0:1], 0x10
	s_load_b64 s[16:17], s[0:1], 0x20
	s_load_b64 s[0:1], s[0:1], 0x8
	v_lshlrev_b32_e32 v5, 2, v0
	v_mov_b32_e32 v1, 0
	v_mov_b32_e32 v2, 0
	v_or_b32_e32 v7, 0x400, v0
	s_waitcnt lgkmcnt(0)
	s_mul_i32 s15, s15, s8
	s_mul_hi_u32 s18, s14, s8
	s_mul_i32 s14, s14, s8
	s_add_i32 s15, s18, s15
	s_lshl_b64 s[12:13], s[12:13], 2
	s_lshl_b64 s[14:15], s[14:15], 2
	s_mul_i32 s7, s7, s8
	s_add_u32 s12, s14, s12
	s_mul_hi_u32 s18, s6, s8
	s_addc_u32 s13, s15, s13
	s_add_u32 s12, s16, s12
	s_mul_i32 s6, s6, s8
	s_addc_u32 s13, s17, s13
	s_add_i32 s7, s18, s7
	s_lshl_b64 s[4:5], s[4:5], 2
	s_lshl_b64 s[6:7], s[6:7], 2
	v_add_co_u32 v3, s12, s12, v5
	s_add_u32 s4, s6, s4
	s_addc_u32 s5, s7, s5
	s_add_u32 s0, s0, s4
	s_addc_u32 s1, s1, s5
	v_add_co_u32 v5, s0, s0, v5
	v_add_co_ci_u32_e64 v4, null, s13, 0, s12
	v_add_co_ci_u32_e64 v6, null, s1, 0, s0
	s_mov_b32 s1, s9
	s_mov_b32 s4, s9
	.p2align	6
.LBB425_2:                              ; =>This Inner Loop Header: Depth=1
	global_load_b32 v8, v[3:4], off
	global_load_b32 v10, v[5:6], off
	s_add_i32 s5, s4, 1
	v_cmp_le_i32_e32 vcc_lo, s10, v7
	v_add_co_u32 v3, s0, 0x1000, v3
	s_cmp_gt_u32 s4, 30
	v_add_co_ci_u32_e64 v4, s0, 0, v4, s0
	s_cselect_b32 s4, -1, 0
	v_add_co_u32 v5, s0, 0x1000, v5
	s_or_b32 s4, s4, vcc_lo
	v_add_nc_u32_e32 v7, 0x400, v7
	v_add_co_ci_u32_e64 v6, vcc_lo, 0, v6, s0
	s_and_b32 s0, exec_lo, s4
	s_mov_b32 s4, s5
	s_or_b32 s1, s0, s1
	s_waitcnt vmcnt(1)
	v_cvt_f64_f32_e32 v[8:9], v8
	s_waitcnt vmcnt(0)
	v_cvt_f64_f32_e32 v[10:11], v10
	s_delay_alu instid0(VALU_DEP_1)
	v_fma_f64 v[1:2], v[8:9], v[10:11], v[1:2]
	s_and_not1_b32 exec_lo, exec_lo, s1
	s_cbranch_execnz .LBB425_2
; %bb.3:
	s_or_b32 exec_lo, exec_lo, s1
.LBB425_4:
	s_delay_alu instid0(SALU_CYCLE_1) | instskip(SKIP_2) | instid1(VALU_DEP_2)
	s_or_b32 exec_lo, exec_lo, s11
	v_and_b32_e32 v11, 31, v0
	v_cmp_gt_u32_e32 vcc_lo, 32, v0
	v_lshlrev_b32_e32 v5, 3, v11
	s_and_saveexec_b32 s0, vcc_lo
	s_cbranch_execz .LBB425_6
; %bb.5:
	v_mov_b32_e32 v3, 0
	s_delay_alu instid0(VALU_DEP_1)
	v_mov_b32_e32 v4, v3
	ds_store_b64 v5, v[3:4]
.LBB425_6:
	s_or_b32 exec_lo, exec_lo, s0
	v_mbcnt_lo_u32_b32 v10, -1, 0
	s_mov_b32 s1, exec_lo
	s_waitcnt lgkmcnt(0)
	s_barrier
	buffer_gl0_inv
	v_cmp_gt_u32_e64 s0, 16, v10
	s_delay_alu instid0(VALU_DEP_1) | instskip(SKIP_1) | instid1(VALU_DEP_2)
	v_cndmask_b32_e64 v3, 0, 1, s0
	v_cmp_gt_u32_e64 s0, 24, v10
	v_lshlrev_b32_e32 v3, 4, v3
	s_delay_alu instid0(VALU_DEP_1)
	v_add_lshl_u32 v6, v3, v10, 2
	ds_bpermute_b32 v3, v6, v1
	ds_bpermute_b32 v4, v6, v2
	s_waitcnt lgkmcnt(0)
	v_add_f64 v[1:2], v[1:2], v[3:4]
	v_cndmask_b32_e64 v3, 0, 1, s0
	v_cmp_gt_u32_e64 s0, 28, v10
	s_delay_alu instid0(VALU_DEP_2) | instskip(NEXT) | instid1(VALU_DEP_1)
	v_lshlrev_b32_e32 v3, 3, v3
	v_add_lshl_u32 v7, v3, v10, 2
	ds_bpermute_b32 v3, v7, v1
	ds_bpermute_b32 v4, v7, v2
	s_waitcnt lgkmcnt(0)
	v_add_f64 v[1:2], v[1:2], v[3:4]
	v_cndmask_b32_e64 v3, 0, 1, s0
	v_cmp_gt_u32_e64 s0, 30, v10
	s_delay_alu instid0(VALU_DEP_2) | instskip(NEXT) | instid1(VALU_DEP_1)
	v_lshlrev_b32_e32 v3, 2, v3
	v_add_lshl_u32 v8, v3, v10, 2
	ds_bpermute_b32 v3, v8, v1
	ds_bpermute_b32 v4, v8, v2
	s_waitcnt lgkmcnt(0)
	v_add_f64 v[1:2], v[1:2], v[3:4]
	v_cndmask_b32_e64 v3, 0, 1, s0
	v_cmp_ne_u32_e64 s0, 31, v10
	s_delay_alu instid0(VALU_DEP_2) | instskip(NEXT) | instid1(VALU_DEP_1)
	v_lshlrev_b32_e32 v3, 1, v3
	v_add_lshl_u32 v9, v3, v10, 2
	ds_bpermute_b32 v3, v9, v1
	ds_bpermute_b32 v4, v9, v2
	s_waitcnt lgkmcnt(0)
	v_add_f64 v[1:2], v[1:2], v[3:4]
	v_add_co_ci_u32_e64 v3, s0, 0, v10, s0
	s_delay_alu instid0(VALU_DEP_1)
	v_lshlrev_b32_e32 v10, 2, v3
	ds_bpermute_b32 v3, v10, v1
	ds_bpermute_b32 v4, v10, v2
	v_cmpx_eq_u32_e32 0, v11
	s_cbranch_execz .LBB425_8
; %bb.7:
	s_waitcnt lgkmcnt(0)
	v_add_f64 v[1:2], v[1:2], v[3:4]
	v_lshrrev_b32_e32 v3, 2, v0
	s_delay_alu instid0(VALU_DEP_1)
	v_and_b32_e32 v3, 0xf8, v3
	ds_store_b64 v3, v[1:2]
.LBB425_8:
	s_or_b32 exec_lo, exec_lo, s1
	v_mov_b32_e32 v1, 0
	v_mov_b32_e32 v2, 0
	s_waitcnt lgkmcnt(0)
	s_barrier
	buffer_gl0_inv
	s_and_saveexec_b32 s0, vcc_lo
	s_cbranch_execz .LBB425_10
; %bb.9:
	ds_load_b64 v[1:2], v5
.LBB425_10:
	s_or_b32 exec_lo, exec_lo, s0
	s_and_saveexec_b32 s0, vcc_lo
	s_cbranch_execz .LBB425_12
; %bb.11:
	s_waitcnt lgkmcnt(0)
	ds_bpermute_b32 v3, v6, v1
	ds_bpermute_b32 v4, v6, v2
	s_waitcnt lgkmcnt(0)
	v_add_f64 v[1:2], v[1:2], v[3:4]
	ds_bpermute_b32 v3, v7, v1
	ds_bpermute_b32 v4, v7, v2
	s_waitcnt lgkmcnt(0)
	v_add_f64 v[1:2], v[1:2], v[3:4]
	;; [unrolled: 4-line block ×5, first 2 shown]
.LBB425_12:
	s_or_b32 exec_lo, exec_lo, s0
	s_delay_alu instid0(SALU_CYCLE_1)
	s_mov_b32 s0, exec_lo
	v_cmpx_eq_u32_e32 0, v0
	s_cbranch_execz .LBB425_14
; %bb.13:
	s_lshl_b64 s[0:1], s[8:9], 3
	v_mov_b32_e32 v0, 0
	s_add_u32 s0, s2, s0
	s_addc_u32 s1, s3, s1
	s_waitcnt lgkmcnt(0)
	global_store_b64 v0, v[1:2], s[0:1]
.LBB425_14:
	s_nop 0
	s_sendmsg sendmsg(MSG_DEALLOC_VGPRS)
	s_endpgm
	.section	.rodata,"a",@progbits
	.p2align	6, 0x0
	.amdhsa_kernel _ZL26rocblas_dot_kernel_inc1by2ILb1ELi1024ELi32ELb0EdPKfdEviT4_llS2_lliPT5_PT3_
		.amdhsa_group_segment_fixed_size 256
		.amdhsa_private_segment_fixed_size 0
		.amdhsa_kernarg_size 80
		.amdhsa_user_sgpr_count 14
		.amdhsa_user_sgpr_dispatch_ptr 0
		.amdhsa_user_sgpr_queue_ptr 0
		.amdhsa_user_sgpr_kernarg_segment_ptr 1
		.amdhsa_user_sgpr_dispatch_id 0
		.amdhsa_user_sgpr_private_segment_size 0
		.amdhsa_wavefront_size32 1
		.amdhsa_uses_dynamic_stack 0
		.amdhsa_enable_private_segment 0
		.amdhsa_system_sgpr_workgroup_id_x 1
		.amdhsa_system_sgpr_workgroup_id_y 0
		.amdhsa_system_sgpr_workgroup_id_z 1
		.amdhsa_system_sgpr_workgroup_info 0
		.amdhsa_system_vgpr_workitem_id 0
		.amdhsa_next_free_vgpr 12
		.amdhsa_next_free_sgpr 19
		.amdhsa_reserve_vcc 1
		.amdhsa_float_round_mode_32 0
		.amdhsa_float_round_mode_16_64 0
		.amdhsa_float_denorm_mode_32 3
		.amdhsa_float_denorm_mode_16_64 3
		.amdhsa_dx10_clamp 1
		.amdhsa_ieee_mode 1
		.amdhsa_fp16_overflow 0
		.amdhsa_workgroup_processor_mode 1
		.amdhsa_memory_ordered 1
		.amdhsa_forward_progress 0
		.amdhsa_shared_vgpr_count 0
		.amdhsa_exception_fp_ieee_invalid_op 0
		.amdhsa_exception_fp_denorm_src 0
		.amdhsa_exception_fp_ieee_div_zero 0
		.amdhsa_exception_fp_ieee_overflow 0
		.amdhsa_exception_fp_ieee_underflow 0
		.amdhsa_exception_fp_ieee_inexact 0
		.amdhsa_exception_int_div_zero 0
	.end_amdhsa_kernel
	.section	.text._ZL26rocblas_dot_kernel_inc1by2ILb1ELi1024ELi32ELb0EdPKfdEviT4_llS2_lliPT5_PT3_,"axG",@progbits,_ZL26rocblas_dot_kernel_inc1by2ILb1ELi1024ELi32ELb0EdPKfdEviT4_llS2_lliPT5_PT3_,comdat
.Lfunc_end425:
	.size	_ZL26rocblas_dot_kernel_inc1by2ILb1ELi1024ELi32ELb0EdPKfdEviT4_llS2_lliPT5_PT3_, .Lfunc_end425-_ZL26rocblas_dot_kernel_inc1by2ILb1ELi1024ELi32ELb0EdPKfdEviT4_llS2_lliPT5_PT3_
                                        ; -- End function
	.section	.AMDGPU.csdata,"",@progbits
; Kernel info:
; codeLenInByte = 1040
; NumSgprs: 21
; NumVgprs: 12
; ScratchSize: 0
; MemoryBound: 0
; FloatMode: 240
; IeeeMode: 1
; LDSByteSize: 256 bytes/workgroup (compile time only)
; SGPRBlocks: 2
; VGPRBlocks: 1
; NumSGPRsForWavesPerEU: 21
; NumVGPRsForWavesPerEU: 12
; Occupancy: 16
; WaveLimiterHint : 0
; COMPUTE_PGM_RSRC2:SCRATCH_EN: 0
; COMPUTE_PGM_RSRC2:USER_SGPR: 14
; COMPUTE_PGM_RSRC2:TRAP_HANDLER: 0
; COMPUTE_PGM_RSRC2:TGID_X_EN: 1
; COMPUTE_PGM_RSRC2:TGID_Y_EN: 0
; COMPUTE_PGM_RSRC2:TGID_Z_EN: 1
; COMPUTE_PGM_RSRC2:TIDIG_COMP_CNT: 0
	.section	.text._ZL18rocblas_dot_kernelIiLb1ELi1024ELi32ELb0EdPKfdEviT5_lT_lS2_lS3_liPT6_PT4_,"axG",@progbits,_ZL18rocblas_dot_kernelIiLb1ELi1024ELi32ELb0EdPKfdEviT5_lT_lS2_lS3_liPT6_PT4_,comdat
	.globl	_ZL18rocblas_dot_kernelIiLb1ELi1024ELi32ELb0EdPKfdEviT5_lT_lS2_lS3_liPT6_PT4_ ; -- Begin function _ZL18rocblas_dot_kernelIiLb1ELi1024ELi32ELb0EdPKfdEviT5_lT_lS2_lS3_liPT6_PT4_
	.p2align	8
	.type	_ZL18rocblas_dot_kernelIiLb1ELi1024ELi32ELb0EdPKfdEviT5_lT_lS2_lS3_liPT6_PT4_,@function
_ZL18rocblas_dot_kernelIiLb1ELi1024ELi32ELb0EdPKfdEviT5_lT_lS2_lS3_liPT6_PT4_: ; @_ZL18rocblas_dot_kernelIiLb1ELi1024ELi32ELb0EdPKfdEviT5_lT_lS2_lS3_liPT6_PT4_
; %bb.0:
	s_clause 0x1
	s_load_b32 s10, s[0:1], 0x0
	s_load_b64 s[2:3], s[0:1], 0x58
	v_mov_b32_e32 v1, 0
	v_mov_b32_e32 v2, 0
	s_mov_b32 s8, s15
	s_mov_b32 s9, 0
	s_mov_b32 s11, exec_lo
	s_waitcnt lgkmcnt(0)
	v_cmpx_gt_i32_e64 s10, v0
	s_cbranch_execz .LBB426_4
; %bb.1:
	s_clause 0x6
	s_load_b32 s20, s[0:1], 0x60
	s_load_b128 s[4:7], s[0:1], 0x20
	s_load_b32 s22, s[0:1], 0x18
	s_load_b128 s[12:15], s[0:1], 0x8
	s_load_b64 s[16:17], s[0:1], 0x40
	s_load_b32 s23, s[0:1], 0x38
	s_load_b64 s[18:19], s[0:1], 0x30
	s_waitcnt lgkmcnt(0)
	s_lshl_b32 s1, s20, 10
	s_mul_i32 s0, s5, s8
	v_mad_i64_i32 v[1:2], null, s22, v0, 0
	s_mul_hi_u32 s5, s4, s8
	s_mul_i32 s4, s4, s8
	v_mad_i64_i32 v[5:6], null, s23, v0, 0
	s_add_i32 s5, s5, s0
	s_lshl_b64 s[14:15], s[14:15], 2
	s_delay_alu instid0(VALU_DEP_2)
	v_lshlrev_b64 v[1:2], 2, v[1:2]
	s_lshl_b64 s[4:5], s[4:5], 2
	s_add_u32 s0, s12, s14
	s_addc_u32 s12, s13, s15
	s_mul_i32 s17, s17, s8
	s_mul_hi_u32 s24, s16, s8
	s_add_u32 s0, s0, s4
	s_mul_i32 s16, s16, s8
	s_mul_hi_i32 s21, s22, s1
	s_mul_i32 s20, s22, s1
	s_addc_u32 s12, s12, s5
	s_add_i32 s17, s24, s17
	v_add_co_u32 v3, vcc_lo, s0, v1
	s_lshl_b64 s[14:15], s[18:19], 2
	v_lshlrev_b64 v[5:6], 2, v[5:6]
	s_lshl_b64 s[4:5], s[20:21], 2
	v_add_co_ci_u32_e32 v4, vcc_lo, s12, v2, vcc_lo
	s_lshl_b64 s[12:13], s[16:17], 2
	s_add_u32 s0, s6, s14
	s_addc_u32 s6, s7, s15
	s_add_u32 s0, s0, s12
	s_addc_u32 s12, s6, s13
	v_add_co_u32 v5, vcc_lo, s0, v5
	v_mov_b32_e32 v1, 0
	v_or_b32_e32 v7, s1, v0
	v_mov_b32_e32 v2, 0
	v_add_co_ci_u32_e32 v6, vcc_lo, s12, v6, vcc_lo
	s_mul_hi_i32 s7, s23, s1
	s_mul_i32 s6, s23, s1
	s_mov_b32 s12, s9
	s_lshl_b64 s[6:7], s[6:7], 2
	s_mov_b32 s13, s9
	.p2align	6
.LBB426_2:                              ; =>This Inner Loop Header: Depth=1
	global_load_b32 v8, v[5:6], off
	global_load_b32 v10, v[3:4], off
	s_add_i32 s14, s13, 1
	v_cmp_le_i32_e32 vcc_lo, s10, v7
	v_add_co_u32 v3, s0, v3, s4
	s_cmp_gt_u32 s13, 30
	v_add_co_ci_u32_e64 v4, s0, s5, v4, s0
	s_cselect_b32 s13, -1, 0
	v_add_co_u32 v5, s0, v5, s6
	s_or_b32 s13, s13, vcc_lo
	v_add_nc_u32_e32 v7, s1, v7
	v_add_co_ci_u32_e64 v6, vcc_lo, s7, v6, s0
	s_and_b32 s0, exec_lo, s13
	s_mov_b32 s13, s14
	s_or_b32 s12, s0, s12
	s_waitcnt vmcnt(1)
	v_cvt_f64_f32_e32 v[8:9], v8
	s_waitcnt vmcnt(0)
	v_cvt_f64_f32_e32 v[10:11], v10
	s_delay_alu instid0(VALU_DEP_1)
	v_fma_f64 v[1:2], v[8:9], v[10:11], v[1:2]
	s_and_not1_b32 exec_lo, exec_lo, s12
	s_cbranch_execnz .LBB426_2
; %bb.3:
	s_or_b32 exec_lo, exec_lo, s12
.LBB426_4:
	s_delay_alu instid0(SALU_CYCLE_1) | instskip(SKIP_2) | instid1(VALU_DEP_2)
	s_or_b32 exec_lo, exec_lo, s11
	v_and_b32_e32 v11, 31, v0
	v_cmp_gt_u32_e32 vcc_lo, 32, v0
	v_lshlrev_b32_e32 v5, 3, v11
	s_and_saveexec_b32 s0, vcc_lo
	s_cbranch_execz .LBB426_6
; %bb.5:
	v_mov_b32_e32 v3, 0
	s_delay_alu instid0(VALU_DEP_1)
	v_mov_b32_e32 v4, v3
	ds_store_b64 v5, v[3:4]
.LBB426_6:
	s_or_b32 exec_lo, exec_lo, s0
	v_mbcnt_lo_u32_b32 v10, -1, 0
	s_mov_b32 s1, exec_lo
	s_waitcnt lgkmcnt(0)
	s_barrier
	buffer_gl0_inv
	v_cmp_gt_u32_e64 s0, 16, v10
	s_delay_alu instid0(VALU_DEP_1) | instskip(SKIP_1) | instid1(VALU_DEP_2)
	v_cndmask_b32_e64 v3, 0, 1, s0
	v_cmp_gt_u32_e64 s0, 24, v10
	v_lshlrev_b32_e32 v3, 4, v3
	s_delay_alu instid0(VALU_DEP_1)
	v_add_lshl_u32 v6, v3, v10, 2
	ds_bpermute_b32 v3, v6, v1
	ds_bpermute_b32 v4, v6, v2
	s_waitcnt lgkmcnt(0)
	v_add_f64 v[1:2], v[1:2], v[3:4]
	v_cndmask_b32_e64 v3, 0, 1, s0
	v_cmp_gt_u32_e64 s0, 28, v10
	s_delay_alu instid0(VALU_DEP_2) | instskip(NEXT) | instid1(VALU_DEP_1)
	v_lshlrev_b32_e32 v3, 3, v3
	v_add_lshl_u32 v7, v3, v10, 2
	ds_bpermute_b32 v3, v7, v1
	ds_bpermute_b32 v4, v7, v2
	s_waitcnt lgkmcnt(0)
	v_add_f64 v[1:2], v[1:2], v[3:4]
	v_cndmask_b32_e64 v3, 0, 1, s0
	v_cmp_gt_u32_e64 s0, 30, v10
	s_delay_alu instid0(VALU_DEP_2) | instskip(NEXT) | instid1(VALU_DEP_1)
	v_lshlrev_b32_e32 v3, 2, v3
	v_add_lshl_u32 v8, v3, v10, 2
	ds_bpermute_b32 v3, v8, v1
	ds_bpermute_b32 v4, v8, v2
	s_waitcnt lgkmcnt(0)
	v_add_f64 v[1:2], v[1:2], v[3:4]
	v_cndmask_b32_e64 v3, 0, 1, s0
	v_cmp_ne_u32_e64 s0, 31, v10
	s_delay_alu instid0(VALU_DEP_2) | instskip(NEXT) | instid1(VALU_DEP_1)
	v_lshlrev_b32_e32 v3, 1, v3
	v_add_lshl_u32 v9, v3, v10, 2
	ds_bpermute_b32 v3, v9, v1
	ds_bpermute_b32 v4, v9, v2
	s_waitcnt lgkmcnt(0)
	v_add_f64 v[1:2], v[1:2], v[3:4]
	v_add_co_ci_u32_e64 v3, s0, 0, v10, s0
	s_delay_alu instid0(VALU_DEP_1)
	v_lshlrev_b32_e32 v10, 2, v3
	ds_bpermute_b32 v3, v10, v1
	ds_bpermute_b32 v4, v10, v2
	v_cmpx_eq_u32_e32 0, v11
	s_cbranch_execz .LBB426_8
; %bb.7:
	s_waitcnt lgkmcnt(0)
	v_add_f64 v[1:2], v[1:2], v[3:4]
	v_lshrrev_b32_e32 v3, 2, v0
	s_delay_alu instid0(VALU_DEP_1)
	v_and_b32_e32 v3, 0xf8, v3
	ds_store_b64 v3, v[1:2]
.LBB426_8:
	s_or_b32 exec_lo, exec_lo, s1
	v_mov_b32_e32 v1, 0
	v_mov_b32_e32 v2, 0
	s_waitcnt lgkmcnt(0)
	s_barrier
	buffer_gl0_inv
	s_and_saveexec_b32 s0, vcc_lo
	s_cbranch_execz .LBB426_10
; %bb.9:
	ds_load_b64 v[1:2], v5
.LBB426_10:
	s_or_b32 exec_lo, exec_lo, s0
	s_and_saveexec_b32 s0, vcc_lo
	s_cbranch_execz .LBB426_12
; %bb.11:
	s_waitcnt lgkmcnt(0)
	ds_bpermute_b32 v3, v6, v1
	ds_bpermute_b32 v4, v6, v2
	s_waitcnt lgkmcnt(0)
	v_add_f64 v[1:2], v[1:2], v[3:4]
	ds_bpermute_b32 v3, v7, v1
	ds_bpermute_b32 v4, v7, v2
	s_waitcnt lgkmcnt(0)
	v_add_f64 v[1:2], v[1:2], v[3:4]
	ds_bpermute_b32 v3, v8, v1
	ds_bpermute_b32 v4, v8, v2
	s_waitcnt lgkmcnt(0)
	v_add_f64 v[1:2], v[1:2], v[3:4]
	ds_bpermute_b32 v3, v9, v1
	ds_bpermute_b32 v4, v9, v2
	s_waitcnt lgkmcnt(0)
	v_add_f64 v[1:2], v[1:2], v[3:4]
	ds_bpermute_b32 v3, v10, v1
	ds_bpermute_b32 v4, v10, v2
	s_waitcnt lgkmcnt(0)
	v_add_f64 v[1:2], v[1:2], v[3:4]
.LBB426_12:
	s_or_b32 exec_lo, exec_lo, s0
	s_delay_alu instid0(SALU_CYCLE_1)
	s_mov_b32 s0, exec_lo
	v_cmpx_eq_u32_e32 0, v0
	s_cbranch_execz .LBB426_14
; %bb.13:
	s_lshl_b64 s[0:1], s[8:9], 3
	v_mov_b32_e32 v0, 0
	s_add_u32 s0, s2, s0
	s_addc_u32 s1, s3, s1
	s_waitcnt lgkmcnt(0)
	global_store_b64 v0, v[1:2], s[0:1]
.LBB426_14:
	s_nop 0
	s_sendmsg sendmsg(MSG_DEALLOC_VGPRS)
	s_endpgm
	.section	.rodata,"a",@progbits
	.p2align	6, 0x0
	.amdhsa_kernel _ZL18rocblas_dot_kernelIiLb1ELi1024ELi32ELb0EdPKfdEviT5_lT_lS2_lS3_liPT6_PT4_
		.amdhsa_group_segment_fixed_size 256
		.amdhsa_private_segment_fixed_size 0
		.amdhsa_kernarg_size 352
		.amdhsa_user_sgpr_count 14
		.amdhsa_user_sgpr_dispatch_ptr 0
		.amdhsa_user_sgpr_queue_ptr 0
		.amdhsa_user_sgpr_kernarg_segment_ptr 1
		.amdhsa_user_sgpr_dispatch_id 0
		.amdhsa_user_sgpr_private_segment_size 0
		.amdhsa_wavefront_size32 1
		.amdhsa_uses_dynamic_stack 0
		.amdhsa_enable_private_segment 0
		.amdhsa_system_sgpr_workgroup_id_x 1
		.amdhsa_system_sgpr_workgroup_id_y 0
		.amdhsa_system_sgpr_workgroup_id_z 1
		.amdhsa_system_sgpr_workgroup_info 0
		.amdhsa_system_vgpr_workitem_id 0
		.amdhsa_next_free_vgpr 12
		.amdhsa_next_free_sgpr 25
		.amdhsa_reserve_vcc 1
		.amdhsa_float_round_mode_32 0
		.amdhsa_float_round_mode_16_64 0
		.amdhsa_float_denorm_mode_32 3
		.amdhsa_float_denorm_mode_16_64 3
		.amdhsa_dx10_clamp 1
		.amdhsa_ieee_mode 1
		.amdhsa_fp16_overflow 0
		.amdhsa_workgroup_processor_mode 1
		.amdhsa_memory_ordered 1
		.amdhsa_forward_progress 0
		.amdhsa_shared_vgpr_count 0
		.amdhsa_exception_fp_ieee_invalid_op 0
		.amdhsa_exception_fp_denorm_src 0
		.amdhsa_exception_fp_ieee_div_zero 0
		.amdhsa_exception_fp_ieee_overflow 0
		.amdhsa_exception_fp_ieee_underflow 0
		.amdhsa_exception_fp_ieee_inexact 0
		.amdhsa_exception_int_div_zero 0
	.end_amdhsa_kernel
	.section	.text._ZL18rocblas_dot_kernelIiLb1ELi1024ELi32ELb0EdPKfdEviT5_lT_lS2_lS3_liPT6_PT4_,"axG",@progbits,_ZL18rocblas_dot_kernelIiLb1ELi1024ELi32ELb0EdPKfdEviT5_lT_lS2_lS3_liPT6_PT4_,comdat
.Lfunc_end426:
	.size	_ZL18rocblas_dot_kernelIiLb1ELi1024ELi32ELb0EdPKfdEviT5_lT_lS2_lS3_liPT6_PT4_, .Lfunc_end426-_ZL18rocblas_dot_kernelIiLb1ELi1024ELi32ELb0EdPKfdEviT5_lT_lS2_lS3_liPT6_PT4_
                                        ; -- End function
	.section	.AMDGPU.csdata,"",@progbits
; Kernel info:
; codeLenInByte = 1100
; NumSgprs: 27
; NumVgprs: 12
; ScratchSize: 0
; MemoryBound: 0
; FloatMode: 240
; IeeeMode: 1
; LDSByteSize: 256 bytes/workgroup (compile time only)
; SGPRBlocks: 3
; VGPRBlocks: 1
; NumSGPRsForWavesPerEU: 27
; NumVGPRsForWavesPerEU: 12
; Occupancy: 16
; WaveLimiterHint : 0
; COMPUTE_PGM_RSRC2:SCRATCH_EN: 0
; COMPUTE_PGM_RSRC2:USER_SGPR: 14
; COMPUTE_PGM_RSRC2:TRAP_HANDLER: 0
; COMPUTE_PGM_RSRC2:TGID_X_EN: 1
; COMPUTE_PGM_RSRC2:TGID_Y_EN: 0
; COMPUTE_PGM_RSRC2:TGID_Z_EN: 1
; COMPUTE_PGM_RSRC2:TIDIG_COMP_CNT: 0
	.section	.text._ZL24rocblas_dot_kernel_magsqIiLb1ELi1024ELi32ELb0EdPKfdEviT5_lT_liPT6_PT4_,"axG",@progbits,_ZL24rocblas_dot_kernel_magsqIiLb1ELi1024ELi32ELb0EdPKfdEviT5_lT_liPT6_PT4_,comdat
	.globl	_ZL24rocblas_dot_kernel_magsqIiLb1ELi1024ELi32ELb0EdPKfdEviT5_lT_liPT6_PT4_ ; -- Begin function _ZL24rocblas_dot_kernel_magsqIiLb1ELi1024ELi32ELb0EdPKfdEviT5_lT_liPT6_PT4_
	.p2align	8
	.type	_ZL24rocblas_dot_kernel_magsqIiLb1ELi1024ELi32ELb0EdPKfdEviT5_lT_liPT6_PT4_,@function
_ZL24rocblas_dot_kernel_magsqIiLb1ELi1024ELi32ELb0EdPKfdEviT5_lT_liPT6_PT4_: ; @_ZL24rocblas_dot_kernel_magsqIiLb1ELi1024ELi32ELb0EdPKfdEviT5_lT_liPT6_PT4_
; %bb.0:
	s_clause 0x1
	s_load_b32 s8, s[0:1], 0x0
	s_load_b64 s[2:3], s[0:1], 0x38
	v_mov_b32_e32 v1, 0
	v_mov_b32_e32 v2, 0
	s_mov_b32 s4, s15
	s_mov_b32 s5, 0
	s_mov_b32 s9, exec_lo
	s_waitcnt lgkmcnt(0)
	v_cmpx_gt_i32_e64 s8, v0
	s_cbranch_execz .LBB427_4
; %bb.1:
	s_clause 0x3
	s_load_b32 s10, s[0:1], 0x40
	s_load_b64 s[6:7], s[0:1], 0x20
	s_load_b32 s16, s[0:1], 0x18
	s_load_b128 s[12:15], s[0:1], 0x8
	v_mov_b32_e32 v1, 0
	v_mov_b32_e32 v2, 0
	s_waitcnt lgkmcnt(0)
	s_lshl_b32 s1, s10, 10
	s_mul_i32 s0, s7, s4
	v_mad_i64_i32 v[3:4], null, s16, v0, 0
	s_mul_hi_u32 s7, s6, s4
	s_mul_i32 s6, s6, s4
	s_add_i32 s7, s7, s0
	s_lshl_b64 s[10:11], s[14:15], 2
	s_lshl_b64 s[6:7], s[6:7], 2
	s_add_u32 s0, s12, s10
	s_delay_alu instid0(VALU_DEP_1)
	v_lshlrev_b64 v[3:4], 2, v[3:4]
	s_addc_u32 s10, s13, s11
	s_add_u32 s0, s0, s6
	s_addc_u32 s6, s10, s7
	v_or_b32_e32 v5, s1, v0
	s_mul_hi_i32 s15, s16, s1
	v_add_co_u32 v3, vcc_lo, s0, v3
	v_add_co_ci_u32_e32 v4, vcc_lo, s6, v4, vcc_lo
	s_mul_i32 s14, s16, s1
	s_mov_b32 s10, s5
	s_lshl_b64 s[6:7], s[14:15], 2
	s_mov_b32 s11, s5
	.p2align	6
.LBB427_2:                              ; =>This Inner Loop Header: Depth=1
	global_load_b32 v6, v[3:4], off
	s_add_i32 s12, s11, 1
	v_cmp_le_i32_e32 vcc_lo, s8, v5
	s_cmp_gt_u32 s11, 30
	v_add_co_u32 v3, s0, v3, s6
	s_cselect_b32 s11, -1, 0
	v_add_nc_u32_e32 v5, s1, v5
	s_or_b32 s11, s11, vcc_lo
	v_add_co_ci_u32_e64 v4, vcc_lo, s7, v4, s0
	s_and_b32 s0, exec_lo, s11
	s_mov_b32 s11, s12
	s_or_b32 s10, s0, s10
	s_waitcnt vmcnt(0)
	v_cvt_f64_f32_e32 v[6:7], v6
	s_delay_alu instid0(VALU_DEP_1)
	v_fma_f64 v[1:2], v[6:7], v[6:7], v[1:2]
	s_and_not1_b32 exec_lo, exec_lo, s10
	s_cbranch_execnz .LBB427_2
; %bb.3:
	s_or_b32 exec_lo, exec_lo, s10
.LBB427_4:
	s_delay_alu instid0(SALU_CYCLE_1) | instskip(SKIP_2) | instid1(VALU_DEP_2)
	s_or_b32 exec_lo, exec_lo, s9
	v_and_b32_e32 v11, 31, v0
	v_cmp_gt_u32_e32 vcc_lo, 32, v0
	v_lshlrev_b32_e32 v5, 3, v11
	s_and_saveexec_b32 s0, vcc_lo
	s_cbranch_execz .LBB427_6
; %bb.5:
	v_mov_b32_e32 v3, 0
	s_delay_alu instid0(VALU_DEP_1)
	v_mov_b32_e32 v4, v3
	ds_store_b64 v5, v[3:4]
.LBB427_6:
	s_or_b32 exec_lo, exec_lo, s0
	v_mbcnt_lo_u32_b32 v10, -1, 0
	s_mov_b32 s1, exec_lo
	s_waitcnt lgkmcnt(0)
	s_barrier
	buffer_gl0_inv
	v_cmp_gt_u32_e64 s0, 16, v10
	s_delay_alu instid0(VALU_DEP_1) | instskip(SKIP_1) | instid1(VALU_DEP_2)
	v_cndmask_b32_e64 v3, 0, 1, s0
	v_cmp_gt_u32_e64 s0, 24, v10
	v_lshlrev_b32_e32 v3, 4, v3
	s_delay_alu instid0(VALU_DEP_1)
	v_add_lshl_u32 v6, v3, v10, 2
	ds_bpermute_b32 v3, v6, v1
	ds_bpermute_b32 v4, v6, v2
	s_waitcnt lgkmcnt(0)
	v_add_f64 v[1:2], v[1:2], v[3:4]
	v_cndmask_b32_e64 v3, 0, 1, s0
	v_cmp_gt_u32_e64 s0, 28, v10
	s_delay_alu instid0(VALU_DEP_2) | instskip(NEXT) | instid1(VALU_DEP_1)
	v_lshlrev_b32_e32 v3, 3, v3
	v_add_lshl_u32 v7, v3, v10, 2
	ds_bpermute_b32 v3, v7, v1
	ds_bpermute_b32 v4, v7, v2
	s_waitcnt lgkmcnt(0)
	v_add_f64 v[1:2], v[1:2], v[3:4]
	v_cndmask_b32_e64 v3, 0, 1, s0
	v_cmp_gt_u32_e64 s0, 30, v10
	s_delay_alu instid0(VALU_DEP_2) | instskip(NEXT) | instid1(VALU_DEP_1)
	v_lshlrev_b32_e32 v3, 2, v3
	v_add_lshl_u32 v8, v3, v10, 2
	ds_bpermute_b32 v3, v8, v1
	ds_bpermute_b32 v4, v8, v2
	s_waitcnt lgkmcnt(0)
	v_add_f64 v[1:2], v[1:2], v[3:4]
	v_cndmask_b32_e64 v3, 0, 1, s0
	v_cmp_ne_u32_e64 s0, 31, v10
	s_delay_alu instid0(VALU_DEP_2) | instskip(NEXT) | instid1(VALU_DEP_1)
	v_lshlrev_b32_e32 v3, 1, v3
	v_add_lshl_u32 v9, v3, v10, 2
	ds_bpermute_b32 v3, v9, v1
	ds_bpermute_b32 v4, v9, v2
	s_waitcnt lgkmcnt(0)
	v_add_f64 v[1:2], v[1:2], v[3:4]
	v_add_co_ci_u32_e64 v3, s0, 0, v10, s0
	s_delay_alu instid0(VALU_DEP_1)
	v_lshlrev_b32_e32 v10, 2, v3
	ds_bpermute_b32 v3, v10, v1
	ds_bpermute_b32 v4, v10, v2
	v_cmpx_eq_u32_e32 0, v11
	s_cbranch_execz .LBB427_8
; %bb.7:
	s_waitcnt lgkmcnt(0)
	v_add_f64 v[1:2], v[1:2], v[3:4]
	v_lshrrev_b32_e32 v3, 2, v0
	s_delay_alu instid0(VALU_DEP_1)
	v_and_b32_e32 v3, 0xf8, v3
	ds_store_b64 v3, v[1:2]
.LBB427_8:
	s_or_b32 exec_lo, exec_lo, s1
	v_mov_b32_e32 v1, 0
	v_mov_b32_e32 v2, 0
	s_waitcnt lgkmcnt(0)
	s_barrier
	buffer_gl0_inv
	s_and_saveexec_b32 s0, vcc_lo
	s_cbranch_execz .LBB427_10
; %bb.9:
	ds_load_b64 v[1:2], v5
.LBB427_10:
	s_or_b32 exec_lo, exec_lo, s0
	s_and_saveexec_b32 s0, vcc_lo
	s_cbranch_execz .LBB427_12
; %bb.11:
	s_waitcnt lgkmcnt(0)
	ds_bpermute_b32 v3, v6, v1
	ds_bpermute_b32 v4, v6, v2
	s_waitcnt lgkmcnt(0)
	v_add_f64 v[1:2], v[1:2], v[3:4]
	ds_bpermute_b32 v3, v7, v1
	ds_bpermute_b32 v4, v7, v2
	s_waitcnt lgkmcnt(0)
	v_add_f64 v[1:2], v[1:2], v[3:4]
	;; [unrolled: 4-line block ×5, first 2 shown]
.LBB427_12:
	s_or_b32 exec_lo, exec_lo, s0
	s_delay_alu instid0(SALU_CYCLE_1)
	s_mov_b32 s0, exec_lo
	v_cmpx_eq_u32_e32 0, v0
	s_cbranch_execz .LBB427_14
; %bb.13:
	s_lshl_b64 s[0:1], s[4:5], 3
	v_mov_b32_e32 v0, 0
	s_add_u32 s0, s2, s0
	s_addc_u32 s1, s3, s1
	s_waitcnt lgkmcnt(0)
	global_store_b64 v0, v[1:2], s[0:1]
.LBB427_14:
	s_nop 0
	s_sendmsg sendmsg(MSG_DEALLOC_VGPRS)
	s_endpgm
	.section	.rodata,"a",@progbits
	.p2align	6, 0x0
	.amdhsa_kernel _ZL24rocblas_dot_kernel_magsqIiLb1ELi1024ELi32ELb0EdPKfdEviT5_lT_liPT6_PT4_
		.amdhsa_group_segment_fixed_size 256
		.amdhsa_private_segment_fixed_size 0
		.amdhsa_kernarg_size 320
		.amdhsa_user_sgpr_count 14
		.amdhsa_user_sgpr_dispatch_ptr 0
		.amdhsa_user_sgpr_queue_ptr 0
		.amdhsa_user_sgpr_kernarg_segment_ptr 1
		.amdhsa_user_sgpr_dispatch_id 0
		.amdhsa_user_sgpr_private_segment_size 0
		.amdhsa_wavefront_size32 1
		.amdhsa_uses_dynamic_stack 0
		.amdhsa_enable_private_segment 0
		.amdhsa_system_sgpr_workgroup_id_x 1
		.amdhsa_system_sgpr_workgroup_id_y 0
		.amdhsa_system_sgpr_workgroup_id_z 1
		.amdhsa_system_sgpr_workgroup_info 0
		.amdhsa_system_vgpr_workitem_id 0
		.amdhsa_next_free_vgpr 12
		.amdhsa_next_free_sgpr 17
		.amdhsa_reserve_vcc 1
		.amdhsa_float_round_mode_32 0
		.amdhsa_float_round_mode_16_64 0
		.amdhsa_float_denorm_mode_32 3
		.amdhsa_float_denorm_mode_16_64 3
		.amdhsa_dx10_clamp 1
		.amdhsa_ieee_mode 1
		.amdhsa_fp16_overflow 0
		.amdhsa_workgroup_processor_mode 1
		.amdhsa_memory_ordered 1
		.amdhsa_forward_progress 0
		.amdhsa_shared_vgpr_count 0
		.amdhsa_exception_fp_ieee_invalid_op 0
		.amdhsa_exception_fp_denorm_src 0
		.amdhsa_exception_fp_ieee_div_zero 0
		.amdhsa_exception_fp_ieee_overflow 0
		.amdhsa_exception_fp_ieee_underflow 0
		.amdhsa_exception_fp_ieee_inexact 0
		.amdhsa_exception_int_div_zero 0
	.end_amdhsa_kernel
	.section	.text._ZL24rocblas_dot_kernel_magsqIiLb1ELi1024ELi32ELb0EdPKfdEviT5_lT_liPT6_PT4_,"axG",@progbits,_ZL24rocblas_dot_kernel_magsqIiLb1ELi1024ELi32ELb0EdPKfdEviT5_lT_liPT6_PT4_,comdat
.Lfunc_end427:
	.size	_ZL24rocblas_dot_kernel_magsqIiLb1ELi1024ELi32ELb0EdPKfdEviT5_lT_liPT6_PT4_, .Lfunc_end427-_ZL24rocblas_dot_kernel_magsqIiLb1ELi1024ELi32ELb0EdPKfdEviT5_lT_liPT6_PT4_
                                        ; -- End function
	.section	.AMDGPU.csdata,"",@progbits
; Kernel info:
; codeLenInByte = 964
; NumSgprs: 19
; NumVgprs: 12
; ScratchSize: 0
; MemoryBound: 0
; FloatMode: 240
; IeeeMode: 1
; LDSByteSize: 256 bytes/workgroup (compile time only)
; SGPRBlocks: 2
; VGPRBlocks: 1
; NumSGPRsForWavesPerEU: 19
; NumVGPRsForWavesPerEU: 12
; Occupancy: 16
; WaveLimiterHint : 0
; COMPUTE_PGM_RSRC2:SCRATCH_EN: 0
; COMPUTE_PGM_RSRC2:USER_SGPR: 14
; COMPUTE_PGM_RSRC2:TRAP_HANDLER: 0
; COMPUTE_PGM_RSRC2:TGID_X_EN: 1
; COMPUTE_PGM_RSRC2:TGID_Y_EN: 0
; COMPUTE_PGM_RSRC2:TGID_Z_EN: 1
; COMPUTE_PGM_RSRC2:TIDIG_COMP_CNT: 0
	.section	.text._ZL38rocblas_dot_kernel_gfx942_float_doubleIiLi1024EdPKfdEviT2_lT_lS2_lS3_lPT3_PT1_,"axG",@progbits,_ZL38rocblas_dot_kernel_gfx942_float_doubleIiLi1024EdPKfdEviT2_lT_lS2_lS3_lPT3_PT1_,comdat
	.globl	_ZL38rocblas_dot_kernel_gfx942_float_doubleIiLi1024EdPKfdEviT2_lT_lS2_lS3_lPT3_PT1_ ; -- Begin function _ZL38rocblas_dot_kernel_gfx942_float_doubleIiLi1024EdPKfdEviT2_lT_lS2_lS3_lPT3_PT1_
	.p2align	8
	.type	_ZL38rocblas_dot_kernel_gfx942_float_doubleIiLi1024EdPKfdEviT2_lT_lS2_lS3_lPT3_PT1_,@function
_ZL38rocblas_dot_kernel_gfx942_float_doubleIiLi1024EdPKfdEviT2_lT_lS2_lS3_lPT3_PT1_: ; @_ZL38rocblas_dot_kernel_gfx942_float_doubleIiLi1024EdPKfdEviT2_lT_lS2_lS3_lPT3_PT1_
; %bb.0:
	s_endpgm
	.section	.rodata,"a",@progbits
	.p2align	6, 0x0
	.amdhsa_kernel _ZL38rocblas_dot_kernel_gfx942_float_doubleIiLi1024EdPKfdEviT2_lT_lS2_lS3_lPT3_PT1_
		.amdhsa_group_segment_fixed_size 0
		.amdhsa_private_segment_fixed_size 0
		.amdhsa_kernarg_size 88
		.amdhsa_user_sgpr_count 15
		.amdhsa_user_sgpr_dispatch_ptr 0
		.amdhsa_user_sgpr_queue_ptr 0
		.amdhsa_user_sgpr_kernarg_segment_ptr 1
		.amdhsa_user_sgpr_dispatch_id 0
		.amdhsa_user_sgpr_private_segment_size 0
		.amdhsa_wavefront_size32 1
		.amdhsa_uses_dynamic_stack 0
		.amdhsa_enable_private_segment 0
		.amdhsa_system_sgpr_workgroup_id_x 1
		.amdhsa_system_sgpr_workgroup_id_y 0
		.amdhsa_system_sgpr_workgroup_id_z 0
		.amdhsa_system_sgpr_workgroup_info 0
		.amdhsa_system_vgpr_workitem_id 0
		.amdhsa_next_free_vgpr 1
		.amdhsa_next_free_sgpr 1
		.amdhsa_reserve_vcc 0
		.amdhsa_float_round_mode_32 0
		.amdhsa_float_round_mode_16_64 0
		.amdhsa_float_denorm_mode_32 3
		.amdhsa_float_denorm_mode_16_64 3
		.amdhsa_dx10_clamp 1
		.amdhsa_ieee_mode 1
		.amdhsa_fp16_overflow 0
		.amdhsa_workgroup_processor_mode 1
		.amdhsa_memory_ordered 1
		.amdhsa_forward_progress 0
		.amdhsa_shared_vgpr_count 0
		.amdhsa_exception_fp_ieee_invalid_op 0
		.amdhsa_exception_fp_denorm_src 0
		.amdhsa_exception_fp_ieee_div_zero 0
		.amdhsa_exception_fp_ieee_overflow 0
		.amdhsa_exception_fp_ieee_underflow 0
		.amdhsa_exception_fp_ieee_inexact 0
		.amdhsa_exception_int_div_zero 0
	.end_amdhsa_kernel
	.section	.text._ZL38rocblas_dot_kernel_gfx942_float_doubleIiLi1024EdPKfdEviT2_lT_lS2_lS3_lPT3_PT1_,"axG",@progbits,_ZL38rocblas_dot_kernel_gfx942_float_doubleIiLi1024EdPKfdEviT2_lT_lS2_lS3_lPT3_PT1_,comdat
.Lfunc_end428:
	.size	_ZL38rocblas_dot_kernel_gfx942_float_doubleIiLi1024EdPKfdEviT2_lT_lS2_lS3_lPT3_PT1_, .Lfunc_end428-_ZL38rocblas_dot_kernel_gfx942_float_doubleIiLi1024EdPKfdEviT2_lT_lS2_lS3_lPT3_PT1_
                                        ; -- End function
	.section	.AMDGPU.csdata,"",@progbits
; Kernel info:
; codeLenInByte = 4
; NumSgprs: 0
; NumVgprs: 0
; ScratchSize: 0
; MemoryBound: 0
; FloatMode: 240
; IeeeMode: 1
; LDSByteSize: 0 bytes/workgroup (compile time only)
; SGPRBlocks: 0
; VGPRBlocks: 0
; NumSGPRsForWavesPerEU: 1
; NumVGPRsForWavesPerEU: 1
; Occupancy: 16
; WaveLimiterHint : 0
; COMPUTE_PGM_RSRC2:SCRATCH_EN: 0
; COMPUTE_PGM_RSRC2:USER_SGPR: 15
; COMPUTE_PGM_RSRC2:TRAP_HANDLER: 0
; COMPUTE_PGM_RSRC2:TGID_X_EN: 1
; COMPUTE_PGM_RSRC2:TGID_Y_EN: 0
; COMPUTE_PGM_RSRC2:TGID_Z_EN: 0
; COMPUTE_PGM_RSRC2:TIDIG_COMP_CNT: 0
	.section	.text._ZL23rocblas_dot_kernel_inc1ILb0ELi512ELi2ELb0EdPKfdEviT4_llS2_lliPT5_PT3_,"axG",@progbits,_ZL23rocblas_dot_kernel_inc1ILb0ELi512ELi2ELb0EdPKfdEviT4_llS2_lliPT5_PT3_,comdat
	.globl	_ZL23rocblas_dot_kernel_inc1ILb0ELi512ELi2ELb0EdPKfdEviT4_llS2_lliPT5_PT3_ ; -- Begin function _ZL23rocblas_dot_kernel_inc1ILb0ELi512ELi2ELb0EdPKfdEviT4_llS2_lliPT5_PT3_
	.p2align	8
	.type	_ZL23rocblas_dot_kernel_inc1ILb0ELi512ELi2ELb0EdPKfdEviT4_llS2_lliPT5_PT3_,@function
_ZL23rocblas_dot_kernel_inc1ILb0ELi512ELi2ELb0EdPKfdEviT4_llS2_lliPT5_PT3_: ; @_ZL23rocblas_dot_kernel_inc1ILb0ELi512ELi2ELb0EdPKfdEviT4_llS2_lliPT5_PT3_
; %bb.0:
	s_clause 0x1
	s_load_b32 s10, s[0:1], 0x0
	s_load_b32 s3, s[0:1], 0x50
	v_mov_b32_e32 v1, 0
	v_lshl_or_b32 v3, s14, 9, v0
	v_mov_b32_e32 v2, 0
	s_mov_b32 s8, s15
	s_mov_b32 s9, 0
	s_mov_b32 s2, exec_lo
	s_waitcnt lgkmcnt(0)
	v_cmpx_gt_i32_e64 s10, v3
	s_cbranch_execz .LBB429_4
; %bb.1:
	s_clause 0x3
	s_load_b128 s[16:19], s[0:1], 0x10
	s_load_b128 s[4:7], s[0:1], 0x28
	s_load_b64 s[12:13], s[0:1], 0x8
	s_load_b64 s[20:21], s[0:1], 0x20
	v_ashrrev_i32_e32 v4, 31, v3
	s_delay_alu instid0(VALU_DEP_1)
	v_lshlrev_b64 v[1:2], 2, v[3:4]
	s_waitcnt lgkmcnt(0)
	s_mul_i32 s11, s8, s19
	s_mul_hi_u32 s15, s8, s18
	s_mul_i32 s18, s8, s18
	s_add_i32 s19, s15, s11
	s_mul_i32 s11, s8, s7
	s_lshl_b64 s[18:19], s[18:19], 2
	s_mul_hi_u32 s15, s8, s6
	s_add_u32 s7, s12, s18
	s_addc_u32 s18, s13, s19
	s_lshl_b64 s[12:13], s[16:17], 2
	s_mul_i32 s16, s8, s6
	s_add_u32 s6, s7, s12
	s_addc_u32 s7, s18, s13
	s_add_i32 s17, s15, s11
	s_delay_alu instid0(SALU_CYCLE_1) | instskip(NEXT) | instid1(SALU_CYCLE_1)
	s_lshl_b64 s[12:13], s[16:17], 2
	s_add_u32 s11, s20, s12
	s_addc_u32 s12, s21, s13
	s_lshl_b64 s[4:5], s[4:5], 2
	s_delay_alu instid0(SALU_CYCLE_1)
	s_add_u32 s4, s11, s4
	s_addc_u32 s5, s12, s5
	v_add_co_u32 v3, vcc_lo, s4, v1
	v_add_co_ci_u32_e32 v4, vcc_lo, s5, v2, vcc_lo
	v_add_co_u32 v1, vcc_lo, s6, v1
	v_add_co_ci_u32_e32 v2, vcc_lo, s7, v2, vcc_lo
	global_load_b32 v3, v[3:4], off
	global_load_b32 v4, v[1:2], off
	s_add_i32 s11, s14, s3
	s_waitcnt vmcnt(1)
	v_cvt_f64_f32_e32 v[1:2], v3
	s_waitcnt vmcnt(0)
	v_cvt_f64_f32_e32 v[3:4], v4
	s_delay_alu instid0(VALU_DEP_1) | instskip(SKIP_1) | instid1(VALU_DEP_1)
	v_fma_f64 v[1:2], v[1:2], v[3:4], 0
	v_lshl_or_b32 v3, s11, 9, v0
	v_cmp_gt_i32_e32 vcc_lo, s10, v3
	s_and_saveexec_b32 s10, vcc_lo
	s_cbranch_execz .LBB429_3
; %bb.2:
	v_ashrrev_i32_e32 v4, 31, v3
	s_delay_alu instid0(VALU_DEP_1) | instskip(NEXT) | instid1(VALU_DEP_1)
	v_lshlrev_b64 v[3:4], 2, v[3:4]
	v_add_co_u32 v5, vcc_lo, s4, v3
	s_delay_alu instid0(VALU_DEP_2)
	v_add_co_ci_u32_e32 v6, vcc_lo, s5, v4, vcc_lo
	v_add_co_u32 v3, vcc_lo, s6, v3
	v_add_co_ci_u32_e32 v4, vcc_lo, s7, v4, vcc_lo
	global_load_b32 v5, v[5:6], off
	global_load_b32 v6, v[3:4], off
	s_waitcnt vmcnt(1)
	v_cvt_f64_f32_e32 v[3:4], v5
	s_waitcnt vmcnt(0)
	v_cvt_f64_f32_e32 v[5:6], v6
	s_delay_alu instid0(VALU_DEP_1)
	v_fma_f64 v[1:2], v[3:4], v[5:6], v[1:2]
.LBB429_3:
	s_or_b32 exec_lo, exec_lo, s10
.LBB429_4:
	s_delay_alu instid0(SALU_CYCLE_1) | instskip(SKIP_2) | instid1(VALU_DEP_2)
	s_or_b32 exec_lo, exec_lo, s2
	v_and_b32_e32 v10, 31, v0
	v_cmp_gt_u32_e32 vcc_lo, 32, v0
	v_lshlrev_b32_e32 v5, 3, v10
	s_and_saveexec_b32 s2, vcc_lo
	s_cbranch_execz .LBB429_6
; %bb.5:
	v_mov_b32_e32 v3, 0
	s_delay_alu instid0(VALU_DEP_1)
	v_mov_b32_e32 v4, v3
	ds_store_b64 v5, v[3:4]
.LBB429_6:
	s_or_b32 exec_lo, exec_lo, s2
	v_mbcnt_lo_u32_b32 v9, -1, 0
	s_mov_b32 s4, exec_lo
	s_waitcnt lgkmcnt(0)
	s_barrier
	buffer_gl0_inv
	v_cmp_gt_u32_e64 s2, 16, v9
	s_delay_alu instid0(VALU_DEP_1) | instskip(SKIP_1) | instid1(VALU_DEP_2)
	v_cndmask_b32_e64 v3, 0, 1, s2
	v_cmp_gt_u32_e64 s2, 24, v9
	v_lshlrev_b32_e32 v3, 4, v3
	s_delay_alu instid0(VALU_DEP_1)
	v_add_lshl_u32 v4, v3, v9, 2
	ds_bpermute_b32 v3, v4, v1
	ds_bpermute_b32 v4, v4, v2
	s_waitcnt lgkmcnt(0)
	v_add_f64 v[1:2], v[1:2], v[3:4]
	v_cndmask_b32_e64 v3, 0, 1, s2
	v_cmp_gt_u32_e64 s2, 28, v9
	s_delay_alu instid0(VALU_DEP_2) | instskip(NEXT) | instid1(VALU_DEP_1)
	v_lshlrev_b32_e32 v3, 3, v3
	v_add_lshl_u32 v6, v3, v9, 2
	ds_bpermute_b32 v3, v6, v1
	ds_bpermute_b32 v4, v6, v2
	s_waitcnt lgkmcnt(0)
	v_add_f64 v[1:2], v[1:2], v[3:4]
	v_cndmask_b32_e64 v3, 0, 1, s2
	v_cmp_gt_u32_e64 s2, 30, v9
	s_delay_alu instid0(VALU_DEP_2) | instskip(NEXT) | instid1(VALU_DEP_1)
	v_lshlrev_b32_e32 v3, 2, v3
	v_add_lshl_u32 v7, v3, v9, 2
	ds_bpermute_b32 v3, v7, v1
	ds_bpermute_b32 v4, v7, v2
	s_waitcnt lgkmcnt(0)
	v_add_f64 v[1:2], v[1:2], v[3:4]
	v_cndmask_b32_e64 v3, 0, 1, s2
	v_cmp_ne_u32_e64 s2, 31, v9
	s_delay_alu instid0(VALU_DEP_2) | instskip(NEXT) | instid1(VALU_DEP_1)
	v_lshlrev_b32_e32 v3, 1, v3
	v_add_lshl_u32 v8, v3, v9, 2
	ds_bpermute_b32 v3, v8, v1
	ds_bpermute_b32 v4, v8, v2
	s_waitcnt lgkmcnt(0)
	v_add_f64 v[1:2], v[1:2], v[3:4]
	v_add_co_ci_u32_e64 v3, s2, 0, v9, s2
	s_delay_alu instid0(VALU_DEP_1)
	v_lshlrev_b32_e32 v9, 2, v3
	ds_bpermute_b32 v3, v9, v1
	ds_bpermute_b32 v4, v9, v2
	v_cmpx_eq_u32_e32 0, v10
	s_cbranch_execz .LBB429_8
; %bb.7:
	s_waitcnt lgkmcnt(0)
	v_add_f64 v[1:2], v[1:2], v[3:4]
	v_lshrrev_b32_e32 v3, 2, v0
	s_delay_alu instid0(VALU_DEP_1)
	v_and_b32_e32 v3, 0x78, v3
	ds_store_b64 v3, v[1:2]
.LBB429_8:
	s_or_b32 exec_lo, exec_lo, s4
	v_mov_b32_e32 v1, 0
	v_mov_b32_e32 v2, 0
	s_mov_b32 s4, exec_lo
	s_waitcnt lgkmcnt(0)
	s_barrier
	buffer_gl0_inv
	v_cmpx_gt_u32_e32 16, v0
	s_cbranch_execz .LBB429_10
; %bb.9:
	ds_load_b64 v[1:2], v5
.LBB429_10:
	s_or_b32 exec_lo, exec_lo, s4
	s_and_saveexec_b32 s2, vcc_lo
	s_cbranch_execz .LBB429_12
; %bb.11:
	s_waitcnt lgkmcnt(0)
	ds_bpermute_b32 v3, v6, v1
	ds_bpermute_b32 v4, v6, v2
	s_waitcnt lgkmcnt(0)
	v_add_f64 v[1:2], v[1:2], v[3:4]
	ds_bpermute_b32 v3, v7, v1
	ds_bpermute_b32 v4, v7, v2
	s_waitcnt lgkmcnt(0)
	v_add_f64 v[1:2], v[1:2], v[3:4]
	;; [unrolled: 4-line block ×4, first 2 shown]
.LBB429_12:
	s_or_b32 exec_lo, exec_lo, s2
	s_delay_alu instid0(SALU_CYCLE_1)
	s_mov_b32 s2, exec_lo
	v_cmpx_eq_u32_e32 0, v0
	s_cbranch_execz .LBB429_18
; %bb.13:
	s_cmp_lg_u32 s3, 1
	s_cbranch_scc0 .LBB429_15
; %bb.14:
	s_load_b64 s[4:5], s[0:1], 0x40
	s_mul_hi_u32 s7, s3, s8
	s_mul_i32 s6, s3, s8
	s_mov_b32 s15, 0
	s_lshl_b64 s[2:3], s[6:7], 3
	s_waitcnt lgkmcnt(0)
	s_add_u32 s4, s4, s2
	s_addc_u32 s5, s5, s3
	s_lshl_b64 s[2:3], s[14:15], 3
	s_delay_alu instid0(SALU_CYCLE_1)
	s_add_u32 s2, s4, s2
	s_addc_u32 s3, s5, s3
	s_cbranch_execz .LBB429_16
	s_branch .LBB429_17
.LBB429_15:
                                        ; implicit-def: $sgpr2_sgpr3
.LBB429_16:
	s_load_b64 s[0:1], s[0:1], 0x48
	s_lshl_b64 s[2:3], s[8:9], 3
	s_waitcnt lgkmcnt(0)
	s_add_u32 s2, s0, s2
	s_addc_u32 s3, s1, s3
.LBB429_17:
	v_mov_b32_e32 v0, 0
	s_waitcnt lgkmcnt(0)
	global_store_b64 v0, v[1:2], s[2:3]
.LBB429_18:
	s_nop 0
	s_sendmsg sendmsg(MSG_DEALLOC_VGPRS)
	s_endpgm
	.section	.rodata,"a",@progbits
	.p2align	6, 0x0
	.amdhsa_kernel _ZL23rocblas_dot_kernel_inc1ILb0ELi512ELi2ELb0EdPKfdEviT4_llS2_lliPT5_PT3_
		.amdhsa_group_segment_fixed_size 256
		.amdhsa_private_segment_fixed_size 0
		.amdhsa_kernarg_size 336
		.amdhsa_user_sgpr_count 14
		.amdhsa_user_sgpr_dispatch_ptr 0
		.amdhsa_user_sgpr_queue_ptr 0
		.amdhsa_user_sgpr_kernarg_segment_ptr 1
		.amdhsa_user_sgpr_dispatch_id 0
		.amdhsa_user_sgpr_private_segment_size 0
		.amdhsa_wavefront_size32 1
		.amdhsa_uses_dynamic_stack 0
		.amdhsa_enable_private_segment 0
		.amdhsa_system_sgpr_workgroup_id_x 1
		.amdhsa_system_sgpr_workgroup_id_y 0
		.amdhsa_system_sgpr_workgroup_id_z 1
		.amdhsa_system_sgpr_workgroup_info 0
		.amdhsa_system_vgpr_workitem_id 0
		.amdhsa_next_free_vgpr 11
		.amdhsa_next_free_sgpr 22
		.amdhsa_reserve_vcc 1
		.amdhsa_float_round_mode_32 0
		.amdhsa_float_round_mode_16_64 0
		.amdhsa_float_denorm_mode_32 3
		.amdhsa_float_denorm_mode_16_64 3
		.amdhsa_dx10_clamp 1
		.amdhsa_ieee_mode 1
		.amdhsa_fp16_overflow 0
		.amdhsa_workgroup_processor_mode 1
		.amdhsa_memory_ordered 1
		.amdhsa_forward_progress 0
		.amdhsa_shared_vgpr_count 0
		.amdhsa_exception_fp_ieee_invalid_op 0
		.amdhsa_exception_fp_denorm_src 0
		.amdhsa_exception_fp_ieee_div_zero 0
		.amdhsa_exception_fp_ieee_overflow 0
		.amdhsa_exception_fp_ieee_underflow 0
		.amdhsa_exception_fp_ieee_inexact 0
		.amdhsa_exception_int_div_zero 0
	.end_amdhsa_kernel
	.section	.text._ZL23rocblas_dot_kernel_inc1ILb0ELi512ELi2ELb0EdPKfdEviT4_llS2_lliPT5_PT3_,"axG",@progbits,_ZL23rocblas_dot_kernel_inc1ILb0ELi512ELi2ELb0EdPKfdEviT4_llS2_lliPT5_PT3_,comdat
.Lfunc_end429:
	.size	_ZL23rocblas_dot_kernel_inc1ILb0ELi512ELi2ELb0EdPKfdEviT4_llS2_lliPT5_PT3_, .Lfunc_end429-_ZL23rocblas_dot_kernel_inc1ILb0ELi512ELi2ELb0EdPKfdEviT4_llS2_lliPT5_PT3_
                                        ; -- End function
	.section	.AMDGPU.csdata,"",@progbits
; Kernel info:
; codeLenInByte = 1116
; NumSgprs: 24
; NumVgprs: 11
; ScratchSize: 0
; MemoryBound: 0
; FloatMode: 240
; IeeeMode: 1
; LDSByteSize: 256 bytes/workgroup (compile time only)
; SGPRBlocks: 2
; VGPRBlocks: 1
; NumSGPRsForWavesPerEU: 24
; NumVGPRsForWavesPerEU: 11
; Occupancy: 16
; WaveLimiterHint : 0
; COMPUTE_PGM_RSRC2:SCRATCH_EN: 0
; COMPUTE_PGM_RSRC2:USER_SGPR: 14
; COMPUTE_PGM_RSRC2:TRAP_HANDLER: 0
; COMPUTE_PGM_RSRC2:TGID_X_EN: 1
; COMPUTE_PGM_RSRC2:TGID_Y_EN: 0
; COMPUTE_PGM_RSRC2:TGID_Z_EN: 1
; COMPUTE_PGM_RSRC2:TIDIG_COMP_CNT: 0
	.section	.text._ZL18rocblas_dot_kernelIiLb0ELi512ELi2ELb0EdPKfdEviT5_lT_lS2_lS3_liPT6_PT4_,"axG",@progbits,_ZL18rocblas_dot_kernelIiLb0ELi512ELi2ELb0EdPKfdEviT5_lT_lS2_lS3_liPT6_PT4_,comdat
	.globl	_ZL18rocblas_dot_kernelIiLb0ELi512ELi2ELb0EdPKfdEviT5_lT_lS2_lS3_liPT6_PT4_ ; -- Begin function _ZL18rocblas_dot_kernelIiLb0ELi512ELi2ELb0EdPKfdEviT5_lT_lS2_lS3_liPT6_PT4_
	.p2align	8
	.type	_ZL18rocblas_dot_kernelIiLb0ELi512ELi2ELb0EdPKfdEviT5_lT_lS2_lS3_liPT6_PT4_,@function
_ZL18rocblas_dot_kernelIiLb0ELi512ELi2ELb0EdPKfdEviT5_lT_lS2_lS3_liPT6_PT4_: ; @_ZL18rocblas_dot_kernelIiLb0ELi512ELi2ELb0EdPKfdEviT5_lT_lS2_lS3_liPT6_PT4_
; %bb.0:
	s_clause 0x1
	s_load_b32 s10, s[0:1], 0x0
	s_load_b32 s3, s[0:1], 0x60
	v_mov_b32_e32 v1, 0
	v_lshl_or_b32 v3, s14, 9, v0
	v_mov_b32_e32 v2, 0
	s_mov_b32 s8, s15
	s_mov_b32 s9, 0
	s_mov_b32 s2, exec_lo
	s_waitcnt lgkmcnt(0)
	v_cmpx_gt_i32_e64 s10, v3
	s_cbranch_execz .LBB430_4
; %bb.1:
	s_clause 0x5
	s_load_b128 s[4:7], s[0:1], 0x20
	s_load_b64 s[20:21], s[0:1], 0x40
	s_load_b32 s12, s[0:1], 0x38
	s_load_b128 s[16:19], s[0:1], 0x8
	s_load_b32 s11, s[0:1], 0x18
	s_load_b64 s[22:23], s[0:1], 0x30
	s_waitcnt lgkmcnt(0)
	s_mul_i32 s5, s8, s5
	s_mul_hi_u32 s13, s8, s4
	s_mul_i32 s4, s8, s4
	s_add_i32 s5, s13, s5
	v_mad_i64_i32 v[1:2], null, v3, s12, 0
	s_lshl_b64 s[4:5], s[4:5], 2
	s_mul_i32 s15, s8, s21
	s_add_u32 s13, s16, s4
	s_addc_u32 s16, s17, s5
	s_lshl_b64 s[4:5], s[18:19], 2
	s_mul_hi_u32 s21, s8, s20
	v_mad_i64_i32 v[4:5], null, v3, s11, 0
	s_add_u32 s4, s13, s4
	s_mul_i32 s20, s8, s20
	s_addc_u32 s5, s16, s5
	s_add_i32 s21, s21, s15
	v_lshlrev_b64 v[1:2], 2, v[1:2]
	s_lshl_b64 s[16:17], s[20:21], 2
	s_delay_alu instid0(VALU_DEP_2) | instskip(SKIP_3) | instid1(SALU_CYCLE_1)
	v_lshlrev_b64 v[3:4], 2, v[4:5]
	s_add_u32 s13, s6, s16
	s_addc_u32 s15, s7, s17
	s_lshl_b64 s[6:7], s[22:23], 2
	s_add_u32 s6, s13, s6
	s_addc_u32 s7, s15, s7
	v_add_co_u32 v1, vcc_lo, s6, v1
	v_add_co_ci_u32_e32 v2, vcc_lo, s7, v2, vcc_lo
	v_add_co_u32 v3, vcc_lo, s4, v3
	v_add_co_ci_u32_e32 v4, vcc_lo, s5, v4, vcc_lo
	global_load_b32 v1, v[1:2], off
	global_load_b32 v3, v[3:4], off
	s_add_i32 s13, s14, s3
	s_waitcnt vmcnt(1)
	v_cvt_f64_f32_e32 v[1:2], v1
	s_waitcnt vmcnt(0)
	v_cvt_f64_f32_e32 v[3:4], v3
	s_delay_alu instid0(VALU_DEP_1) | instskip(SKIP_1) | instid1(VALU_DEP_1)
	v_fma_f64 v[1:2], v[1:2], v[3:4], 0
	v_lshl_or_b32 v3, s13, 9, v0
	v_cmp_gt_i32_e32 vcc_lo, s10, v3
	s_and_saveexec_b32 s10, vcc_lo
	s_cbranch_execz .LBB430_3
; %bb.2:
	v_mad_i64_i32 v[4:5], null, v3, s12, 0
	v_mad_i64_i32 v[6:7], null, v3, s11, 0
	s_delay_alu instid0(VALU_DEP_2) | instskip(NEXT) | instid1(VALU_DEP_2)
	v_lshlrev_b64 v[3:4], 2, v[4:5]
	v_lshlrev_b64 v[5:6], 2, v[6:7]
	s_delay_alu instid0(VALU_DEP_2) | instskip(NEXT) | instid1(VALU_DEP_3)
	v_add_co_u32 v3, vcc_lo, s6, v3
	v_add_co_ci_u32_e32 v4, vcc_lo, s7, v4, vcc_lo
	s_delay_alu instid0(VALU_DEP_3) | instskip(NEXT) | instid1(VALU_DEP_4)
	v_add_co_u32 v5, vcc_lo, s4, v5
	v_add_co_ci_u32_e32 v6, vcc_lo, s5, v6, vcc_lo
	global_load_b32 v3, v[3:4], off
	global_load_b32 v5, v[5:6], off
	s_waitcnt vmcnt(1)
	v_cvt_f64_f32_e32 v[3:4], v3
	s_waitcnt vmcnt(0)
	v_cvt_f64_f32_e32 v[5:6], v5
	s_delay_alu instid0(VALU_DEP_1)
	v_fma_f64 v[1:2], v[3:4], v[5:6], v[1:2]
.LBB430_3:
	s_or_b32 exec_lo, exec_lo, s10
.LBB430_4:
	s_delay_alu instid0(SALU_CYCLE_1) | instskip(SKIP_2) | instid1(VALU_DEP_2)
	s_or_b32 exec_lo, exec_lo, s2
	v_and_b32_e32 v10, 31, v0
	v_cmp_gt_u32_e32 vcc_lo, 32, v0
	v_lshlrev_b32_e32 v5, 3, v10
	s_and_saveexec_b32 s2, vcc_lo
	s_cbranch_execz .LBB430_6
; %bb.5:
	v_mov_b32_e32 v3, 0
	s_delay_alu instid0(VALU_DEP_1)
	v_mov_b32_e32 v4, v3
	ds_store_b64 v5, v[3:4]
.LBB430_6:
	s_or_b32 exec_lo, exec_lo, s2
	v_mbcnt_lo_u32_b32 v9, -1, 0
	s_mov_b32 s4, exec_lo
	s_waitcnt lgkmcnt(0)
	s_barrier
	buffer_gl0_inv
	v_cmp_gt_u32_e64 s2, 16, v9
	s_delay_alu instid0(VALU_DEP_1) | instskip(SKIP_1) | instid1(VALU_DEP_2)
	v_cndmask_b32_e64 v3, 0, 1, s2
	v_cmp_gt_u32_e64 s2, 24, v9
	v_lshlrev_b32_e32 v3, 4, v3
	s_delay_alu instid0(VALU_DEP_1)
	v_add_lshl_u32 v4, v3, v9, 2
	ds_bpermute_b32 v3, v4, v1
	ds_bpermute_b32 v4, v4, v2
	s_waitcnt lgkmcnt(0)
	v_add_f64 v[1:2], v[1:2], v[3:4]
	v_cndmask_b32_e64 v3, 0, 1, s2
	v_cmp_gt_u32_e64 s2, 28, v9
	s_delay_alu instid0(VALU_DEP_2) | instskip(NEXT) | instid1(VALU_DEP_1)
	v_lshlrev_b32_e32 v3, 3, v3
	v_add_lshl_u32 v6, v3, v9, 2
	ds_bpermute_b32 v3, v6, v1
	ds_bpermute_b32 v4, v6, v2
	s_waitcnt lgkmcnt(0)
	v_add_f64 v[1:2], v[1:2], v[3:4]
	v_cndmask_b32_e64 v3, 0, 1, s2
	v_cmp_gt_u32_e64 s2, 30, v9
	s_delay_alu instid0(VALU_DEP_2) | instskip(NEXT) | instid1(VALU_DEP_1)
	v_lshlrev_b32_e32 v3, 2, v3
	v_add_lshl_u32 v7, v3, v9, 2
	ds_bpermute_b32 v3, v7, v1
	ds_bpermute_b32 v4, v7, v2
	s_waitcnt lgkmcnt(0)
	v_add_f64 v[1:2], v[1:2], v[3:4]
	v_cndmask_b32_e64 v3, 0, 1, s2
	v_cmp_ne_u32_e64 s2, 31, v9
	s_delay_alu instid0(VALU_DEP_2) | instskip(NEXT) | instid1(VALU_DEP_1)
	v_lshlrev_b32_e32 v3, 1, v3
	v_add_lshl_u32 v8, v3, v9, 2
	ds_bpermute_b32 v3, v8, v1
	ds_bpermute_b32 v4, v8, v2
	s_waitcnt lgkmcnt(0)
	v_add_f64 v[1:2], v[1:2], v[3:4]
	v_add_co_ci_u32_e64 v3, s2, 0, v9, s2
	s_delay_alu instid0(VALU_DEP_1)
	v_lshlrev_b32_e32 v9, 2, v3
	ds_bpermute_b32 v3, v9, v1
	ds_bpermute_b32 v4, v9, v2
	v_cmpx_eq_u32_e32 0, v10
	s_cbranch_execz .LBB430_8
; %bb.7:
	s_waitcnt lgkmcnt(0)
	v_add_f64 v[1:2], v[1:2], v[3:4]
	v_lshrrev_b32_e32 v3, 2, v0
	s_delay_alu instid0(VALU_DEP_1)
	v_and_b32_e32 v3, 0x78, v3
	ds_store_b64 v3, v[1:2]
.LBB430_8:
	s_or_b32 exec_lo, exec_lo, s4
	v_mov_b32_e32 v1, 0
	v_mov_b32_e32 v2, 0
	s_mov_b32 s4, exec_lo
	s_waitcnt lgkmcnt(0)
	s_barrier
	buffer_gl0_inv
	v_cmpx_gt_u32_e32 16, v0
	s_cbranch_execz .LBB430_10
; %bb.9:
	ds_load_b64 v[1:2], v5
.LBB430_10:
	s_or_b32 exec_lo, exec_lo, s4
	s_and_saveexec_b32 s2, vcc_lo
	s_cbranch_execz .LBB430_12
; %bb.11:
	s_waitcnt lgkmcnt(0)
	ds_bpermute_b32 v3, v6, v1
	ds_bpermute_b32 v4, v6, v2
	s_waitcnt lgkmcnt(0)
	v_add_f64 v[1:2], v[1:2], v[3:4]
	ds_bpermute_b32 v3, v7, v1
	ds_bpermute_b32 v4, v7, v2
	s_waitcnt lgkmcnt(0)
	v_add_f64 v[1:2], v[1:2], v[3:4]
	;; [unrolled: 4-line block ×4, first 2 shown]
.LBB430_12:
	s_or_b32 exec_lo, exec_lo, s2
	s_delay_alu instid0(SALU_CYCLE_1)
	s_mov_b32 s2, exec_lo
	v_cmpx_eq_u32_e32 0, v0
	s_cbranch_execz .LBB430_18
; %bb.13:
	s_cmp_lg_u32 s3, 1
	s_cbranch_scc0 .LBB430_15
; %bb.14:
	s_load_b64 s[4:5], s[0:1], 0x50
	s_mul_hi_u32 s7, s3, s8
	s_mul_i32 s6, s3, s8
	s_mov_b32 s15, 0
	s_lshl_b64 s[2:3], s[6:7], 3
	s_waitcnt lgkmcnt(0)
	s_add_u32 s4, s4, s2
	s_addc_u32 s5, s5, s3
	s_lshl_b64 s[2:3], s[14:15], 3
	s_delay_alu instid0(SALU_CYCLE_1)
	s_add_u32 s2, s4, s2
	s_addc_u32 s3, s5, s3
	s_cbranch_execz .LBB430_16
	s_branch .LBB430_17
.LBB430_15:
                                        ; implicit-def: $sgpr2_sgpr3
.LBB430_16:
	s_load_b64 s[0:1], s[0:1], 0x58
	s_lshl_b64 s[2:3], s[8:9], 3
	s_waitcnt lgkmcnt(0)
	s_add_u32 s2, s0, s2
	s_addc_u32 s3, s1, s3
.LBB430_17:
	v_mov_b32_e32 v0, 0
	s_waitcnt lgkmcnt(0)
	global_store_b64 v0, v[1:2], s[2:3]
.LBB430_18:
	s_nop 0
	s_sendmsg sendmsg(MSG_DEALLOC_VGPRS)
	s_endpgm
	.section	.rodata,"a",@progbits
	.p2align	6, 0x0
	.amdhsa_kernel _ZL18rocblas_dot_kernelIiLb0ELi512ELi2ELb0EdPKfdEviT5_lT_lS2_lS3_liPT6_PT4_
		.amdhsa_group_segment_fixed_size 256
		.amdhsa_private_segment_fixed_size 0
		.amdhsa_kernarg_size 352
		.amdhsa_user_sgpr_count 14
		.amdhsa_user_sgpr_dispatch_ptr 0
		.amdhsa_user_sgpr_queue_ptr 0
		.amdhsa_user_sgpr_kernarg_segment_ptr 1
		.amdhsa_user_sgpr_dispatch_id 0
		.amdhsa_user_sgpr_private_segment_size 0
		.amdhsa_wavefront_size32 1
		.amdhsa_uses_dynamic_stack 0
		.amdhsa_enable_private_segment 0
		.amdhsa_system_sgpr_workgroup_id_x 1
		.amdhsa_system_sgpr_workgroup_id_y 0
		.amdhsa_system_sgpr_workgroup_id_z 1
		.amdhsa_system_sgpr_workgroup_info 0
		.amdhsa_system_vgpr_workitem_id 0
		.amdhsa_next_free_vgpr 11
		.amdhsa_next_free_sgpr 24
		.amdhsa_reserve_vcc 1
		.amdhsa_float_round_mode_32 0
		.amdhsa_float_round_mode_16_64 0
		.amdhsa_float_denorm_mode_32 3
		.amdhsa_float_denorm_mode_16_64 3
		.amdhsa_dx10_clamp 1
		.amdhsa_ieee_mode 1
		.amdhsa_fp16_overflow 0
		.amdhsa_workgroup_processor_mode 1
		.amdhsa_memory_ordered 1
		.amdhsa_forward_progress 0
		.amdhsa_shared_vgpr_count 0
		.amdhsa_exception_fp_ieee_invalid_op 0
		.amdhsa_exception_fp_denorm_src 0
		.amdhsa_exception_fp_ieee_div_zero 0
		.amdhsa_exception_fp_ieee_overflow 0
		.amdhsa_exception_fp_ieee_underflow 0
		.amdhsa_exception_fp_ieee_inexact 0
		.amdhsa_exception_int_div_zero 0
	.end_amdhsa_kernel
	.section	.text._ZL18rocblas_dot_kernelIiLb0ELi512ELi2ELb0EdPKfdEviT5_lT_lS2_lS3_liPT6_PT4_,"axG",@progbits,_ZL18rocblas_dot_kernelIiLb0ELi512ELi2ELb0EdPKfdEviT5_lT_lS2_lS3_liPT6_PT4_,comdat
.Lfunc_end430:
	.size	_ZL18rocblas_dot_kernelIiLb0ELi512ELi2ELb0EdPKfdEviT5_lT_lS2_lS3_liPT6_PT4_, .Lfunc_end430-_ZL18rocblas_dot_kernelIiLb0ELi512ELi2ELb0EdPKfdEviT5_lT_lS2_lS3_liPT6_PT4_
                                        ; -- End function
	.section	.AMDGPU.csdata,"",@progbits
; Kernel info:
; codeLenInByte = 1168
; NumSgprs: 26
; NumVgprs: 11
; ScratchSize: 0
; MemoryBound: 0
; FloatMode: 240
; IeeeMode: 1
; LDSByteSize: 256 bytes/workgroup (compile time only)
; SGPRBlocks: 3
; VGPRBlocks: 1
; NumSGPRsForWavesPerEU: 26
; NumVGPRsForWavesPerEU: 11
; Occupancy: 16
; WaveLimiterHint : 0
; COMPUTE_PGM_RSRC2:SCRATCH_EN: 0
; COMPUTE_PGM_RSRC2:USER_SGPR: 14
; COMPUTE_PGM_RSRC2:TRAP_HANDLER: 0
; COMPUTE_PGM_RSRC2:TGID_X_EN: 1
; COMPUTE_PGM_RSRC2:TGID_Y_EN: 0
; COMPUTE_PGM_RSRC2:TGID_Z_EN: 1
; COMPUTE_PGM_RSRC2:TIDIG_COMP_CNT: 0
	.section	.text._ZL24rocblas_dot_kernel_magsqIiLb0ELi512ELi2ELb0EdPKfdEviT5_lT_liPT6_PT4_,"axG",@progbits,_ZL24rocblas_dot_kernel_magsqIiLb0ELi512ELi2ELb0EdPKfdEviT5_lT_liPT6_PT4_,comdat
	.globl	_ZL24rocblas_dot_kernel_magsqIiLb0ELi512ELi2ELb0EdPKfdEviT5_lT_liPT6_PT4_ ; -- Begin function _ZL24rocblas_dot_kernel_magsqIiLb0ELi512ELi2ELb0EdPKfdEviT5_lT_liPT6_PT4_
	.p2align	8
	.type	_ZL24rocblas_dot_kernel_magsqIiLb0ELi512ELi2ELb0EdPKfdEviT5_lT_liPT6_PT4_,@function
_ZL24rocblas_dot_kernel_magsqIiLb0ELi512ELi2ELb0EdPKfdEviT5_lT_liPT6_PT4_: ; @_ZL24rocblas_dot_kernel_magsqIiLb0ELi512ELi2ELb0EdPKfdEviT5_lT_liPT6_PT4_
; %bb.0:
	s_clause 0x1
	s_load_b32 s6, s[0:1], 0x0
	s_load_b32 s3, s[0:1], 0x40
	v_mov_b32_e32 v1, 0
	v_lshl_or_b32 v3, s14, 9, v0
	v_mov_b32_e32 v2, 0
	s_mov_b32 s4, s15
	s_mov_b32 s5, 0
	s_mov_b32 s2, exec_lo
	s_waitcnt lgkmcnt(0)
	v_cmpx_gt_i32_e64 s6, v3
	s_cbranch_execz .LBB431_4
; %bb.1:
	s_clause 0x2
	s_load_b64 s[12:13], s[0:1], 0x20
	s_load_b32 s7, s[0:1], 0x18
	s_load_b128 s[8:11], s[0:1], 0x8
	s_waitcnt lgkmcnt(0)
	s_mul_i32 s13, s4, s13
	v_mad_i64_i32 v[1:2], null, v3, s7, 0
	s_mul_hi_u32 s15, s4, s12
	s_mul_i32 s12, s4, s12
	s_add_i32 s13, s15, s13
	s_delay_alu instid0(SALU_CYCLE_1) | instskip(NEXT) | instid1(SALU_CYCLE_1)
	s_lshl_b64 s[12:13], s[12:13], 2
	s_add_u32 s12, s8, s12
	s_delay_alu instid0(VALU_DEP_1) | instskip(SKIP_2) | instid1(SALU_CYCLE_1)
	v_lshlrev_b64 v[1:2], 2, v[1:2]
	s_addc_u32 s13, s9, s13
	s_lshl_b64 s[8:9], s[10:11], 2
	s_add_u32 s8, s12, s8
	s_addc_u32 s9, s13, s9
	s_delay_alu instid0(VALU_DEP_1) | instskip(SKIP_2) | instid1(SALU_CYCLE_1)
	v_add_co_u32 v1, vcc_lo, s8, v1
	v_add_co_ci_u32_e32 v2, vcc_lo, s9, v2, vcc_lo
	s_add_i32 s10, s14, s3
	v_lshl_or_b32 v3, s10, 9, v0
	global_load_b32 v1, v[1:2], off
	v_cmp_gt_i32_e32 vcc_lo, s6, v3
	s_waitcnt vmcnt(0)
	v_cvt_f64_f32_e32 v[1:2], v1
	s_delay_alu instid0(VALU_DEP_1)
	v_mul_f64 v[1:2], v[1:2], v[1:2]
	s_and_saveexec_b32 s6, vcc_lo
	s_cbranch_execz .LBB431_3
; %bb.2:
	v_mad_i64_i32 v[4:5], null, v3, s7, 0
	s_delay_alu instid0(VALU_DEP_1) | instskip(NEXT) | instid1(VALU_DEP_1)
	v_lshlrev_b64 v[3:4], 2, v[4:5]
	v_add_co_u32 v3, vcc_lo, s8, v3
	s_delay_alu instid0(VALU_DEP_2) | instskip(SKIP_3) | instid1(VALU_DEP_1)
	v_add_co_ci_u32_e32 v4, vcc_lo, s9, v4, vcc_lo
	global_load_b32 v3, v[3:4], off
	s_waitcnt vmcnt(0)
	v_cvt_f64_f32_e32 v[3:4], v3
	v_fma_f64 v[1:2], v[3:4], v[3:4], v[1:2]
.LBB431_3:
	s_or_b32 exec_lo, exec_lo, s6
.LBB431_4:
	s_delay_alu instid0(SALU_CYCLE_1) | instskip(SKIP_2) | instid1(VALU_DEP_2)
	s_or_b32 exec_lo, exec_lo, s2
	v_and_b32_e32 v10, 31, v0
	v_cmp_gt_u32_e32 vcc_lo, 32, v0
	v_lshlrev_b32_e32 v5, 3, v10
	s_and_saveexec_b32 s2, vcc_lo
	s_cbranch_execz .LBB431_6
; %bb.5:
	v_mov_b32_e32 v3, 0
	s_delay_alu instid0(VALU_DEP_1)
	v_mov_b32_e32 v4, v3
	ds_store_b64 v5, v[3:4]
.LBB431_6:
	s_or_b32 exec_lo, exec_lo, s2
	v_mbcnt_lo_u32_b32 v9, -1, 0
	s_mov_b32 s6, exec_lo
	s_waitcnt lgkmcnt(0)
	s_barrier
	buffer_gl0_inv
	v_cmp_gt_u32_e64 s2, 16, v9
	s_delay_alu instid0(VALU_DEP_1) | instskip(SKIP_1) | instid1(VALU_DEP_2)
	v_cndmask_b32_e64 v3, 0, 1, s2
	v_cmp_gt_u32_e64 s2, 24, v9
	v_lshlrev_b32_e32 v3, 4, v3
	s_delay_alu instid0(VALU_DEP_1)
	v_add_lshl_u32 v4, v3, v9, 2
	ds_bpermute_b32 v3, v4, v1
	ds_bpermute_b32 v4, v4, v2
	s_waitcnt lgkmcnt(0)
	v_add_f64 v[1:2], v[1:2], v[3:4]
	v_cndmask_b32_e64 v3, 0, 1, s2
	v_cmp_gt_u32_e64 s2, 28, v9
	s_delay_alu instid0(VALU_DEP_2) | instskip(NEXT) | instid1(VALU_DEP_1)
	v_lshlrev_b32_e32 v3, 3, v3
	v_add_lshl_u32 v6, v3, v9, 2
	ds_bpermute_b32 v3, v6, v1
	ds_bpermute_b32 v4, v6, v2
	s_waitcnt lgkmcnt(0)
	v_add_f64 v[1:2], v[1:2], v[3:4]
	v_cndmask_b32_e64 v3, 0, 1, s2
	v_cmp_gt_u32_e64 s2, 30, v9
	s_delay_alu instid0(VALU_DEP_2) | instskip(NEXT) | instid1(VALU_DEP_1)
	v_lshlrev_b32_e32 v3, 2, v3
	v_add_lshl_u32 v7, v3, v9, 2
	ds_bpermute_b32 v3, v7, v1
	ds_bpermute_b32 v4, v7, v2
	s_waitcnt lgkmcnt(0)
	v_add_f64 v[1:2], v[1:2], v[3:4]
	v_cndmask_b32_e64 v3, 0, 1, s2
	v_cmp_ne_u32_e64 s2, 31, v9
	s_delay_alu instid0(VALU_DEP_2) | instskip(NEXT) | instid1(VALU_DEP_1)
	v_lshlrev_b32_e32 v3, 1, v3
	v_add_lshl_u32 v8, v3, v9, 2
	ds_bpermute_b32 v3, v8, v1
	ds_bpermute_b32 v4, v8, v2
	s_waitcnt lgkmcnt(0)
	v_add_f64 v[1:2], v[1:2], v[3:4]
	v_add_co_ci_u32_e64 v3, s2, 0, v9, s2
	s_delay_alu instid0(VALU_DEP_1)
	v_lshlrev_b32_e32 v9, 2, v3
	ds_bpermute_b32 v3, v9, v1
	ds_bpermute_b32 v4, v9, v2
	v_cmpx_eq_u32_e32 0, v10
	s_cbranch_execz .LBB431_8
; %bb.7:
	s_waitcnt lgkmcnt(0)
	v_add_f64 v[1:2], v[1:2], v[3:4]
	v_lshrrev_b32_e32 v3, 2, v0
	s_delay_alu instid0(VALU_DEP_1)
	v_and_b32_e32 v3, 0x78, v3
	ds_store_b64 v3, v[1:2]
.LBB431_8:
	s_or_b32 exec_lo, exec_lo, s6
	v_mov_b32_e32 v1, 0
	v_mov_b32_e32 v2, 0
	s_mov_b32 s6, exec_lo
	s_waitcnt lgkmcnt(0)
	s_barrier
	buffer_gl0_inv
	v_cmpx_gt_u32_e32 16, v0
	s_cbranch_execz .LBB431_10
; %bb.9:
	ds_load_b64 v[1:2], v5
.LBB431_10:
	s_or_b32 exec_lo, exec_lo, s6
	s_and_saveexec_b32 s2, vcc_lo
	s_cbranch_execz .LBB431_12
; %bb.11:
	s_waitcnt lgkmcnt(0)
	ds_bpermute_b32 v3, v6, v1
	ds_bpermute_b32 v4, v6, v2
	s_waitcnt lgkmcnt(0)
	v_add_f64 v[1:2], v[1:2], v[3:4]
	ds_bpermute_b32 v3, v7, v1
	ds_bpermute_b32 v4, v7, v2
	s_waitcnt lgkmcnt(0)
	v_add_f64 v[1:2], v[1:2], v[3:4]
	;; [unrolled: 4-line block ×4, first 2 shown]
.LBB431_12:
	s_or_b32 exec_lo, exec_lo, s2
	s_delay_alu instid0(SALU_CYCLE_1)
	s_mov_b32 s2, exec_lo
	v_cmpx_eq_u32_e32 0, v0
	s_cbranch_execz .LBB431_18
; %bb.13:
	s_cmp_lg_u32 s3, 1
	s_cbranch_scc0 .LBB431_15
; %bb.14:
	s_load_b64 s[6:7], s[0:1], 0x30
	s_mul_hi_u32 s9, s3, s4
	s_mul_i32 s8, s3, s4
	s_mov_b32 s15, 0
	s_lshl_b64 s[2:3], s[8:9], 3
	s_waitcnt lgkmcnt(0)
	s_add_u32 s6, s6, s2
	s_addc_u32 s7, s7, s3
	s_lshl_b64 s[2:3], s[14:15], 3
	s_delay_alu instid0(SALU_CYCLE_1)
	s_add_u32 s2, s6, s2
	s_addc_u32 s3, s7, s3
	s_cbranch_execz .LBB431_16
	s_branch .LBB431_17
.LBB431_15:
                                        ; implicit-def: $sgpr2_sgpr3
.LBB431_16:
	s_load_b64 s[0:1], s[0:1], 0x38
	s_lshl_b64 s[2:3], s[4:5], 3
	s_waitcnt lgkmcnt(0)
	s_add_u32 s2, s0, s2
	s_addc_u32 s3, s1, s3
.LBB431_17:
	v_mov_b32_e32 v0, 0
	s_waitcnt lgkmcnt(0)
	global_store_b64 v0, v[1:2], s[2:3]
.LBB431_18:
	s_nop 0
	s_sendmsg sendmsg(MSG_DEALLOC_VGPRS)
	s_endpgm
	.section	.rodata,"a",@progbits
	.p2align	6, 0x0
	.amdhsa_kernel _ZL24rocblas_dot_kernel_magsqIiLb0ELi512ELi2ELb0EdPKfdEviT5_lT_liPT6_PT4_
		.amdhsa_group_segment_fixed_size 256
		.amdhsa_private_segment_fixed_size 0
		.amdhsa_kernarg_size 320
		.amdhsa_user_sgpr_count 14
		.amdhsa_user_sgpr_dispatch_ptr 0
		.amdhsa_user_sgpr_queue_ptr 0
		.amdhsa_user_sgpr_kernarg_segment_ptr 1
		.amdhsa_user_sgpr_dispatch_id 0
		.amdhsa_user_sgpr_private_segment_size 0
		.amdhsa_wavefront_size32 1
		.amdhsa_uses_dynamic_stack 0
		.amdhsa_enable_private_segment 0
		.amdhsa_system_sgpr_workgroup_id_x 1
		.amdhsa_system_sgpr_workgroup_id_y 0
		.amdhsa_system_sgpr_workgroup_id_z 1
		.amdhsa_system_sgpr_workgroup_info 0
		.amdhsa_system_vgpr_workitem_id 0
		.amdhsa_next_free_vgpr 11
		.amdhsa_next_free_sgpr 16
		.amdhsa_reserve_vcc 1
		.amdhsa_float_round_mode_32 0
		.amdhsa_float_round_mode_16_64 0
		.amdhsa_float_denorm_mode_32 3
		.amdhsa_float_denorm_mode_16_64 3
		.amdhsa_dx10_clamp 1
		.amdhsa_ieee_mode 1
		.amdhsa_fp16_overflow 0
		.amdhsa_workgroup_processor_mode 1
		.amdhsa_memory_ordered 1
		.amdhsa_forward_progress 0
		.amdhsa_shared_vgpr_count 0
		.amdhsa_exception_fp_ieee_invalid_op 0
		.amdhsa_exception_fp_denorm_src 0
		.amdhsa_exception_fp_ieee_div_zero 0
		.amdhsa_exception_fp_ieee_overflow 0
		.amdhsa_exception_fp_ieee_underflow 0
		.amdhsa_exception_fp_ieee_inexact 0
		.amdhsa_exception_int_div_zero 0
	.end_amdhsa_kernel
	.section	.text._ZL24rocblas_dot_kernel_magsqIiLb0ELi512ELi2ELb0EdPKfdEviT5_lT_liPT6_PT4_,"axG",@progbits,_ZL24rocblas_dot_kernel_magsqIiLb0ELi512ELi2ELb0EdPKfdEviT5_lT_liPT6_PT4_,comdat
.Lfunc_end431:
	.size	_ZL24rocblas_dot_kernel_magsqIiLb0ELi512ELi2ELb0EdPKfdEviT5_lT_liPT6_PT4_, .Lfunc_end431-_ZL24rocblas_dot_kernel_magsqIiLb0ELi512ELi2ELb0EdPKfdEviT5_lT_liPT6_PT4_
                                        ; -- End function
	.section	.AMDGPU.csdata,"",@progbits
; Kernel info:
; codeLenInByte = 1016
; NumSgprs: 18
; NumVgprs: 11
; ScratchSize: 0
; MemoryBound: 0
; FloatMode: 240
; IeeeMode: 1
; LDSByteSize: 256 bytes/workgroup (compile time only)
; SGPRBlocks: 2
; VGPRBlocks: 1
; NumSGPRsForWavesPerEU: 18
; NumVGPRsForWavesPerEU: 11
; Occupancy: 16
; WaveLimiterHint : 0
; COMPUTE_PGM_RSRC2:SCRATCH_EN: 0
; COMPUTE_PGM_RSRC2:USER_SGPR: 14
; COMPUTE_PGM_RSRC2:TRAP_HANDLER: 0
; COMPUTE_PGM_RSRC2:TGID_X_EN: 1
; COMPUTE_PGM_RSRC2:TGID_Y_EN: 0
; COMPUTE_PGM_RSRC2:TGID_Z_EN: 1
; COMPUTE_PGM_RSRC2:TIDIG_COMP_CNT: 0
	.section	.text._ZL30rocblas_reduction_kernel_part2ILi512ELi2E25rocblas_finalize_identityddEviPT2_PT3_,"axG",@progbits,_ZL30rocblas_reduction_kernel_part2ILi512ELi2E25rocblas_finalize_identityddEviPT2_PT3_,comdat
	.globl	_ZL30rocblas_reduction_kernel_part2ILi512ELi2E25rocblas_finalize_identityddEviPT2_PT3_ ; -- Begin function _ZL30rocblas_reduction_kernel_part2ILi512ELi2E25rocblas_finalize_identityddEviPT2_PT3_
	.p2align	8
	.type	_ZL30rocblas_reduction_kernel_part2ILi512ELi2E25rocblas_finalize_identityddEviPT2_PT3_,@function
_ZL30rocblas_reduction_kernel_part2ILi512ELi2E25rocblas_finalize_identityddEviPT2_PT3_: ; @_ZL30rocblas_reduction_kernel_part2ILi512ELi2E25rocblas_finalize_identityddEviPT2_PT3_
; %bb.0:
	s_clause 0x1
	s_load_b32 s10, s[0:1], 0x0
	s_load_b128 s[4:7], s[0:1], 0x8
	v_mov_b32_e32 v1, 0
	v_dual_mov_b32 v2, 0 :: v_dual_lshlrev_b32 v5, 1, v0
	s_mov_b32 s2, s15
	s_mov_b32 s3, 0
	s_mov_b32 s11, exec_lo
	s_waitcnt lgkmcnt(0)
	s_ashr_i32 s0, s10, 31
	s_lshr_b32 s1, s10, 31
	s_mul_hi_u32 s8, s10, s15
	s_add_i32 s1, s10, s1
	s_mul_i32 s0, s0, s15
	s_and_b32 s1, s1, -2
	s_add_i32 s9, s8, s0
	s_mul_i32 s8, s10, s15
	v_cmpx_gt_i32_e64 s1, v5
	s_cbranch_execz .LBB432_4
; %bb.1:
	v_lshlrev_b32_e32 v1, 4, v0
	s_lshl_b64 s[12:13], s[8:9], 3
	s_delay_alu instid0(SALU_CYCLE_1) | instskip(SKIP_1) | instid1(VALU_DEP_1)
	s_add_u32 s0, s4, s12
	s_addc_u32 s12, s5, s13
	v_add_co_u32 v3, s0, s0, v1
	s_delay_alu instid0(VALU_DEP_1) | instskip(SKIP_1) | instid1(VALU_DEP_3)
	v_add_co_ci_u32_e64 v4, null, s12, 0, s0
	v_mov_b32_e32 v1, 0
	v_add_co_u32 v3, vcc_lo, v3, 8
	v_mov_b32_e32 v2, 0
	s_delay_alu instid0(VALU_DEP_4)
	v_add_co_ci_u32_e32 v4, vcc_lo, 0, v4, vcc_lo
	s_mov_b32 s12, s3
	.p2align	6
.LBB432_2:                              ; =>This Inner Loop Header: Depth=1
	global_load_b128 v[6:9], v[3:4], off offset:-8
	v_add_nc_u32_e32 v5, 0x400, v5
	v_add_co_u32 v3, s0, 0x2000, v3
	s_delay_alu instid0(VALU_DEP_1) | instskip(NEXT) | instid1(VALU_DEP_3)
	v_add_co_ci_u32_e64 v4, s0, 0, v4, s0
	v_cmp_le_i32_e32 vcc_lo, s1, v5
	s_or_b32 s12, vcc_lo, s12
	s_waitcnt vmcnt(0)
	v_add_f64 v[1:2], v[1:2], v[6:7]
	s_delay_alu instid0(VALU_DEP_1)
	v_add_f64 v[1:2], v[1:2], v[8:9]
	s_and_not1_b32 exec_lo, exec_lo, s12
	s_cbranch_execnz .LBB432_2
; %bb.3:
	s_or_b32 exec_lo, exec_lo, s12
.LBB432_4:
	s_delay_alu instid0(SALU_CYCLE_1) | instskip(SKIP_1) | instid1(SALU_CYCLE_1)
	s_or_b32 exec_lo, exec_lo, s11
	s_sub_i32 s0, s10, s1
	v_cmp_gt_u32_e32 vcc_lo, s0, v0
	s_and_saveexec_b32 s0, vcc_lo
	s_cbranch_execz .LBB432_6
; %bb.5:
	v_xad_u32 v3, v0, -1, s10
	v_mov_b32_e32 v4, 0
	s_lshl_b64 s[8:9], s[8:9], 3
	s_delay_alu instid0(SALU_CYCLE_1) | instskip(SKIP_1) | instid1(VALU_DEP_1)
	s_add_u32 s1, s4, s8
	s_addc_u32 s4, s5, s9
	v_lshlrev_b64 v[3:4], 3, v[3:4]
	s_delay_alu instid0(VALU_DEP_1) | instskip(NEXT) | instid1(VALU_DEP_2)
	v_add_co_u32 v3, vcc_lo, s1, v3
	v_add_co_ci_u32_e32 v4, vcc_lo, s4, v4, vcc_lo
	global_load_b64 v[3:4], v[3:4], off
	s_waitcnt vmcnt(0)
	v_add_f64 v[1:2], v[1:2], v[3:4]
.LBB432_6:
	s_or_b32 exec_lo, exec_lo, s0
	v_and_b32_e32 v10, 31, v0
	v_cmp_gt_u32_e32 vcc_lo, 32, v0
	s_delay_alu instid0(VALU_DEP_2)
	v_lshlrev_b32_e32 v5, 3, v10
	s_and_saveexec_b32 s0, vcc_lo
	s_cbranch_execz .LBB432_8
; %bb.7:
	v_mov_b32_e32 v3, 0
	s_delay_alu instid0(VALU_DEP_1)
	v_mov_b32_e32 v4, v3
	ds_store_b64 v5, v[3:4]
.LBB432_8:
	s_or_b32 exec_lo, exec_lo, s0
	v_mbcnt_lo_u32_b32 v9, -1, 0
	s_mov_b32 s1, exec_lo
	s_waitcnt lgkmcnt(0)
	s_barrier
	buffer_gl0_inv
	v_cmp_gt_u32_e64 s0, 16, v9
	s_delay_alu instid0(VALU_DEP_1) | instskip(SKIP_1) | instid1(VALU_DEP_2)
	v_cndmask_b32_e64 v3, 0, 1, s0
	v_cmp_gt_u32_e64 s0, 24, v9
	v_lshlrev_b32_e32 v3, 4, v3
	s_delay_alu instid0(VALU_DEP_1)
	v_add_lshl_u32 v4, v3, v9, 2
	ds_bpermute_b32 v3, v4, v1
	ds_bpermute_b32 v4, v4, v2
	s_waitcnt lgkmcnt(0)
	v_add_f64 v[1:2], v[1:2], v[3:4]
	v_cndmask_b32_e64 v3, 0, 1, s0
	v_cmp_gt_u32_e64 s0, 28, v9
	s_delay_alu instid0(VALU_DEP_2) | instskip(NEXT) | instid1(VALU_DEP_1)
	v_lshlrev_b32_e32 v3, 3, v3
	v_add_lshl_u32 v6, v3, v9, 2
	ds_bpermute_b32 v3, v6, v1
	ds_bpermute_b32 v4, v6, v2
	s_waitcnt lgkmcnt(0)
	v_add_f64 v[1:2], v[1:2], v[3:4]
	v_cndmask_b32_e64 v3, 0, 1, s0
	v_cmp_gt_u32_e64 s0, 30, v9
	s_delay_alu instid0(VALU_DEP_2) | instskip(NEXT) | instid1(VALU_DEP_1)
	v_lshlrev_b32_e32 v3, 2, v3
	v_add_lshl_u32 v7, v3, v9, 2
	ds_bpermute_b32 v3, v7, v1
	ds_bpermute_b32 v4, v7, v2
	s_waitcnt lgkmcnt(0)
	v_add_f64 v[1:2], v[1:2], v[3:4]
	v_cndmask_b32_e64 v3, 0, 1, s0
	v_cmp_ne_u32_e64 s0, 31, v9
	s_delay_alu instid0(VALU_DEP_2) | instskip(NEXT) | instid1(VALU_DEP_1)
	v_lshlrev_b32_e32 v3, 1, v3
	v_add_lshl_u32 v8, v3, v9, 2
	ds_bpermute_b32 v3, v8, v1
	ds_bpermute_b32 v4, v8, v2
	s_waitcnt lgkmcnt(0)
	v_add_f64 v[1:2], v[1:2], v[3:4]
	v_add_co_ci_u32_e64 v3, s0, 0, v9, s0
	s_delay_alu instid0(VALU_DEP_1)
	v_lshlrev_b32_e32 v9, 2, v3
	ds_bpermute_b32 v3, v9, v1
	ds_bpermute_b32 v4, v9, v2
	v_cmpx_eq_u32_e32 0, v10
	s_cbranch_execz .LBB432_10
; %bb.9:
	s_waitcnt lgkmcnt(0)
	v_add_f64 v[1:2], v[1:2], v[3:4]
	v_lshrrev_b32_e32 v3, 2, v0
	s_delay_alu instid0(VALU_DEP_1)
	v_and_b32_e32 v3, 0x78, v3
	ds_store_b64 v3, v[1:2]
.LBB432_10:
	s_or_b32 exec_lo, exec_lo, s1
	v_mov_b32_e32 v1, 0
	v_mov_b32_e32 v2, 0
	s_mov_b32 s1, exec_lo
	s_waitcnt lgkmcnt(0)
	s_barrier
	buffer_gl0_inv
	v_cmpx_gt_u32_e32 16, v0
	s_cbranch_execz .LBB432_12
; %bb.11:
	ds_load_b64 v[1:2], v5
.LBB432_12:
	s_or_b32 exec_lo, exec_lo, s1
	s_and_saveexec_b32 s0, vcc_lo
	s_cbranch_execz .LBB432_14
; %bb.13:
	s_waitcnt lgkmcnt(0)
	ds_bpermute_b32 v3, v6, v1
	ds_bpermute_b32 v4, v6, v2
	s_waitcnt lgkmcnt(0)
	v_add_f64 v[1:2], v[1:2], v[3:4]
	ds_bpermute_b32 v3, v7, v1
	ds_bpermute_b32 v4, v7, v2
	s_waitcnt lgkmcnt(0)
	v_add_f64 v[1:2], v[1:2], v[3:4]
	ds_bpermute_b32 v3, v8, v1
	ds_bpermute_b32 v4, v8, v2
	s_waitcnt lgkmcnt(0)
	v_add_f64 v[1:2], v[1:2], v[3:4]
	ds_bpermute_b32 v3, v9, v1
	ds_bpermute_b32 v4, v9, v2
	s_waitcnt lgkmcnt(0)
	v_add_f64 v[1:2], v[1:2], v[3:4]
.LBB432_14:
	s_or_b32 exec_lo, exec_lo, s0
	s_delay_alu instid0(SALU_CYCLE_1)
	s_mov_b32 s0, exec_lo
	v_cmpx_eq_u32_e32 0, v0
	s_cbranch_execz .LBB432_16
; %bb.15:
	s_lshl_b64 s[0:1], s[2:3], 3
	v_mov_b32_e32 v0, 0
	s_add_u32 s0, s6, s0
	s_addc_u32 s1, s7, s1
	s_waitcnt lgkmcnt(0)
	global_store_b64 v0, v[1:2], s[0:1]
.LBB432_16:
	s_nop 0
	s_sendmsg sendmsg(MSG_DEALLOC_VGPRS)
	s_endpgm
	.section	.rodata,"a",@progbits
	.p2align	6, 0x0
	.amdhsa_kernel _ZL30rocblas_reduction_kernel_part2ILi512ELi2E25rocblas_finalize_identityddEviPT2_PT3_
		.amdhsa_group_segment_fixed_size 256
		.amdhsa_private_segment_fixed_size 0
		.amdhsa_kernarg_size 24
		.amdhsa_user_sgpr_count 15
		.amdhsa_user_sgpr_dispatch_ptr 0
		.amdhsa_user_sgpr_queue_ptr 0
		.amdhsa_user_sgpr_kernarg_segment_ptr 1
		.amdhsa_user_sgpr_dispatch_id 0
		.amdhsa_user_sgpr_private_segment_size 0
		.amdhsa_wavefront_size32 1
		.amdhsa_uses_dynamic_stack 0
		.amdhsa_enable_private_segment 0
		.amdhsa_system_sgpr_workgroup_id_x 1
		.amdhsa_system_sgpr_workgroup_id_y 0
		.amdhsa_system_sgpr_workgroup_id_z 0
		.amdhsa_system_sgpr_workgroup_info 0
		.amdhsa_system_vgpr_workitem_id 0
		.amdhsa_next_free_vgpr 11
		.amdhsa_next_free_sgpr 16
		.amdhsa_reserve_vcc 1
		.amdhsa_float_round_mode_32 0
		.amdhsa_float_round_mode_16_64 0
		.amdhsa_float_denorm_mode_32 3
		.amdhsa_float_denorm_mode_16_64 3
		.amdhsa_dx10_clamp 1
		.amdhsa_ieee_mode 1
		.amdhsa_fp16_overflow 0
		.amdhsa_workgroup_processor_mode 1
		.amdhsa_memory_ordered 1
		.amdhsa_forward_progress 0
		.amdhsa_shared_vgpr_count 0
		.amdhsa_exception_fp_ieee_invalid_op 0
		.amdhsa_exception_fp_denorm_src 0
		.amdhsa_exception_fp_ieee_div_zero 0
		.amdhsa_exception_fp_ieee_overflow 0
		.amdhsa_exception_fp_ieee_underflow 0
		.amdhsa_exception_fp_ieee_inexact 0
		.amdhsa_exception_int_div_zero 0
	.end_amdhsa_kernel
	.section	.text._ZL30rocblas_reduction_kernel_part2ILi512ELi2E25rocblas_finalize_identityddEviPT2_PT3_,"axG",@progbits,_ZL30rocblas_reduction_kernel_part2ILi512ELi2E25rocblas_finalize_identityddEviPT2_PT3_,comdat
.Lfunc_end432:
	.size	_ZL30rocblas_reduction_kernel_part2ILi512ELi2E25rocblas_finalize_identityddEviPT2_PT3_, .Lfunc_end432-_ZL30rocblas_reduction_kernel_part2ILi512ELi2E25rocblas_finalize_identityddEviPT2_PT3_
                                        ; -- End function
	.section	.AMDGPU.csdata,"",@progbits
; Kernel info:
; codeLenInByte = 984
; NumSgprs: 18
; NumVgprs: 11
; ScratchSize: 0
; MemoryBound: 0
; FloatMode: 240
; IeeeMode: 1
; LDSByteSize: 256 bytes/workgroup (compile time only)
; SGPRBlocks: 2
; VGPRBlocks: 1
; NumSGPRsForWavesPerEU: 18
; NumVGPRsForWavesPerEU: 11
; Occupancy: 16
; WaveLimiterHint : 0
; COMPUTE_PGM_RSRC2:SCRATCH_EN: 0
; COMPUTE_PGM_RSRC2:USER_SGPR: 15
; COMPUTE_PGM_RSRC2:TRAP_HANDLER: 0
; COMPUTE_PGM_RSRC2:TGID_X_EN: 1
; COMPUTE_PGM_RSRC2:TGID_Y_EN: 0
; COMPUTE_PGM_RSRC2:TGID_Z_EN: 0
; COMPUTE_PGM_RSRC2:TIDIG_COMP_CNT: 0
	.section	.text._ZL28rocblas_dot_batched_4_kernelIlLi32ELi4ELb0EddPKfEviT5_lT_lS2_lS3_liPT4_,"axG",@progbits,_ZL28rocblas_dot_batched_4_kernelIlLi32ELi4ELb0EddPKfEviT5_lT_lS2_lS3_liPT4_,comdat
	.globl	_ZL28rocblas_dot_batched_4_kernelIlLi32ELi4ELb0EddPKfEviT5_lT_lS2_lS3_liPT4_ ; -- Begin function _ZL28rocblas_dot_batched_4_kernelIlLi32ELi4ELb0EddPKfEviT5_lT_lS2_lS3_liPT4_
	.p2align	8
	.type	_ZL28rocblas_dot_batched_4_kernelIlLi32ELi4ELb0EddPKfEviT5_lT_lS2_lS3_liPT4_,@function
_ZL28rocblas_dot_batched_4_kernelIlLi32ELi4ELb0EddPKfEviT5_lT_lS2_lS3_liPT4_: ; @_ZL28rocblas_dot_batched_4_kernelIlLi32ELi4ELb0EddPKfEviT5_lT_lS2_lS3_liPT4_
; %bb.0:
	s_load_b32 s2, s[0:1], 0x48
	v_bfe_u32 v1, v0, 10, 10
	s_delay_alu instid0(VALU_DEP_1) | instskip(SKIP_1) | instid1(VALU_DEP_1)
	v_lshl_add_u32 v1, s15, 2, v1
	s_waitcnt lgkmcnt(0)
	v_cmp_gt_u32_e32 vcc_lo, s2, v1
	s_and_saveexec_b32 s2, vcc_lo
	s_cbranch_execz .LBB433_7
; %bb.1:
	s_clause 0x1
	s_load_b32 s16, s[0:1], 0x0
	s_load_b64 s[2:3], s[0:1], 0x50
	v_dual_mov_b32 v3, 0 :: v_dual_and_b32 v0, 0x3ff, v0
	v_mov_b32_e32 v2, 0
	v_mov_b32_e32 v4, 0
	s_mov_b32 s17, exec_lo
	s_waitcnt lgkmcnt(0)
	v_cmpx_gt_i32_e64 s16, v0
	s_cbranch_execz .LBB433_5
; %bb.2:
	s_clause 0x3
	s_load_b128 s[12:15], s[0:1], 0x10
	s_load_b256 s[4:11], s[0:1], 0x20
	s_load_b64 s[18:19], s[0:1], 0x40
	s_load_b64 s[0:1], s[0:1], 0x8
	s_waitcnt lgkmcnt(0)
	v_mad_u64_u32 v[5:6], null, s14, v0, 0
	v_mad_u64_u32 v[7:8], null, s4, v1, 0
	;; [unrolled: 1-line block ×4, first 2 shown]
	s_lshl_b64 s[12:13], s[12:13], 2
	s_delay_alu instid0(VALU_DEP_3) | instskip(NEXT) | instid1(VALU_DEP_3)
	v_mad_u64_u32 v[13:14], null, s15, v0, v[6:7]
	v_mad_u64_u32 v[14:15], null, s5, v1, v[8:9]
	s_delay_alu instid0(VALU_DEP_3) | instskip(SKIP_2) | instid1(VALU_DEP_4)
	v_mad_u64_u32 v[15:16], null, s11, v0, v[10:11]
	v_mov_b32_e32 v3, 0
	s_add_u32 s12, s0, s12
	v_mov_b32_e32 v6, v13
	v_mad_u64_u32 v[16:17], null, s19, v1, v[12:13]
	v_mov_b32_e32 v8, v14
	v_mov_b32_e32 v10, v15
	s_delay_alu instid0(VALU_DEP_4)
	v_lshlrev_b64 v[5:6], 2, v[5:6]
	s_addc_u32 s13, s1, s13
	s_lshl_b64 s[0:1], s[8:9], 2
	v_lshlrev_b64 v[7:8], 2, v[7:8]
	v_mov_b32_e32 v12, v16
	v_lshlrev_b64 v[9:10], 2, v[9:10]
	s_lshl_b64 s[4:5], s[14:15], 7
	s_add_u32 s0, s6, s0
	s_addc_u32 s1, s7, s1
	v_lshlrev_b64 v[11:12], 2, v[11:12]
	v_add_co_u32 v5, vcc_lo, v5, v7
	v_add_co_ci_u32_e32 v6, vcc_lo, v6, v8, vcc_lo
	v_mov_b32_e32 v4, 0
	s_delay_alu instid0(VALU_DEP_4)
	v_add_co_u32 v7, vcc_lo, v9, v11
	v_mov_b32_e32 v9, v0
	v_add_co_ci_u32_e32 v8, vcc_lo, v10, v12, vcc_lo
	v_add_co_u32 v5, vcc_lo, s12, v5
	v_add_co_ci_u32_e32 v6, vcc_lo, s13, v6, vcc_lo
	v_add_co_u32 v7, vcc_lo, s0, v7
	s_delay_alu instid0(VALU_DEP_4)
	v_add_co_ci_u32_e32 v8, vcc_lo, s1, v8, vcc_lo
	s_lshl_b64 s[6:7], s[10:11], 7
	s_mov_b32 s1, 0
	.p2align	6
.LBB433_3:                              ; =>This Inner Loop Header: Depth=1
	global_load_b32 v10, v[5:6], off
	global_load_b32 v12, v[7:8], off
	v_add_nc_u32_e32 v9, 32, v9
	v_add_co_u32 v5, vcc_lo, v5, s4
	v_add_co_ci_u32_e32 v6, vcc_lo, s5, v6, vcc_lo
	s_delay_alu instid0(VALU_DEP_3) | instskip(SKIP_1) | instid1(VALU_DEP_1)
	v_cmp_le_i32_e32 vcc_lo, s16, v9
	v_add_co_u32 v7, s0, v7, s6
	v_add_co_ci_u32_e64 v8, s0, s7, v8, s0
	s_or_b32 s1, vcc_lo, s1
	s_waitcnt vmcnt(1)
	v_cvt_f64_f32_e32 v[10:11], v10
	s_waitcnt vmcnt(0)
	v_cvt_f64_f32_e32 v[12:13], v12
	s_delay_alu instid0(VALU_DEP_1)
	v_fma_f64 v[3:4], v[10:11], v[12:13], v[3:4]
	s_and_not1_b32 exec_lo, exec_lo, s1
	s_cbranch_execnz .LBB433_3
; %bb.4:
	s_or_b32 exec_lo, exec_lo, s1
.LBB433_5:
	s_delay_alu instid0(SALU_CYCLE_1)
	s_or_b32 exec_lo, exec_lo, s17
	v_mbcnt_lo_u32_b32 v7, -1, 0
	s_barrier
	buffer_gl0_inv
	v_cmp_gt_u32_e32 vcc_lo, 16, v7
	v_cndmask_b32_e64 v5, 0, 1, vcc_lo
	v_cmp_gt_u32_e32 vcc_lo, 24, v7
	s_delay_alu instid0(VALU_DEP_2) | instskip(NEXT) | instid1(VALU_DEP_1)
	v_lshlrev_b32_e32 v5, 4, v5
	v_add_lshl_u32 v6, v5, v7, 2
	ds_bpermute_b32 v5, v6, v3
	ds_bpermute_b32 v6, v6, v4
	s_waitcnt lgkmcnt(0)
	v_add_f64 v[3:4], v[3:4], v[5:6]
	v_cndmask_b32_e64 v5, 0, 1, vcc_lo
	v_cmp_gt_u32_e32 vcc_lo, 28, v7
	s_delay_alu instid0(VALU_DEP_2) | instskip(NEXT) | instid1(VALU_DEP_1)
	v_lshlrev_b32_e32 v5, 3, v5
	v_add_lshl_u32 v6, v5, v7, 2
	ds_bpermute_b32 v5, v6, v3
	ds_bpermute_b32 v6, v6, v4
	s_waitcnt lgkmcnt(0)
	v_add_f64 v[3:4], v[3:4], v[5:6]
	;; [unrolled: 9-line block ×3, first 2 shown]
	v_cndmask_b32_e64 v5, 0, 1, vcc_lo
	v_cmp_ne_u32_e32 vcc_lo, 31, v7
	s_delay_alu instid0(VALU_DEP_2) | instskip(NEXT) | instid1(VALU_DEP_1)
	v_lshlrev_b32_e32 v5, 1, v5
	v_add_lshl_u32 v6, v5, v7, 2
	ds_bpermute_b32 v5, v6, v3
	ds_bpermute_b32 v6, v6, v4
	s_waitcnt lgkmcnt(0)
	v_add_f64 v[3:4], v[3:4], v[5:6]
	v_add_co_ci_u32_e32 v5, vcc_lo, 0, v7, vcc_lo
	v_cmp_eq_u32_e32 vcc_lo, 0, v0
	s_delay_alu instid0(VALU_DEP_2)
	v_lshlrev_b32_e32 v6, 2, v5
	ds_bpermute_b32 v5, v6, v3
	ds_bpermute_b32 v6, v6, v4
	s_and_b32 exec_lo, exec_lo, vcc_lo
	s_cbranch_execz .LBB433_7
; %bb.6:
	s_waitcnt lgkmcnt(0)
	v_add_f64 v[3:4], v[3:4], v[5:6]
	v_lshlrev_b64 v[0:1], 3, v[1:2]
	s_delay_alu instid0(VALU_DEP_1) | instskip(NEXT) | instid1(VALU_DEP_2)
	v_add_co_u32 v0, vcc_lo, s2, v0
	v_add_co_ci_u32_e32 v1, vcc_lo, s3, v1, vcc_lo
	global_store_b64 v[0:1], v[3:4], off
.LBB433_7:
	s_nop 0
	s_sendmsg sendmsg(MSG_DEALLOC_VGPRS)
	s_endpgm
	.section	.rodata,"a",@progbits
	.p2align	6, 0x0
	.amdhsa_kernel _ZL28rocblas_dot_batched_4_kernelIlLi32ELi4ELb0EddPKfEviT5_lT_lS2_lS3_liPT4_
		.amdhsa_group_segment_fixed_size 0
		.amdhsa_private_segment_fixed_size 0
		.amdhsa_kernarg_size 88
		.amdhsa_user_sgpr_count 15
		.amdhsa_user_sgpr_dispatch_ptr 0
		.amdhsa_user_sgpr_queue_ptr 0
		.amdhsa_user_sgpr_kernarg_segment_ptr 1
		.amdhsa_user_sgpr_dispatch_id 0
		.amdhsa_user_sgpr_private_segment_size 0
		.amdhsa_wavefront_size32 1
		.amdhsa_uses_dynamic_stack 0
		.amdhsa_enable_private_segment 0
		.amdhsa_system_sgpr_workgroup_id_x 1
		.amdhsa_system_sgpr_workgroup_id_y 0
		.amdhsa_system_sgpr_workgroup_id_z 0
		.amdhsa_system_sgpr_workgroup_info 0
		.amdhsa_system_vgpr_workitem_id 1
		.amdhsa_next_free_vgpr 18
		.amdhsa_next_free_sgpr 20
		.amdhsa_reserve_vcc 1
		.amdhsa_float_round_mode_32 0
		.amdhsa_float_round_mode_16_64 0
		.amdhsa_float_denorm_mode_32 3
		.amdhsa_float_denorm_mode_16_64 3
		.amdhsa_dx10_clamp 1
		.amdhsa_ieee_mode 1
		.amdhsa_fp16_overflow 0
		.amdhsa_workgroup_processor_mode 1
		.amdhsa_memory_ordered 1
		.amdhsa_forward_progress 0
		.amdhsa_shared_vgpr_count 0
		.amdhsa_exception_fp_ieee_invalid_op 0
		.amdhsa_exception_fp_denorm_src 0
		.amdhsa_exception_fp_ieee_div_zero 0
		.amdhsa_exception_fp_ieee_overflow 0
		.amdhsa_exception_fp_ieee_underflow 0
		.amdhsa_exception_fp_ieee_inexact 0
		.amdhsa_exception_int_div_zero 0
	.end_amdhsa_kernel
	.section	.text._ZL28rocblas_dot_batched_4_kernelIlLi32ELi4ELb0EddPKfEviT5_lT_lS2_lS3_liPT4_,"axG",@progbits,_ZL28rocblas_dot_batched_4_kernelIlLi32ELi4ELb0EddPKfEviT5_lT_lS2_lS3_liPT4_,comdat
.Lfunc_end433:
	.size	_ZL28rocblas_dot_batched_4_kernelIlLi32ELi4ELb0EddPKfEviT5_lT_lS2_lS3_liPT4_, .Lfunc_end433-_ZL28rocblas_dot_batched_4_kernelIlLi32ELi4ELb0EddPKfEviT5_lT_lS2_lS3_liPT4_
                                        ; -- End function
	.section	.AMDGPU.csdata,"",@progbits
; Kernel info:
; codeLenInByte = 824
; NumSgprs: 22
; NumVgprs: 18
; ScratchSize: 0
; MemoryBound: 0
; FloatMode: 240
; IeeeMode: 1
; LDSByteSize: 0 bytes/workgroup (compile time only)
; SGPRBlocks: 2
; VGPRBlocks: 2
; NumSGPRsForWavesPerEU: 22
; NumVGPRsForWavesPerEU: 18
; Occupancy: 16
; WaveLimiterHint : 0
; COMPUTE_PGM_RSRC2:SCRATCH_EN: 0
; COMPUTE_PGM_RSRC2:USER_SGPR: 15
; COMPUTE_PGM_RSRC2:TRAP_HANDLER: 0
; COMPUTE_PGM_RSRC2:TGID_X_EN: 1
; COMPUTE_PGM_RSRC2:TGID_Y_EN: 0
; COMPUTE_PGM_RSRC2:TGID_Z_EN: 0
; COMPUTE_PGM_RSRC2:TIDIG_COMP_CNT: 1
	.section	.text._ZL28rocblas_dot_batched_4_kernelIlLi64ELi4ELb0EddPKfEviT5_lT_lS2_lS3_liPT4_,"axG",@progbits,_ZL28rocblas_dot_batched_4_kernelIlLi64ELi4ELb0EddPKfEviT5_lT_lS2_lS3_liPT4_,comdat
	.globl	_ZL28rocblas_dot_batched_4_kernelIlLi64ELi4ELb0EddPKfEviT5_lT_lS2_lS3_liPT4_ ; -- Begin function _ZL28rocblas_dot_batched_4_kernelIlLi64ELi4ELb0EddPKfEviT5_lT_lS2_lS3_liPT4_
	.p2align	8
	.type	_ZL28rocblas_dot_batched_4_kernelIlLi64ELi4ELb0EddPKfEviT5_lT_lS2_lS3_liPT4_,@function
_ZL28rocblas_dot_batched_4_kernelIlLi64ELi4ELb0EddPKfEviT5_lT_lS2_lS3_liPT4_: ; @_ZL28rocblas_dot_batched_4_kernelIlLi64ELi4ELb0EddPKfEviT5_lT_lS2_lS3_liPT4_
; %bb.0:
	s_load_b32 s2, s[0:1], 0x48
	v_bfe_u32 v1, v0, 10, 10
	s_delay_alu instid0(VALU_DEP_1) | instskip(SKIP_1) | instid1(VALU_DEP_1)
	v_lshl_add_u32 v1, s15, 2, v1
	s_waitcnt lgkmcnt(0)
	v_cmp_gt_u32_e32 vcc_lo, s2, v1
	s_and_saveexec_b32 s2, vcc_lo
	s_cbranch_execz .LBB434_7
; %bb.1:
	s_clause 0x1
	s_load_b32 s16, s[0:1], 0x0
	s_load_b64 s[2:3], s[0:1], 0x50
	v_dual_mov_b32 v3, 0 :: v_dual_and_b32 v0, 0x3ff, v0
	v_mov_b32_e32 v2, 0
	v_mov_b32_e32 v4, 0
	s_mov_b32 s17, exec_lo
	s_waitcnt lgkmcnt(0)
	v_cmpx_gt_i32_e64 s16, v0
	s_cbranch_execz .LBB434_5
; %bb.2:
	s_clause 0x3
	s_load_b128 s[12:15], s[0:1], 0x10
	s_load_b256 s[4:11], s[0:1], 0x20
	s_load_b64 s[18:19], s[0:1], 0x40
	s_load_b64 s[0:1], s[0:1], 0x8
	s_waitcnt lgkmcnt(0)
	v_mad_u64_u32 v[5:6], null, s14, v0, 0
	v_mad_u64_u32 v[7:8], null, s4, v1, 0
	;; [unrolled: 1-line block ×4, first 2 shown]
	s_lshl_b64 s[12:13], s[12:13], 2
	s_delay_alu instid0(VALU_DEP_3) | instskip(NEXT) | instid1(VALU_DEP_3)
	v_mad_u64_u32 v[13:14], null, s15, v0, v[6:7]
	v_mad_u64_u32 v[14:15], null, s5, v1, v[8:9]
	s_delay_alu instid0(VALU_DEP_3) | instskip(SKIP_2) | instid1(VALU_DEP_4)
	v_mad_u64_u32 v[15:16], null, s11, v0, v[10:11]
	v_mov_b32_e32 v3, 0
	s_add_u32 s12, s0, s12
	v_mov_b32_e32 v6, v13
	v_mad_u64_u32 v[16:17], null, s19, v1, v[12:13]
	v_mov_b32_e32 v8, v14
	v_mov_b32_e32 v10, v15
	s_delay_alu instid0(VALU_DEP_4)
	v_lshlrev_b64 v[5:6], 2, v[5:6]
	s_addc_u32 s13, s1, s13
	s_lshl_b64 s[0:1], s[8:9], 2
	v_lshlrev_b64 v[7:8], 2, v[7:8]
	v_mov_b32_e32 v12, v16
	v_lshlrev_b64 v[9:10], 2, v[9:10]
	s_lshl_b64 s[4:5], s[14:15], 8
	s_add_u32 s0, s6, s0
	s_addc_u32 s1, s7, s1
	v_lshlrev_b64 v[11:12], 2, v[11:12]
	v_add_co_u32 v5, vcc_lo, v5, v7
	v_add_co_ci_u32_e32 v6, vcc_lo, v6, v8, vcc_lo
	v_mov_b32_e32 v4, 0
	s_delay_alu instid0(VALU_DEP_4)
	v_add_co_u32 v7, vcc_lo, v9, v11
	v_mov_b32_e32 v9, v0
	v_add_co_ci_u32_e32 v8, vcc_lo, v10, v12, vcc_lo
	v_add_co_u32 v5, vcc_lo, s12, v5
	v_add_co_ci_u32_e32 v6, vcc_lo, s13, v6, vcc_lo
	v_add_co_u32 v7, vcc_lo, s0, v7
	s_delay_alu instid0(VALU_DEP_4)
	v_add_co_ci_u32_e32 v8, vcc_lo, s1, v8, vcc_lo
	s_lshl_b64 s[6:7], s[10:11], 8
	s_mov_b32 s1, 0
	.p2align	6
.LBB434_3:                              ; =>This Inner Loop Header: Depth=1
	global_load_b32 v10, v[5:6], off
	global_load_b32 v12, v[7:8], off
	v_add_nc_u32_e32 v9, 64, v9
	v_add_co_u32 v5, vcc_lo, v5, s4
	v_add_co_ci_u32_e32 v6, vcc_lo, s5, v6, vcc_lo
	s_delay_alu instid0(VALU_DEP_3) | instskip(SKIP_1) | instid1(VALU_DEP_1)
	v_cmp_le_i32_e32 vcc_lo, s16, v9
	v_add_co_u32 v7, s0, v7, s6
	v_add_co_ci_u32_e64 v8, s0, s7, v8, s0
	s_or_b32 s1, vcc_lo, s1
	s_waitcnt vmcnt(1)
	v_cvt_f64_f32_e32 v[10:11], v10
	s_waitcnt vmcnt(0)
	v_cvt_f64_f32_e32 v[12:13], v12
	s_delay_alu instid0(VALU_DEP_1)
	v_fma_f64 v[3:4], v[10:11], v[12:13], v[3:4]
	s_and_not1_b32 exec_lo, exec_lo, s1
	s_cbranch_execnz .LBB434_3
; %bb.4:
	s_or_b32 exec_lo, exec_lo, s1
.LBB434_5:
	s_delay_alu instid0(SALU_CYCLE_1)
	s_or_b32 exec_lo, exec_lo, s17
	v_mbcnt_lo_u32_b32 v7, -1, 0
	s_barrier
	buffer_gl0_inv
	v_lshlrev_b32_e32 v6, 2, v7
	v_cmp_gt_u32_e32 vcc_lo, 16, v7
	ds_bpermute_b32 v5, v6, v3
	ds_bpermute_b32 v6, v6, v4
	s_waitcnt lgkmcnt(0)
	v_add_f64 v[3:4], v[3:4], v[5:6]
	v_cndmask_b32_e64 v5, 0, 1, vcc_lo
	v_cmp_gt_u32_e32 vcc_lo, 24, v7
	s_delay_alu instid0(VALU_DEP_2) | instskip(NEXT) | instid1(VALU_DEP_1)
	v_lshlrev_b32_e32 v5, 4, v5
	v_add_lshl_u32 v6, v5, v7, 2
	ds_bpermute_b32 v5, v6, v3
	ds_bpermute_b32 v6, v6, v4
	s_waitcnt lgkmcnt(0)
	v_add_f64 v[3:4], v[3:4], v[5:6]
	v_cndmask_b32_e64 v5, 0, 1, vcc_lo
	v_cmp_gt_u32_e32 vcc_lo, 28, v7
	s_delay_alu instid0(VALU_DEP_2) | instskip(NEXT) | instid1(VALU_DEP_1)
	v_lshlrev_b32_e32 v5, 3, v5
	v_add_lshl_u32 v6, v5, v7, 2
	;; [unrolled: 9-line block ×3, first 2 shown]
	ds_bpermute_b32 v5, v6, v3
	ds_bpermute_b32 v6, v6, v4
	s_waitcnt lgkmcnt(0)
	v_add_f64 v[3:4], v[3:4], v[5:6]
	v_cndmask_b32_e64 v5, 0, 1, vcc_lo
	v_cmp_ne_u32_e32 vcc_lo, 31, v7
	s_delay_alu instid0(VALU_DEP_2) | instskip(NEXT) | instid1(VALU_DEP_1)
	v_lshlrev_b32_e32 v5, 1, v5
	v_add_lshl_u32 v6, v5, v7, 2
	ds_bpermute_b32 v5, v6, v3
	ds_bpermute_b32 v6, v6, v4
	s_waitcnt lgkmcnt(0)
	v_add_f64 v[3:4], v[3:4], v[5:6]
	v_add_co_ci_u32_e32 v5, vcc_lo, 0, v7, vcc_lo
	v_cmp_eq_u32_e32 vcc_lo, 0, v0
	s_delay_alu instid0(VALU_DEP_2)
	v_lshlrev_b32_e32 v6, 2, v5
	ds_bpermute_b32 v5, v6, v3
	ds_bpermute_b32 v6, v6, v4
	s_and_b32 exec_lo, exec_lo, vcc_lo
	s_cbranch_execz .LBB434_7
; %bb.6:
	s_waitcnt lgkmcnt(0)
	v_add_f64 v[3:4], v[3:4], v[5:6]
	v_lshlrev_b64 v[0:1], 3, v[1:2]
	s_delay_alu instid0(VALU_DEP_1) | instskip(NEXT) | instid1(VALU_DEP_2)
	v_add_co_u32 v0, vcc_lo, s2, v0
	v_add_co_ci_u32_e32 v1, vcc_lo, s3, v1, vcc_lo
	global_store_b64 v[0:1], v[3:4], off
.LBB434_7:
	s_nop 0
	s_sendmsg sendmsg(MSG_DEALLOC_VGPRS)
	s_endpgm
	.section	.rodata,"a",@progbits
	.p2align	6, 0x0
	.amdhsa_kernel _ZL28rocblas_dot_batched_4_kernelIlLi64ELi4ELb0EddPKfEviT5_lT_lS2_lS3_liPT4_
		.amdhsa_group_segment_fixed_size 0
		.amdhsa_private_segment_fixed_size 0
		.amdhsa_kernarg_size 88
		.amdhsa_user_sgpr_count 15
		.amdhsa_user_sgpr_dispatch_ptr 0
		.amdhsa_user_sgpr_queue_ptr 0
		.amdhsa_user_sgpr_kernarg_segment_ptr 1
		.amdhsa_user_sgpr_dispatch_id 0
		.amdhsa_user_sgpr_private_segment_size 0
		.amdhsa_wavefront_size32 1
		.amdhsa_uses_dynamic_stack 0
		.amdhsa_enable_private_segment 0
		.amdhsa_system_sgpr_workgroup_id_x 1
		.amdhsa_system_sgpr_workgroup_id_y 0
		.amdhsa_system_sgpr_workgroup_id_z 0
		.amdhsa_system_sgpr_workgroup_info 0
		.amdhsa_system_vgpr_workitem_id 1
		.amdhsa_next_free_vgpr 18
		.amdhsa_next_free_sgpr 20
		.amdhsa_reserve_vcc 1
		.amdhsa_float_round_mode_32 0
		.amdhsa_float_round_mode_16_64 0
		.amdhsa_float_denorm_mode_32 3
		.amdhsa_float_denorm_mode_16_64 3
		.amdhsa_dx10_clamp 1
		.amdhsa_ieee_mode 1
		.amdhsa_fp16_overflow 0
		.amdhsa_workgroup_processor_mode 1
		.amdhsa_memory_ordered 1
		.amdhsa_forward_progress 0
		.amdhsa_shared_vgpr_count 0
		.amdhsa_exception_fp_ieee_invalid_op 0
		.amdhsa_exception_fp_denorm_src 0
		.amdhsa_exception_fp_ieee_div_zero 0
		.amdhsa_exception_fp_ieee_overflow 0
		.amdhsa_exception_fp_ieee_underflow 0
		.amdhsa_exception_fp_ieee_inexact 0
		.amdhsa_exception_int_div_zero 0
	.end_amdhsa_kernel
	.section	.text._ZL28rocblas_dot_batched_4_kernelIlLi64ELi4ELb0EddPKfEviT5_lT_lS2_lS3_liPT4_,"axG",@progbits,_ZL28rocblas_dot_batched_4_kernelIlLi64ELi4ELb0EddPKfEviT5_lT_lS2_lS3_liPT4_,comdat
.Lfunc_end434:
	.size	_ZL28rocblas_dot_batched_4_kernelIlLi64ELi4ELb0EddPKfEviT5_lT_lS2_lS3_liPT4_, .Lfunc_end434-_ZL28rocblas_dot_batched_4_kernelIlLi64ELi4ELb0EddPKfEviT5_lT_lS2_lS3_liPT4_
                                        ; -- End function
	.section	.AMDGPU.csdata,"",@progbits
; Kernel info:
; codeLenInByte = 856
; NumSgprs: 22
; NumVgprs: 18
; ScratchSize: 0
; MemoryBound: 0
; FloatMode: 240
; IeeeMode: 1
; LDSByteSize: 0 bytes/workgroup (compile time only)
; SGPRBlocks: 2
; VGPRBlocks: 2
; NumSGPRsForWavesPerEU: 22
; NumVGPRsForWavesPerEU: 18
; Occupancy: 16
; WaveLimiterHint : 0
; COMPUTE_PGM_RSRC2:SCRATCH_EN: 0
; COMPUTE_PGM_RSRC2:USER_SGPR: 15
; COMPUTE_PGM_RSRC2:TRAP_HANDLER: 0
; COMPUTE_PGM_RSRC2:TGID_X_EN: 1
; COMPUTE_PGM_RSRC2:TGID_Y_EN: 0
; COMPUTE_PGM_RSRC2:TGID_Z_EN: 0
; COMPUTE_PGM_RSRC2:TIDIG_COMP_CNT: 1
	.section	.text._ZL18rocblas_dot_kernelIlLb1ELi1024ELi32ELb0EdPKfdEviT5_lT_lS2_lS3_liPT6_PT4_,"axG",@progbits,_ZL18rocblas_dot_kernelIlLb1ELi1024ELi32ELb0EdPKfdEviT5_lT_lS2_lS3_liPT6_PT4_,comdat
	.globl	_ZL18rocblas_dot_kernelIlLb1ELi1024ELi32ELb0EdPKfdEviT5_lT_lS2_lS3_liPT6_PT4_ ; -- Begin function _ZL18rocblas_dot_kernelIlLb1ELi1024ELi32ELb0EdPKfdEviT5_lT_lS2_lS3_liPT6_PT4_
	.p2align	8
	.type	_ZL18rocblas_dot_kernelIlLb1ELi1024ELi32ELb0EdPKfdEviT5_lT_lS2_lS3_liPT6_PT4_,@function
_ZL18rocblas_dot_kernelIlLb1ELi1024ELi32ELb0EdPKfdEviT5_lT_lS2_lS3_liPT6_PT4_: ; @_ZL18rocblas_dot_kernelIlLb1ELi1024ELi32ELb0EdPKfdEviT5_lT_lS2_lS3_liPT6_PT4_
; %bb.0:
	s_clause 0x1
	s_load_b32 s18, s[0:1], 0x0
	s_load_b64 s[2:3], s[0:1], 0x58
	v_mov_b32_e32 v1, 0
	v_mov_b32_e32 v2, 0
	s_mov_b32 s16, s15
	s_mov_b32 s17, 0
	s_mov_b32 s19, exec_lo
	s_waitcnt lgkmcnt(0)
	v_cmpx_gt_i32_e64 s18, v0
	s_cbranch_execz .LBB435_4
; %bb.1:
	s_clause 0x4
	s_load_b32 s24, s[0:1], 0x60
	s_load_b256 s[4:11], s[0:1], 0x20
	s_load_b128 s[12:15], s[0:1], 0x10
	s_load_b64 s[20:21], s[0:1], 0x40
	s_load_b64 s[22:23], s[0:1], 0x8
	s_waitcnt lgkmcnt(0)
	s_lshl_b32 s1, s24, 10
	v_mad_u64_u32 v[3:4], null, s10, v0, 0
	v_mad_u64_u32 v[1:2], null, s14, v0, 0
	s_mul_i32 s0, s5, s16
	s_mul_hi_u32 s5, s4, s16
	s_mul_i32 s4, s4, s16
	s_add_i32 s5, s5, s0
	s_lshl_b64 s[12:13], s[12:13], 2
	s_lshl_b64 s[4:5], s[4:5], 2
	s_delay_alu instid0(VALU_DEP_1)
	v_mad_u64_u32 v[5:6], null, s15, v0, v[2:3]
	s_add_u32 s12, s22, s12
	s_addc_u32 s13, s23, s13
	s_add_u32 s22, s12, s4
	s_addc_u32 s23, s13, s5
	s_ashr_i32 s27, s1, 31
	s_mul_hi_u32 s0, s14, s1
	s_delay_alu instid0(VALU_DEP_1)
	v_mad_u64_u32 v[8:9], null, s11, v0, v[4:5]
	v_mov_b32_e32 v2, v5
	s_mul_i32 s4, s14, s27
	s_mul_i32 s21, s21, s16
	s_mul_hi_u32 s25, s20, s16
	s_mul_i32 s26, s15, s1
	s_add_i32 s0, s0, s4
	s_delay_alu instid0(VALU_DEP_2)
	v_mov_b32_e32 v4, v8
	v_lshlrev_b64 v[1:2], 2, v[1:2]
	s_mul_i32 s20, s20, s16
	s_mul_i32 s24, s14, s1
	s_add_i32 s21, s25, s21
	s_add_i32 s25, s0, s26
	s_lshl_b64 s[8:9], s[8:9], 2
	v_lshlrev_b64 v[5:6], 2, v[3:4]
	s_lshl_b64 s[12:13], s[20:21], 2
	s_lshl_b64 s[4:5], s[24:25], 2
	s_add_u32 s0, s6, s8
	s_addc_u32 s6, s7, s9
	v_add_co_u32 v3, vcc_lo, s22, v1
	s_add_u32 s0, s0, s12
	s_mul_i32 s7, s10, s27
	s_mul_hi_u32 s8, s10, s1
	v_add_co_ci_u32_e32 v4, vcc_lo, s23, v2, vcc_lo
	v_mov_b32_e32 v1, 0
	s_addc_u32 s9, s6, s13
	v_add_co_u32 v5, vcc_lo, s0, v5
	s_add_i32 s6, s8, s7
	s_mul_i32 s7, s11, s1
	v_or_b32_e32 v7, s1, v0
	v_mov_b32_e32 v2, 0
	v_add_co_ci_u32_e32 v6, vcc_lo, s9, v6, vcc_lo
	s_add_i32 s7, s6, s7
	s_mul_i32 s6, s10, s1
	s_mov_b32 s8, s17
	s_lshl_b64 s[6:7], s[6:7], 2
	s_mov_b32 s9, s17
	.p2align	6
.LBB435_2:                              ; =>This Inner Loop Header: Depth=1
	global_load_b32 v8, v[5:6], off
	global_load_b32 v10, v[3:4], off
	s_add_i32 s10, s9, 1
	v_cmp_le_i32_e32 vcc_lo, s18, v7
	v_add_co_u32 v3, s0, v3, s4
	s_cmp_gt_u32 s9, 30
	v_add_co_ci_u32_e64 v4, s0, s5, v4, s0
	s_cselect_b32 s9, -1, 0
	v_add_co_u32 v5, s0, v5, s6
	s_or_b32 s9, s9, vcc_lo
	v_add_nc_u32_e32 v7, s1, v7
	v_add_co_ci_u32_e64 v6, vcc_lo, s7, v6, s0
	s_and_b32 s0, exec_lo, s9
	s_mov_b32 s9, s10
	s_or_b32 s8, s0, s8
	s_waitcnt vmcnt(1)
	v_cvt_f64_f32_e32 v[8:9], v8
	s_waitcnt vmcnt(0)
	v_cvt_f64_f32_e32 v[10:11], v10
	s_delay_alu instid0(VALU_DEP_1)
	v_fma_f64 v[1:2], v[8:9], v[10:11], v[1:2]
	s_and_not1_b32 exec_lo, exec_lo, s8
	s_cbranch_execnz .LBB435_2
; %bb.3:
	s_or_b32 exec_lo, exec_lo, s8
.LBB435_4:
	s_delay_alu instid0(SALU_CYCLE_1) | instskip(SKIP_2) | instid1(VALU_DEP_2)
	s_or_b32 exec_lo, exec_lo, s19
	v_and_b32_e32 v11, 31, v0
	v_cmp_gt_u32_e32 vcc_lo, 32, v0
	v_lshlrev_b32_e32 v5, 3, v11
	s_and_saveexec_b32 s0, vcc_lo
	s_cbranch_execz .LBB435_6
; %bb.5:
	v_mov_b32_e32 v3, 0
	s_delay_alu instid0(VALU_DEP_1)
	v_mov_b32_e32 v4, v3
	ds_store_b64 v5, v[3:4]
.LBB435_6:
	s_or_b32 exec_lo, exec_lo, s0
	v_mbcnt_lo_u32_b32 v10, -1, 0
	s_mov_b32 s1, exec_lo
	s_waitcnt lgkmcnt(0)
	s_barrier
	buffer_gl0_inv
	v_cmp_gt_u32_e64 s0, 16, v10
	s_delay_alu instid0(VALU_DEP_1) | instskip(SKIP_1) | instid1(VALU_DEP_2)
	v_cndmask_b32_e64 v3, 0, 1, s0
	v_cmp_gt_u32_e64 s0, 24, v10
	v_lshlrev_b32_e32 v3, 4, v3
	s_delay_alu instid0(VALU_DEP_1)
	v_add_lshl_u32 v6, v3, v10, 2
	ds_bpermute_b32 v3, v6, v1
	ds_bpermute_b32 v4, v6, v2
	s_waitcnt lgkmcnt(0)
	v_add_f64 v[1:2], v[1:2], v[3:4]
	v_cndmask_b32_e64 v3, 0, 1, s0
	v_cmp_gt_u32_e64 s0, 28, v10
	s_delay_alu instid0(VALU_DEP_2) | instskip(NEXT) | instid1(VALU_DEP_1)
	v_lshlrev_b32_e32 v3, 3, v3
	v_add_lshl_u32 v7, v3, v10, 2
	ds_bpermute_b32 v3, v7, v1
	ds_bpermute_b32 v4, v7, v2
	s_waitcnt lgkmcnt(0)
	v_add_f64 v[1:2], v[1:2], v[3:4]
	v_cndmask_b32_e64 v3, 0, 1, s0
	v_cmp_gt_u32_e64 s0, 30, v10
	s_delay_alu instid0(VALU_DEP_2) | instskip(NEXT) | instid1(VALU_DEP_1)
	v_lshlrev_b32_e32 v3, 2, v3
	v_add_lshl_u32 v8, v3, v10, 2
	ds_bpermute_b32 v3, v8, v1
	ds_bpermute_b32 v4, v8, v2
	s_waitcnt lgkmcnt(0)
	v_add_f64 v[1:2], v[1:2], v[3:4]
	v_cndmask_b32_e64 v3, 0, 1, s0
	v_cmp_ne_u32_e64 s0, 31, v10
	s_delay_alu instid0(VALU_DEP_2) | instskip(NEXT) | instid1(VALU_DEP_1)
	v_lshlrev_b32_e32 v3, 1, v3
	v_add_lshl_u32 v9, v3, v10, 2
	ds_bpermute_b32 v3, v9, v1
	ds_bpermute_b32 v4, v9, v2
	s_waitcnt lgkmcnt(0)
	v_add_f64 v[1:2], v[1:2], v[3:4]
	v_add_co_ci_u32_e64 v3, s0, 0, v10, s0
	s_delay_alu instid0(VALU_DEP_1)
	v_lshlrev_b32_e32 v10, 2, v3
	ds_bpermute_b32 v3, v10, v1
	ds_bpermute_b32 v4, v10, v2
	v_cmpx_eq_u32_e32 0, v11
	s_cbranch_execz .LBB435_8
; %bb.7:
	s_waitcnt lgkmcnt(0)
	v_add_f64 v[1:2], v[1:2], v[3:4]
	v_lshrrev_b32_e32 v3, 2, v0
	s_delay_alu instid0(VALU_DEP_1)
	v_and_b32_e32 v3, 0xf8, v3
	ds_store_b64 v3, v[1:2]
.LBB435_8:
	s_or_b32 exec_lo, exec_lo, s1
	v_mov_b32_e32 v1, 0
	v_mov_b32_e32 v2, 0
	s_waitcnt lgkmcnt(0)
	s_barrier
	buffer_gl0_inv
	s_and_saveexec_b32 s0, vcc_lo
	s_cbranch_execz .LBB435_10
; %bb.9:
	ds_load_b64 v[1:2], v5
.LBB435_10:
	s_or_b32 exec_lo, exec_lo, s0
	s_and_saveexec_b32 s0, vcc_lo
	s_cbranch_execz .LBB435_12
; %bb.11:
	s_waitcnt lgkmcnt(0)
	ds_bpermute_b32 v3, v6, v1
	ds_bpermute_b32 v4, v6, v2
	s_waitcnt lgkmcnt(0)
	v_add_f64 v[1:2], v[1:2], v[3:4]
	ds_bpermute_b32 v3, v7, v1
	ds_bpermute_b32 v4, v7, v2
	s_waitcnt lgkmcnt(0)
	v_add_f64 v[1:2], v[1:2], v[3:4]
	ds_bpermute_b32 v3, v8, v1
	ds_bpermute_b32 v4, v8, v2
	s_waitcnt lgkmcnt(0)
	v_add_f64 v[1:2], v[1:2], v[3:4]
	ds_bpermute_b32 v3, v9, v1
	ds_bpermute_b32 v4, v9, v2
	s_waitcnt lgkmcnt(0)
	v_add_f64 v[1:2], v[1:2], v[3:4]
	ds_bpermute_b32 v3, v10, v1
	ds_bpermute_b32 v4, v10, v2
	s_waitcnt lgkmcnt(0)
	v_add_f64 v[1:2], v[1:2], v[3:4]
.LBB435_12:
	s_or_b32 exec_lo, exec_lo, s0
	s_delay_alu instid0(SALU_CYCLE_1)
	s_mov_b32 s0, exec_lo
	v_cmpx_eq_u32_e32 0, v0
	s_cbranch_execz .LBB435_14
; %bb.13:
	s_lshl_b64 s[0:1], s[16:17], 3
	v_mov_b32_e32 v0, 0
	s_add_u32 s0, s2, s0
	s_addc_u32 s1, s3, s1
	s_waitcnt lgkmcnt(0)
	global_store_b64 v0, v[1:2], s[0:1]
.LBB435_14:
	s_nop 0
	s_sendmsg sendmsg(MSG_DEALLOC_VGPRS)
	s_endpgm
	.section	.rodata,"a",@progbits
	.p2align	6, 0x0
	.amdhsa_kernel _ZL18rocblas_dot_kernelIlLb1ELi1024ELi32ELb0EdPKfdEviT5_lT_lS2_lS3_liPT6_PT4_
		.amdhsa_group_segment_fixed_size 256
		.amdhsa_private_segment_fixed_size 0
		.amdhsa_kernarg_size 352
		.amdhsa_user_sgpr_count 14
		.amdhsa_user_sgpr_dispatch_ptr 0
		.amdhsa_user_sgpr_queue_ptr 0
		.amdhsa_user_sgpr_kernarg_segment_ptr 1
		.amdhsa_user_sgpr_dispatch_id 0
		.amdhsa_user_sgpr_private_segment_size 0
		.amdhsa_wavefront_size32 1
		.amdhsa_uses_dynamic_stack 0
		.amdhsa_enable_private_segment 0
		.amdhsa_system_sgpr_workgroup_id_x 1
		.amdhsa_system_sgpr_workgroup_id_y 0
		.amdhsa_system_sgpr_workgroup_id_z 1
		.amdhsa_system_sgpr_workgroup_info 0
		.amdhsa_system_vgpr_workitem_id 0
		.amdhsa_next_free_vgpr 12
		.amdhsa_next_free_sgpr 28
		.amdhsa_reserve_vcc 1
		.amdhsa_float_round_mode_32 0
		.amdhsa_float_round_mode_16_64 0
		.amdhsa_float_denorm_mode_32 3
		.amdhsa_float_denorm_mode_16_64 3
		.amdhsa_dx10_clamp 1
		.amdhsa_ieee_mode 1
		.amdhsa_fp16_overflow 0
		.amdhsa_workgroup_processor_mode 1
		.amdhsa_memory_ordered 1
		.amdhsa_forward_progress 0
		.amdhsa_shared_vgpr_count 0
		.amdhsa_exception_fp_ieee_invalid_op 0
		.amdhsa_exception_fp_denorm_src 0
		.amdhsa_exception_fp_ieee_div_zero 0
		.amdhsa_exception_fp_ieee_overflow 0
		.amdhsa_exception_fp_ieee_underflow 0
		.amdhsa_exception_fp_ieee_inexact 0
		.amdhsa_exception_int_div_zero 0
	.end_amdhsa_kernel
	.section	.text._ZL18rocblas_dot_kernelIlLb1ELi1024ELi32ELb0EdPKfdEviT5_lT_lS2_lS3_liPT6_PT4_,"axG",@progbits,_ZL18rocblas_dot_kernelIlLb1ELi1024ELi32ELb0EdPKfdEviT5_lT_lS2_lS3_liPT6_PT4_,comdat
.Lfunc_end435:
	.size	_ZL18rocblas_dot_kernelIlLb1ELi1024ELi32ELb0EdPKfdEviT5_lT_lS2_lS3_liPT6_PT4_, .Lfunc_end435-_ZL18rocblas_dot_kernelIlLb1ELi1024ELi32ELb0EdPKfdEviT5_lT_lS2_lS3_liPT6_PT4_
                                        ; -- End function
	.section	.AMDGPU.csdata,"",@progbits
; Kernel info:
; codeLenInByte = 1152
; NumSgprs: 30
; NumVgprs: 12
; ScratchSize: 0
; MemoryBound: 0
; FloatMode: 240
; IeeeMode: 1
; LDSByteSize: 256 bytes/workgroup (compile time only)
; SGPRBlocks: 3
; VGPRBlocks: 1
; NumSGPRsForWavesPerEU: 30
; NumVGPRsForWavesPerEU: 12
; Occupancy: 16
; WaveLimiterHint : 0
; COMPUTE_PGM_RSRC2:SCRATCH_EN: 0
; COMPUTE_PGM_RSRC2:USER_SGPR: 14
; COMPUTE_PGM_RSRC2:TRAP_HANDLER: 0
; COMPUTE_PGM_RSRC2:TGID_X_EN: 1
; COMPUTE_PGM_RSRC2:TGID_Y_EN: 0
; COMPUTE_PGM_RSRC2:TGID_Z_EN: 1
; COMPUTE_PGM_RSRC2:TIDIG_COMP_CNT: 0
	.section	.text._ZL24rocblas_dot_kernel_magsqIlLb1ELi1024ELi32ELb0EdPKfdEviT5_lT_liPT6_PT4_,"axG",@progbits,_ZL24rocblas_dot_kernel_magsqIlLb1ELi1024ELi32ELb0EdPKfdEviT5_lT_liPT6_PT4_,comdat
	.globl	_ZL24rocblas_dot_kernel_magsqIlLb1ELi1024ELi32ELb0EdPKfdEviT5_lT_liPT6_PT4_ ; -- Begin function _ZL24rocblas_dot_kernel_magsqIlLb1ELi1024ELi32ELb0EdPKfdEviT5_lT_liPT6_PT4_
	.p2align	8
	.type	_ZL24rocblas_dot_kernel_magsqIlLb1ELi1024ELi32ELb0EdPKfdEviT5_lT_liPT6_PT4_,@function
_ZL24rocblas_dot_kernel_magsqIlLb1ELi1024ELi32ELb0EdPKfdEviT5_lT_liPT6_PT4_: ; @_ZL24rocblas_dot_kernel_magsqIlLb1ELi1024ELi32ELb0EdPKfdEviT5_lT_liPT6_PT4_
; %bb.0:
	s_clause 0x1
	s_load_b32 s10, s[0:1], 0x0
	s_load_b64 s[2:3], s[0:1], 0x38
	v_mov_b32_e32 v1, 0
	v_mov_b32_e32 v2, 0
	s_mov_b32 s8, s15
	s_mov_b32 s9, 0
	s_mov_b32 s11, exec_lo
	s_waitcnt lgkmcnt(0)
	v_cmpx_gt_i32_e64 s10, v0
	s_cbranch_execz .LBB436_4
; %bb.1:
	s_clause 0x3
	s_load_b128 s[4:7], s[0:1], 0x10
	s_load_b32 s16, s[0:1], 0x40
	s_load_b64 s[12:13], s[0:1], 0x20
	s_load_b64 s[14:15], s[0:1], 0x8
	s_waitcnt lgkmcnt(0)
	v_mad_u64_u32 v[3:4], null, s6, v0, 0
	s_mul_i32 s0, s13, s8
	s_mul_hi_u32 s13, s12, s8
	s_mul_i32 s12, s12, s8
	s_add_i32 s13, s13, s0
	s_lshl_b64 s[4:5], s[4:5], 2
	s_lshl_b32 s1, s16, 10
	s_delay_alu instid0(VALU_DEP_1)
	v_mad_u64_u32 v[6:7], null, s7, v0, v[4:5]
	v_mov_b32_e32 v1, 0
	s_lshl_b64 s[12:13], s[12:13], 2
	s_add_u32 s0, s14, s4
	s_addc_u32 s4, s15, s5
	s_add_u32 s0, s0, s12
	s_addc_u32 s12, s4, s13
	s_delay_alu instid0(VALU_DEP_2)
	v_mov_b32_e32 v4, v6
	s_ashr_i32 s4, s1, 31
	s_mul_hi_u32 s5, s6, s1
	s_mul_i32 s4, s6, s4
	s_mul_i32 s7, s7, s1
	v_lshlrev_b64 v[3:4], 2, v[3:4]
	s_add_i32 s5, s5, s4
	v_mov_b32_e32 v2, 0
	v_or_b32_e32 v5, s1, v0
	s_mul_i32 s4, s6, s1
	s_add_i32 s5, s5, s7
	v_add_co_u32 v3, vcc_lo, s0, v3
	v_add_co_ci_u32_e32 v4, vcc_lo, s12, v4, vcc_lo
	s_lshl_b64 s[4:5], s[4:5], 2
	s_mov_b32 s6, s9
	s_mov_b32 s7, s9
	.p2align	6
.LBB436_2:                              ; =>This Inner Loop Header: Depth=1
	global_load_b32 v6, v[3:4], off
	s_add_i32 s12, s7, 1
	v_cmp_le_i32_e32 vcc_lo, s10, v5
	s_cmp_gt_u32 s7, 30
	v_add_co_u32 v3, s0, v3, s4
	s_cselect_b32 s7, -1, 0
	v_add_nc_u32_e32 v5, s1, v5
	s_or_b32 s7, s7, vcc_lo
	v_add_co_ci_u32_e64 v4, vcc_lo, s5, v4, s0
	s_and_b32 s0, exec_lo, s7
	s_mov_b32 s7, s12
	s_or_b32 s6, s0, s6
	s_waitcnt vmcnt(0)
	v_cvt_f64_f32_e32 v[6:7], v6
	s_delay_alu instid0(VALU_DEP_1)
	v_fma_f64 v[1:2], v[6:7], v[6:7], v[1:2]
	s_and_not1_b32 exec_lo, exec_lo, s6
	s_cbranch_execnz .LBB436_2
; %bb.3:
	s_or_b32 exec_lo, exec_lo, s6
.LBB436_4:
	s_delay_alu instid0(SALU_CYCLE_1) | instskip(SKIP_2) | instid1(VALU_DEP_2)
	s_or_b32 exec_lo, exec_lo, s11
	v_and_b32_e32 v11, 31, v0
	v_cmp_gt_u32_e32 vcc_lo, 32, v0
	v_lshlrev_b32_e32 v5, 3, v11
	s_and_saveexec_b32 s0, vcc_lo
	s_cbranch_execz .LBB436_6
; %bb.5:
	v_mov_b32_e32 v3, 0
	s_delay_alu instid0(VALU_DEP_1)
	v_mov_b32_e32 v4, v3
	ds_store_b64 v5, v[3:4]
.LBB436_6:
	s_or_b32 exec_lo, exec_lo, s0
	v_mbcnt_lo_u32_b32 v10, -1, 0
	s_mov_b32 s1, exec_lo
	s_waitcnt lgkmcnt(0)
	s_barrier
	buffer_gl0_inv
	v_cmp_gt_u32_e64 s0, 16, v10
	s_delay_alu instid0(VALU_DEP_1) | instskip(SKIP_1) | instid1(VALU_DEP_2)
	v_cndmask_b32_e64 v3, 0, 1, s0
	v_cmp_gt_u32_e64 s0, 24, v10
	v_lshlrev_b32_e32 v3, 4, v3
	s_delay_alu instid0(VALU_DEP_1)
	v_add_lshl_u32 v6, v3, v10, 2
	ds_bpermute_b32 v3, v6, v1
	ds_bpermute_b32 v4, v6, v2
	s_waitcnt lgkmcnt(0)
	v_add_f64 v[1:2], v[1:2], v[3:4]
	v_cndmask_b32_e64 v3, 0, 1, s0
	v_cmp_gt_u32_e64 s0, 28, v10
	s_delay_alu instid0(VALU_DEP_2) | instskip(NEXT) | instid1(VALU_DEP_1)
	v_lshlrev_b32_e32 v3, 3, v3
	v_add_lshl_u32 v7, v3, v10, 2
	ds_bpermute_b32 v3, v7, v1
	ds_bpermute_b32 v4, v7, v2
	s_waitcnt lgkmcnt(0)
	v_add_f64 v[1:2], v[1:2], v[3:4]
	v_cndmask_b32_e64 v3, 0, 1, s0
	v_cmp_gt_u32_e64 s0, 30, v10
	s_delay_alu instid0(VALU_DEP_2) | instskip(NEXT) | instid1(VALU_DEP_1)
	v_lshlrev_b32_e32 v3, 2, v3
	v_add_lshl_u32 v8, v3, v10, 2
	ds_bpermute_b32 v3, v8, v1
	ds_bpermute_b32 v4, v8, v2
	s_waitcnt lgkmcnt(0)
	v_add_f64 v[1:2], v[1:2], v[3:4]
	v_cndmask_b32_e64 v3, 0, 1, s0
	v_cmp_ne_u32_e64 s0, 31, v10
	s_delay_alu instid0(VALU_DEP_2) | instskip(NEXT) | instid1(VALU_DEP_1)
	v_lshlrev_b32_e32 v3, 1, v3
	v_add_lshl_u32 v9, v3, v10, 2
	ds_bpermute_b32 v3, v9, v1
	ds_bpermute_b32 v4, v9, v2
	s_waitcnt lgkmcnt(0)
	v_add_f64 v[1:2], v[1:2], v[3:4]
	v_add_co_ci_u32_e64 v3, s0, 0, v10, s0
	s_delay_alu instid0(VALU_DEP_1)
	v_lshlrev_b32_e32 v10, 2, v3
	ds_bpermute_b32 v3, v10, v1
	ds_bpermute_b32 v4, v10, v2
	v_cmpx_eq_u32_e32 0, v11
	s_cbranch_execz .LBB436_8
; %bb.7:
	s_waitcnt lgkmcnt(0)
	v_add_f64 v[1:2], v[1:2], v[3:4]
	v_lshrrev_b32_e32 v3, 2, v0
	s_delay_alu instid0(VALU_DEP_1)
	v_and_b32_e32 v3, 0xf8, v3
	ds_store_b64 v3, v[1:2]
.LBB436_8:
	s_or_b32 exec_lo, exec_lo, s1
	v_mov_b32_e32 v1, 0
	v_mov_b32_e32 v2, 0
	s_waitcnt lgkmcnt(0)
	s_barrier
	buffer_gl0_inv
	s_and_saveexec_b32 s0, vcc_lo
	s_cbranch_execz .LBB436_10
; %bb.9:
	ds_load_b64 v[1:2], v5
.LBB436_10:
	s_or_b32 exec_lo, exec_lo, s0
	s_and_saveexec_b32 s0, vcc_lo
	s_cbranch_execz .LBB436_12
; %bb.11:
	s_waitcnt lgkmcnt(0)
	ds_bpermute_b32 v3, v6, v1
	ds_bpermute_b32 v4, v6, v2
	s_waitcnt lgkmcnt(0)
	v_add_f64 v[1:2], v[1:2], v[3:4]
	ds_bpermute_b32 v3, v7, v1
	ds_bpermute_b32 v4, v7, v2
	s_waitcnt lgkmcnt(0)
	v_add_f64 v[1:2], v[1:2], v[3:4]
	;; [unrolled: 4-line block ×5, first 2 shown]
.LBB436_12:
	s_or_b32 exec_lo, exec_lo, s0
	s_delay_alu instid0(SALU_CYCLE_1)
	s_mov_b32 s0, exec_lo
	v_cmpx_eq_u32_e32 0, v0
	s_cbranch_execz .LBB436_14
; %bb.13:
	s_lshl_b64 s[0:1], s[8:9], 3
	v_mov_b32_e32 v0, 0
	s_add_u32 s0, s2, s0
	s_addc_u32 s1, s3, s1
	s_waitcnt lgkmcnt(0)
	global_store_b64 v0, v[1:2], s[0:1]
.LBB436_14:
	s_nop 0
	s_sendmsg sendmsg(MSG_DEALLOC_VGPRS)
	s_endpgm
	.section	.rodata,"a",@progbits
	.p2align	6, 0x0
	.amdhsa_kernel _ZL24rocblas_dot_kernel_magsqIlLb1ELi1024ELi32ELb0EdPKfdEviT5_lT_liPT6_PT4_
		.amdhsa_group_segment_fixed_size 256
		.amdhsa_private_segment_fixed_size 0
		.amdhsa_kernarg_size 320
		.amdhsa_user_sgpr_count 14
		.amdhsa_user_sgpr_dispatch_ptr 0
		.amdhsa_user_sgpr_queue_ptr 0
		.amdhsa_user_sgpr_kernarg_segment_ptr 1
		.amdhsa_user_sgpr_dispatch_id 0
		.amdhsa_user_sgpr_private_segment_size 0
		.amdhsa_wavefront_size32 1
		.amdhsa_uses_dynamic_stack 0
		.amdhsa_enable_private_segment 0
		.amdhsa_system_sgpr_workgroup_id_x 1
		.amdhsa_system_sgpr_workgroup_id_y 0
		.amdhsa_system_sgpr_workgroup_id_z 1
		.amdhsa_system_sgpr_workgroup_info 0
		.amdhsa_system_vgpr_workitem_id 0
		.amdhsa_next_free_vgpr 12
		.amdhsa_next_free_sgpr 17
		.amdhsa_reserve_vcc 1
		.amdhsa_float_round_mode_32 0
		.amdhsa_float_round_mode_16_64 0
		.amdhsa_float_denorm_mode_32 3
		.amdhsa_float_denorm_mode_16_64 3
		.amdhsa_dx10_clamp 1
		.amdhsa_ieee_mode 1
		.amdhsa_fp16_overflow 0
		.amdhsa_workgroup_processor_mode 1
		.amdhsa_memory_ordered 1
		.amdhsa_forward_progress 0
		.amdhsa_shared_vgpr_count 0
		.amdhsa_exception_fp_ieee_invalid_op 0
		.amdhsa_exception_fp_denorm_src 0
		.amdhsa_exception_fp_ieee_div_zero 0
		.amdhsa_exception_fp_ieee_overflow 0
		.amdhsa_exception_fp_ieee_underflow 0
		.amdhsa_exception_fp_ieee_inexact 0
		.amdhsa_exception_int_div_zero 0
	.end_amdhsa_kernel
	.section	.text._ZL24rocblas_dot_kernel_magsqIlLb1ELi1024ELi32ELb0EdPKfdEviT5_lT_liPT6_PT4_,"axG",@progbits,_ZL24rocblas_dot_kernel_magsqIlLb1ELi1024ELi32ELb0EdPKfdEviT5_lT_liPT6_PT4_,comdat
.Lfunc_end436:
	.size	_ZL24rocblas_dot_kernel_magsqIlLb1ELi1024ELi32ELb0EdPKfdEviT5_lT_liPT6_PT4_, .Lfunc_end436-_ZL24rocblas_dot_kernel_magsqIlLb1ELi1024ELi32ELb0EdPKfdEviT5_lT_liPT6_PT4_
                                        ; -- End function
	.section	.AMDGPU.csdata,"",@progbits
; Kernel info:
; codeLenInByte = 1000
; NumSgprs: 19
; NumVgprs: 12
; ScratchSize: 0
; MemoryBound: 0
; FloatMode: 240
; IeeeMode: 1
; LDSByteSize: 256 bytes/workgroup (compile time only)
; SGPRBlocks: 2
; VGPRBlocks: 1
; NumSGPRsForWavesPerEU: 19
; NumVGPRsForWavesPerEU: 12
; Occupancy: 16
; WaveLimiterHint : 0
; COMPUTE_PGM_RSRC2:SCRATCH_EN: 0
; COMPUTE_PGM_RSRC2:USER_SGPR: 14
; COMPUTE_PGM_RSRC2:TRAP_HANDLER: 0
; COMPUTE_PGM_RSRC2:TGID_X_EN: 1
; COMPUTE_PGM_RSRC2:TGID_Y_EN: 0
; COMPUTE_PGM_RSRC2:TGID_Z_EN: 1
; COMPUTE_PGM_RSRC2:TIDIG_COMP_CNT: 0
	.section	.text._ZL38rocblas_dot_kernel_gfx942_float_doubleIlLi1024EdPKfdEviT2_lT_lS2_lS3_lPT3_PT1_,"axG",@progbits,_ZL38rocblas_dot_kernel_gfx942_float_doubleIlLi1024EdPKfdEviT2_lT_lS2_lS3_lPT3_PT1_,comdat
	.globl	_ZL38rocblas_dot_kernel_gfx942_float_doubleIlLi1024EdPKfdEviT2_lT_lS2_lS3_lPT3_PT1_ ; -- Begin function _ZL38rocblas_dot_kernel_gfx942_float_doubleIlLi1024EdPKfdEviT2_lT_lS2_lS3_lPT3_PT1_
	.p2align	8
	.type	_ZL38rocblas_dot_kernel_gfx942_float_doubleIlLi1024EdPKfdEviT2_lT_lS2_lS3_lPT3_PT1_,@function
_ZL38rocblas_dot_kernel_gfx942_float_doubleIlLi1024EdPKfdEviT2_lT_lS2_lS3_lPT3_PT1_: ; @_ZL38rocblas_dot_kernel_gfx942_float_doubleIlLi1024EdPKfdEviT2_lT_lS2_lS3_lPT3_PT1_
; %bb.0:
	s_endpgm
	.section	.rodata,"a",@progbits
	.p2align	6, 0x0
	.amdhsa_kernel _ZL38rocblas_dot_kernel_gfx942_float_doubleIlLi1024EdPKfdEviT2_lT_lS2_lS3_lPT3_PT1_
		.amdhsa_group_segment_fixed_size 0
		.amdhsa_private_segment_fixed_size 0
		.amdhsa_kernarg_size 88
		.amdhsa_user_sgpr_count 15
		.amdhsa_user_sgpr_dispatch_ptr 0
		.amdhsa_user_sgpr_queue_ptr 0
		.amdhsa_user_sgpr_kernarg_segment_ptr 1
		.amdhsa_user_sgpr_dispatch_id 0
		.amdhsa_user_sgpr_private_segment_size 0
		.amdhsa_wavefront_size32 1
		.amdhsa_uses_dynamic_stack 0
		.amdhsa_enable_private_segment 0
		.amdhsa_system_sgpr_workgroup_id_x 1
		.amdhsa_system_sgpr_workgroup_id_y 0
		.amdhsa_system_sgpr_workgroup_id_z 0
		.amdhsa_system_sgpr_workgroup_info 0
		.amdhsa_system_vgpr_workitem_id 0
		.amdhsa_next_free_vgpr 1
		.amdhsa_next_free_sgpr 1
		.amdhsa_reserve_vcc 0
		.amdhsa_float_round_mode_32 0
		.amdhsa_float_round_mode_16_64 0
		.amdhsa_float_denorm_mode_32 3
		.amdhsa_float_denorm_mode_16_64 3
		.amdhsa_dx10_clamp 1
		.amdhsa_ieee_mode 1
		.amdhsa_fp16_overflow 0
		.amdhsa_workgroup_processor_mode 1
		.amdhsa_memory_ordered 1
		.amdhsa_forward_progress 0
		.amdhsa_shared_vgpr_count 0
		.amdhsa_exception_fp_ieee_invalid_op 0
		.amdhsa_exception_fp_denorm_src 0
		.amdhsa_exception_fp_ieee_div_zero 0
		.amdhsa_exception_fp_ieee_overflow 0
		.amdhsa_exception_fp_ieee_underflow 0
		.amdhsa_exception_fp_ieee_inexact 0
		.amdhsa_exception_int_div_zero 0
	.end_amdhsa_kernel
	.section	.text._ZL38rocblas_dot_kernel_gfx942_float_doubleIlLi1024EdPKfdEviT2_lT_lS2_lS3_lPT3_PT1_,"axG",@progbits,_ZL38rocblas_dot_kernel_gfx942_float_doubleIlLi1024EdPKfdEviT2_lT_lS2_lS3_lPT3_PT1_,comdat
.Lfunc_end437:
	.size	_ZL38rocblas_dot_kernel_gfx942_float_doubleIlLi1024EdPKfdEviT2_lT_lS2_lS3_lPT3_PT1_, .Lfunc_end437-_ZL38rocblas_dot_kernel_gfx942_float_doubleIlLi1024EdPKfdEviT2_lT_lS2_lS3_lPT3_PT1_
                                        ; -- End function
	.section	.AMDGPU.csdata,"",@progbits
; Kernel info:
; codeLenInByte = 4
; NumSgprs: 0
; NumVgprs: 0
; ScratchSize: 0
; MemoryBound: 0
; FloatMode: 240
; IeeeMode: 1
; LDSByteSize: 0 bytes/workgroup (compile time only)
; SGPRBlocks: 0
; VGPRBlocks: 0
; NumSGPRsForWavesPerEU: 1
; NumVGPRsForWavesPerEU: 1
; Occupancy: 16
; WaveLimiterHint : 0
; COMPUTE_PGM_RSRC2:SCRATCH_EN: 0
; COMPUTE_PGM_RSRC2:USER_SGPR: 15
; COMPUTE_PGM_RSRC2:TRAP_HANDLER: 0
; COMPUTE_PGM_RSRC2:TGID_X_EN: 1
; COMPUTE_PGM_RSRC2:TGID_Y_EN: 0
; COMPUTE_PGM_RSRC2:TGID_Z_EN: 0
; COMPUTE_PGM_RSRC2:TIDIG_COMP_CNT: 0
	.section	.text._ZL18rocblas_dot_kernelIlLb0ELi512ELi2ELb0EdPKfdEviT5_lT_lS2_lS3_liPT6_PT4_,"axG",@progbits,_ZL18rocblas_dot_kernelIlLb0ELi512ELi2ELb0EdPKfdEviT5_lT_lS2_lS3_liPT6_PT4_,comdat
	.globl	_ZL18rocblas_dot_kernelIlLb0ELi512ELi2ELb0EdPKfdEviT5_lT_lS2_lS3_liPT6_PT4_ ; -- Begin function _ZL18rocblas_dot_kernelIlLb0ELi512ELi2ELb0EdPKfdEviT5_lT_lS2_lS3_liPT6_PT4_
	.p2align	8
	.type	_ZL18rocblas_dot_kernelIlLb0ELi512ELi2ELb0EdPKfdEviT5_lT_lS2_lS3_liPT6_PT4_,@function
_ZL18rocblas_dot_kernelIlLb0ELi512ELi2ELb0EdPKfdEviT5_lT_lS2_lS3_liPT6_PT4_: ; @_ZL18rocblas_dot_kernelIlLb0ELi512ELi2ELb0EdPKfdEviT5_lT_lS2_lS3_liPT6_PT4_
; %bb.0:
	s_mov_b32 s12, s15
	s_clause 0x1
	s_load_b32 s15, s[0:1], 0x0
	s_load_b32 s3, s[0:1], 0x60
	v_mov_b32_e32 v1, 0
	v_lshl_or_b32 v3, s14, 9, v0
	v_mov_b32_e32 v2, 0
	s_mov_b32 s13, 0
	s_mov_b32 s2, exec_lo
	s_waitcnt lgkmcnt(0)
	v_cmpx_gt_i32_e64 s15, v3
	s_cbranch_execz .LBB438_4
; %bb.1:
	s_clause 0x3
	s_load_b256 s[4:11], s[0:1], 0x20
	s_load_b64 s[20:21], s[0:1], 0x40
	s_load_b128 s[16:19], s[0:1], 0x10
	s_load_b64 s[22:23], s[0:1], 0x8
	v_ashrrev_i32_e32 v4, 31, v3
	s_waitcnt lgkmcnt(0)
	s_mul_i32 s5, s12, s5
	s_mul_hi_u32 s24, s12, s4
	v_mul_lo_u32 v6, v3, s11
	v_mul_lo_u32 v7, v4, s10
	v_mad_u64_u32 v[1:2], null, v3, s10, 0
	s_mul_i32 s4, s12, s4
	s_add_i32 s5, s24, s5
	v_mul_lo_u32 v8, v3, s19
	v_mul_lo_u32 v9, v4, s18
	v_mad_u64_u32 v[4:5], null, v3, s18, 0
	s_lshl_b64 s[4:5], s[4:5], 2
	s_mul_i32 s21, s12, s21
	s_add_u32 s22, s22, s4
	s_addc_u32 s23, s23, s5
	s_lshl_b64 s[4:5], s[16:17], 2
	s_mul_hi_u32 s25, s12, s20
	v_add3_u32 v2, v2, v6, v7
	s_add_u32 s4, s22, s4
	s_mul_i32 s20, s12, s20
	s_addc_u32 s5, s23, s5
	s_add_i32 s21, s25, s21
	v_add3_u32 v5, v5, v8, v9
	s_lshl_b64 s[16:17], s[20:21], 2
	v_lshlrev_b64 v[1:2], 2, v[1:2]
	s_add_u32 s16, s6, s16
	s_addc_u32 s17, s7, s17
	s_lshl_b64 s[6:7], s[8:9], 2
	v_lshlrev_b64 v[3:4], 2, v[4:5]
	s_add_u32 s6, s16, s6
	s_addc_u32 s7, s17, s7
	v_add_co_u32 v1, vcc_lo, s6, v1
	v_add_co_ci_u32_e32 v2, vcc_lo, s7, v2, vcc_lo
	s_delay_alu instid0(VALU_DEP_3)
	v_add_co_u32 v3, vcc_lo, s4, v3
	v_add_co_ci_u32_e32 v4, vcc_lo, s5, v4, vcc_lo
	global_load_b32 v1, v[1:2], off
	global_load_b32 v3, v[3:4], off
	s_add_i32 s8, s14, s3
	s_waitcnt vmcnt(1)
	v_cvt_f64_f32_e32 v[1:2], v1
	s_waitcnt vmcnt(0)
	v_cvt_f64_f32_e32 v[3:4], v3
	s_delay_alu instid0(VALU_DEP_1) | instskip(SKIP_2) | instid1(VALU_DEP_1)
	v_fma_f64 v[1:2], v[1:2], v[3:4], 0
	v_lshl_or_b32 v3, s8, 9, v0
	s_mov_b32 s8, exec_lo
	v_cmpx_gt_i32_e64 s15, v3
	s_cbranch_execz .LBB438_3
; %bb.2:
	v_ashrrev_i32_e32 v8, 31, v3
	v_mul_lo_u32 v9, v3, s11
	v_mad_u64_u32 v[4:5], null, v3, s10, 0
	v_mul_lo_u32 v11, v3, s19
	s_delay_alu instid0(VALU_DEP_4) | instskip(SKIP_2) | instid1(VALU_DEP_3)
	v_mul_lo_u32 v10, v8, s10
	v_mad_u64_u32 v[6:7], null, v3, s18, 0
	v_mul_lo_u32 v3, v8, s18
	v_add3_u32 v5, v5, v9, v10
	s_delay_alu instid0(VALU_DEP_2) | instskip(NEXT) | instid1(VALU_DEP_2)
	v_add3_u32 v7, v7, v11, v3
	v_lshlrev_b64 v[3:4], 2, v[4:5]
	s_delay_alu instid0(VALU_DEP_2) | instskip(NEXT) | instid1(VALU_DEP_2)
	v_lshlrev_b64 v[5:6], 2, v[6:7]
	v_add_co_u32 v3, vcc_lo, s6, v3
	s_delay_alu instid0(VALU_DEP_3) | instskip(NEXT) | instid1(VALU_DEP_3)
	v_add_co_ci_u32_e32 v4, vcc_lo, s7, v4, vcc_lo
	v_add_co_u32 v5, vcc_lo, s4, v5
	s_delay_alu instid0(VALU_DEP_4)
	v_add_co_ci_u32_e32 v6, vcc_lo, s5, v6, vcc_lo
	global_load_b32 v3, v[3:4], off
	global_load_b32 v5, v[5:6], off
	s_waitcnt vmcnt(1)
	v_cvt_f64_f32_e32 v[3:4], v3
	s_waitcnt vmcnt(0)
	v_cvt_f64_f32_e32 v[5:6], v5
	s_delay_alu instid0(VALU_DEP_1)
	v_fma_f64 v[1:2], v[3:4], v[5:6], v[1:2]
.LBB438_3:
	s_or_b32 exec_lo, exec_lo, s8
.LBB438_4:
	s_delay_alu instid0(SALU_CYCLE_1) | instskip(SKIP_2) | instid1(VALU_DEP_2)
	s_or_b32 exec_lo, exec_lo, s2
	v_and_b32_e32 v10, 31, v0
	v_cmp_gt_u32_e32 vcc_lo, 32, v0
	v_lshlrev_b32_e32 v5, 3, v10
	s_and_saveexec_b32 s2, vcc_lo
	s_cbranch_execz .LBB438_6
; %bb.5:
	v_mov_b32_e32 v3, 0
	s_delay_alu instid0(VALU_DEP_1)
	v_mov_b32_e32 v4, v3
	ds_store_b64 v5, v[3:4]
.LBB438_6:
	s_or_b32 exec_lo, exec_lo, s2
	v_mbcnt_lo_u32_b32 v9, -1, 0
	s_mov_b32 s4, exec_lo
	s_waitcnt lgkmcnt(0)
	s_barrier
	buffer_gl0_inv
	v_cmp_gt_u32_e64 s2, 16, v9
	s_delay_alu instid0(VALU_DEP_1) | instskip(SKIP_1) | instid1(VALU_DEP_2)
	v_cndmask_b32_e64 v3, 0, 1, s2
	v_cmp_gt_u32_e64 s2, 24, v9
	v_lshlrev_b32_e32 v3, 4, v3
	s_delay_alu instid0(VALU_DEP_1)
	v_add_lshl_u32 v4, v3, v9, 2
	ds_bpermute_b32 v3, v4, v1
	ds_bpermute_b32 v4, v4, v2
	s_waitcnt lgkmcnt(0)
	v_add_f64 v[1:2], v[1:2], v[3:4]
	v_cndmask_b32_e64 v3, 0, 1, s2
	v_cmp_gt_u32_e64 s2, 28, v9
	s_delay_alu instid0(VALU_DEP_2) | instskip(NEXT) | instid1(VALU_DEP_1)
	v_lshlrev_b32_e32 v3, 3, v3
	v_add_lshl_u32 v6, v3, v9, 2
	ds_bpermute_b32 v3, v6, v1
	ds_bpermute_b32 v4, v6, v2
	s_waitcnt lgkmcnt(0)
	v_add_f64 v[1:2], v[1:2], v[3:4]
	v_cndmask_b32_e64 v3, 0, 1, s2
	v_cmp_gt_u32_e64 s2, 30, v9
	s_delay_alu instid0(VALU_DEP_2) | instskip(NEXT) | instid1(VALU_DEP_1)
	v_lshlrev_b32_e32 v3, 2, v3
	v_add_lshl_u32 v7, v3, v9, 2
	ds_bpermute_b32 v3, v7, v1
	ds_bpermute_b32 v4, v7, v2
	s_waitcnt lgkmcnt(0)
	v_add_f64 v[1:2], v[1:2], v[3:4]
	v_cndmask_b32_e64 v3, 0, 1, s2
	v_cmp_ne_u32_e64 s2, 31, v9
	s_delay_alu instid0(VALU_DEP_2) | instskip(NEXT) | instid1(VALU_DEP_1)
	v_lshlrev_b32_e32 v3, 1, v3
	v_add_lshl_u32 v8, v3, v9, 2
	ds_bpermute_b32 v3, v8, v1
	ds_bpermute_b32 v4, v8, v2
	s_waitcnt lgkmcnt(0)
	v_add_f64 v[1:2], v[1:2], v[3:4]
	v_add_co_ci_u32_e64 v3, s2, 0, v9, s2
	s_delay_alu instid0(VALU_DEP_1)
	v_lshlrev_b32_e32 v9, 2, v3
	ds_bpermute_b32 v3, v9, v1
	ds_bpermute_b32 v4, v9, v2
	v_cmpx_eq_u32_e32 0, v10
	s_cbranch_execz .LBB438_8
; %bb.7:
	s_waitcnt lgkmcnt(0)
	v_add_f64 v[1:2], v[1:2], v[3:4]
	v_lshrrev_b32_e32 v3, 2, v0
	s_delay_alu instid0(VALU_DEP_1)
	v_and_b32_e32 v3, 0x78, v3
	ds_store_b64 v3, v[1:2]
.LBB438_8:
	s_or_b32 exec_lo, exec_lo, s4
	v_mov_b32_e32 v1, 0
	v_mov_b32_e32 v2, 0
	s_mov_b32 s4, exec_lo
	s_waitcnt lgkmcnt(0)
	s_barrier
	buffer_gl0_inv
	v_cmpx_gt_u32_e32 16, v0
	s_cbranch_execz .LBB438_10
; %bb.9:
	ds_load_b64 v[1:2], v5
.LBB438_10:
	s_or_b32 exec_lo, exec_lo, s4
	s_and_saveexec_b32 s2, vcc_lo
	s_cbranch_execz .LBB438_12
; %bb.11:
	s_waitcnt lgkmcnt(0)
	ds_bpermute_b32 v3, v6, v1
	ds_bpermute_b32 v4, v6, v2
	s_waitcnt lgkmcnt(0)
	v_add_f64 v[1:2], v[1:2], v[3:4]
	ds_bpermute_b32 v3, v7, v1
	ds_bpermute_b32 v4, v7, v2
	s_waitcnt lgkmcnt(0)
	v_add_f64 v[1:2], v[1:2], v[3:4]
	;; [unrolled: 4-line block ×4, first 2 shown]
.LBB438_12:
	s_or_b32 exec_lo, exec_lo, s2
	s_delay_alu instid0(SALU_CYCLE_1)
	s_mov_b32 s2, exec_lo
	v_cmpx_eq_u32_e32 0, v0
	s_cbranch_execz .LBB438_18
; %bb.13:
	s_cmp_lg_u32 s3, 1
	s_cbranch_scc0 .LBB438_15
; %bb.14:
	s_load_b64 s[4:5], s[0:1], 0x50
	s_mul_hi_u32 s7, s3, s12
	s_mul_i32 s6, s3, s12
	s_mov_b32 s15, 0
	s_lshl_b64 s[2:3], s[6:7], 3
	s_waitcnt lgkmcnt(0)
	s_add_u32 s4, s4, s2
	s_addc_u32 s5, s5, s3
	s_lshl_b64 s[2:3], s[14:15], 3
	s_delay_alu instid0(SALU_CYCLE_1)
	s_add_u32 s2, s4, s2
	s_addc_u32 s3, s5, s3
	s_cbranch_execz .LBB438_16
	s_branch .LBB438_17
.LBB438_15:
                                        ; implicit-def: $sgpr2_sgpr3
.LBB438_16:
	s_load_b64 s[0:1], s[0:1], 0x58
	s_lshl_b64 s[2:3], s[12:13], 3
	s_waitcnt lgkmcnt(0)
	s_add_u32 s2, s0, s2
	s_addc_u32 s3, s1, s3
.LBB438_17:
	v_mov_b32_e32 v0, 0
	s_waitcnt lgkmcnt(0)
	global_store_b64 v0, v[1:2], s[2:3]
.LBB438_18:
	s_nop 0
	s_sendmsg sendmsg(MSG_DEALLOC_VGPRS)
	s_endpgm
	.section	.rodata,"a",@progbits
	.p2align	6, 0x0
	.amdhsa_kernel _ZL18rocblas_dot_kernelIlLb0ELi512ELi2ELb0EdPKfdEviT5_lT_lS2_lS3_liPT6_PT4_
		.amdhsa_group_segment_fixed_size 256
		.amdhsa_private_segment_fixed_size 0
		.amdhsa_kernarg_size 352
		.amdhsa_user_sgpr_count 14
		.amdhsa_user_sgpr_dispatch_ptr 0
		.amdhsa_user_sgpr_queue_ptr 0
		.amdhsa_user_sgpr_kernarg_segment_ptr 1
		.amdhsa_user_sgpr_dispatch_id 0
		.amdhsa_user_sgpr_private_segment_size 0
		.amdhsa_wavefront_size32 1
		.amdhsa_uses_dynamic_stack 0
		.amdhsa_enable_private_segment 0
		.amdhsa_system_sgpr_workgroup_id_x 1
		.amdhsa_system_sgpr_workgroup_id_y 0
		.amdhsa_system_sgpr_workgroup_id_z 1
		.amdhsa_system_sgpr_workgroup_info 0
		.amdhsa_system_vgpr_workitem_id 0
		.amdhsa_next_free_vgpr 12
		.amdhsa_next_free_sgpr 26
		.amdhsa_reserve_vcc 1
		.amdhsa_float_round_mode_32 0
		.amdhsa_float_round_mode_16_64 0
		.amdhsa_float_denorm_mode_32 3
		.amdhsa_float_denorm_mode_16_64 3
		.amdhsa_dx10_clamp 1
		.amdhsa_ieee_mode 1
		.amdhsa_fp16_overflow 0
		.amdhsa_workgroup_processor_mode 1
		.amdhsa_memory_ordered 1
		.amdhsa_forward_progress 0
		.amdhsa_shared_vgpr_count 0
		.amdhsa_exception_fp_ieee_invalid_op 0
		.amdhsa_exception_fp_denorm_src 0
		.amdhsa_exception_fp_ieee_div_zero 0
		.amdhsa_exception_fp_ieee_overflow 0
		.amdhsa_exception_fp_ieee_underflow 0
		.amdhsa_exception_fp_ieee_inexact 0
		.amdhsa_exception_int_div_zero 0
	.end_amdhsa_kernel
	.section	.text._ZL18rocblas_dot_kernelIlLb0ELi512ELi2ELb0EdPKfdEviT5_lT_lS2_lS3_liPT6_PT4_,"axG",@progbits,_ZL18rocblas_dot_kernelIlLb0ELi512ELi2ELb0EdPKfdEviT5_lT_lS2_lS3_liPT6_PT4_,comdat
.Lfunc_end438:
	.size	_ZL18rocblas_dot_kernelIlLb0ELi512ELi2ELb0EdPKfdEviT5_lT_lS2_lS3_liPT6_PT4_, .Lfunc_end438-_ZL18rocblas_dot_kernelIlLb0ELi512ELi2ELb0EdPKfdEviT5_lT_lS2_lS3_liPT6_PT4_
                                        ; -- End function
	.section	.AMDGPU.csdata,"",@progbits
; Kernel info:
; codeLenInByte = 1268
; NumSgprs: 28
; NumVgprs: 12
; ScratchSize: 0
; MemoryBound: 0
; FloatMode: 240
; IeeeMode: 1
; LDSByteSize: 256 bytes/workgroup (compile time only)
; SGPRBlocks: 3
; VGPRBlocks: 1
; NumSGPRsForWavesPerEU: 28
; NumVGPRsForWavesPerEU: 12
; Occupancy: 16
; WaveLimiterHint : 0
; COMPUTE_PGM_RSRC2:SCRATCH_EN: 0
; COMPUTE_PGM_RSRC2:USER_SGPR: 14
; COMPUTE_PGM_RSRC2:TRAP_HANDLER: 0
; COMPUTE_PGM_RSRC2:TGID_X_EN: 1
; COMPUTE_PGM_RSRC2:TGID_Y_EN: 0
; COMPUTE_PGM_RSRC2:TGID_Z_EN: 1
; COMPUTE_PGM_RSRC2:TIDIG_COMP_CNT: 0
	.section	.text._ZL24rocblas_dot_kernel_magsqIlLb0ELi512ELi2ELb0EdPKfdEviT5_lT_liPT6_PT4_,"axG",@progbits,_ZL24rocblas_dot_kernel_magsqIlLb0ELi512ELi2ELb0EdPKfdEviT5_lT_liPT6_PT4_,comdat
	.globl	_ZL24rocblas_dot_kernel_magsqIlLb0ELi512ELi2ELb0EdPKfdEviT5_lT_liPT6_PT4_ ; -- Begin function _ZL24rocblas_dot_kernel_magsqIlLb0ELi512ELi2ELb0EdPKfdEviT5_lT_liPT6_PT4_
	.p2align	8
	.type	_ZL24rocblas_dot_kernel_magsqIlLb0ELi512ELi2ELb0EdPKfdEviT5_lT_liPT6_PT4_,@function
_ZL24rocblas_dot_kernel_magsqIlLb0ELi512ELi2ELb0EdPKfdEviT5_lT_liPT6_PT4_: ; @_ZL24rocblas_dot_kernel_magsqIlLb0ELi512ELi2ELb0EdPKfdEviT5_lT_liPT6_PT4_
; %bb.0:
	s_clause 0x1
	s_load_b32 s10, s[0:1], 0x0
	s_load_b32 s3, s[0:1], 0x40
	v_mov_b32_e32 v1, 0
	v_lshl_or_b32 v3, s14, 9, v0
	v_mov_b32_e32 v2, 0
	s_mov_b32 s8, s15
	s_mov_b32 s9, 0
	s_mov_b32 s2, exec_lo
	s_waitcnt lgkmcnt(0)
	v_cmpx_gt_i32_e64 s10, v3
	s_cbranch_execz .LBB439_4
; %bb.1:
	s_clause 0x2
	s_load_b128 s[4:7], s[0:1], 0x10
	s_load_b64 s[12:13], s[0:1], 0x20
	s_load_b64 s[16:17], s[0:1], 0x8
	v_ashrrev_i32_e32 v1, 31, v3
	s_waitcnt lgkmcnt(0)
	v_mul_lo_u32 v4, v3, s7
	s_delay_alu instid0(VALU_DEP_2)
	v_mul_lo_u32 v5, v1, s6
	v_mad_u64_u32 v[1:2], null, v3, s6, 0
	s_mul_i32 s11, s8, s13
	s_mul_hi_u32 s13, s8, s12
	s_mul_i32 s12, s8, s12
	s_add_i32 s13, s13, s11
	s_delay_alu instid0(SALU_CYCLE_1) | instskip(NEXT) | instid1(VALU_DEP_1)
	s_lshl_b64 s[12:13], s[12:13], 2
	v_add3_u32 v2, v2, v4, v5
	s_add_u32 s11, s16, s12
	s_addc_u32 s12, s17, s13
	s_lshl_b64 s[4:5], s[4:5], 2
	s_delay_alu instid0(VALU_DEP_1) | instskip(SKIP_3) | instid1(SALU_CYCLE_1)
	v_lshlrev_b64 v[1:2], 2, v[1:2]
	s_add_u32 s4, s11, s4
	s_addc_u32 s5, s12, s5
	s_add_i32 s11, s14, s3
	v_lshl_or_b32 v3, s11, 9, v0
	s_delay_alu instid0(VALU_DEP_2) | instskip(SKIP_1) | instid1(VALU_DEP_3)
	v_add_co_u32 v1, vcc_lo, s4, v1
	v_add_co_ci_u32_e32 v2, vcc_lo, s5, v2, vcc_lo
	v_cmp_gt_i32_e32 vcc_lo, s10, v3
	global_load_b32 v1, v[1:2], off
	s_waitcnt vmcnt(0)
	v_cvt_f64_f32_e32 v[1:2], v1
	s_delay_alu instid0(VALU_DEP_1)
	v_mul_f64 v[1:2], v[1:2], v[1:2]
	s_and_saveexec_b32 s10, vcc_lo
	s_cbranch_execz .LBB439_3
; %bb.2:
	v_ashrrev_i32_e32 v6, 31, v3
	v_mul_lo_u32 v7, v3, s7
	v_mad_u64_u32 v[4:5], null, v3, s6, 0
	s_delay_alu instid0(VALU_DEP_3) | instskip(NEXT) | instid1(VALU_DEP_1)
	v_mul_lo_u32 v3, v6, s6
	v_add3_u32 v5, v5, v7, v3
	s_delay_alu instid0(VALU_DEP_1) | instskip(NEXT) | instid1(VALU_DEP_1)
	v_lshlrev_b64 v[3:4], 2, v[4:5]
	v_add_co_u32 v3, vcc_lo, s4, v3
	s_delay_alu instid0(VALU_DEP_2) | instskip(SKIP_3) | instid1(VALU_DEP_1)
	v_add_co_ci_u32_e32 v4, vcc_lo, s5, v4, vcc_lo
	global_load_b32 v3, v[3:4], off
	s_waitcnt vmcnt(0)
	v_cvt_f64_f32_e32 v[3:4], v3
	v_fma_f64 v[1:2], v[3:4], v[3:4], v[1:2]
.LBB439_3:
	s_or_b32 exec_lo, exec_lo, s10
.LBB439_4:
	s_delay_alu instid0(SALU_CYCLE_1) | instskip(SKIP_2) | instid1(VALU_DEP_2)
	s_or_b32 exec_lo, exec_lo, s2
	v_and_b32_e32 v10, 31, v0
	v_cmp_gt_u32_e32 vcc_lo, 32, v0
	v_lshlrev_b32_e32 v5, 3, v10
	s_and_saveexec_b32 s2, vcc_lo
	s_cbranch_execz .LBB439_6
; %bb.5:
	v_mov_b32_e32 v3, 0
	s_delay_alu instid0(VALU_DEP_1)
	v_mov_b32_e32 v4, v3
	ds_store_b64 v5, v[3:4]
.LBB439_6:
	s_or_b32 exec_lo, exec_lo, s2
	v_mbcnt_lo_u32_b32 v9, -1, 0
	s_mov_b32 s4, exec_lo
	s_waitcnt lgkmcnt(0)
	s_barrier
	buffer_gl0_inv
	v_cmp_gt_u32_e64 s2, 16, v9
	s_delay_alu instid0(VALU_DEP_1) | instskip(SKIP_1) | instid1(VALU_DEP_2)
	v_cndmask_b32_e64 v3, 0, 1, s2
	v_cmp_gt_u32_e64 s2, 24, v9
	v_lshlrev_b32_e32 v3, 4, v3
	s_delay_alu instid0(VALU_DEP_1)
	v_add_lshl_u32 v4, v3, v9, 2
	ds_bpermute_b32 v3, v4, v1
	ds_bpermute_b32 v4, v4, v2
	s_waitcnt lgkmcnt(0)
	v_add_f64 v[1:2], v[1:2], v[3:4]
	v_cndmask_b32_e64 v3, 0, 1, s2
	v_cmp_gt_u32_e64 s2, 28, v9
	s_delay_alu instid0(VALU_DEP_2) | instskip(NEXT) | instid1(VALU_DEP_1)
	v_lshlrev_b32_e32 v3, 3, v3
	v_add_lshl_u32 v6, v3, v9, 2
	ds_bpermute_b32 v3, v6, v1
	ds_bpermute_b32 v4, v6, v2
	s_waitcnt lgkmcnt(0)
	v_add_f64 v[1:2], v[1:2], v[3:4]
	v_cndmask_b32_e64 v3, 0, 1, s2
	v_cmp_gt_u32_e64 s2, 30, v9
	s_delay_alu instid0(VALU_DEP_2) | instskip(NEXT) | instid1(VALU_DEP_1)
	v_lshlrev_b32_e32 v3, 2, v3
	v_add_lshl_u32 v7, v3, v9, 2
	ds_bpermute_b32 v3, v7, v1
	ds_bpermute_b32 v4, v7, v2
	s_waitcnt lgkmcnt(0)
	v_add_f64 v[1:2], v[1:2], v[3:4]
	v_cndmask_b32_e64 v3, 0, 1, s2
	v_cmp_ne_u32_e64 s2, 31, v9
	s_delay_alu instid0(VALU_DEP_2) | instskip(NEXT) | instid1(VALU_DEP_1)
	v_lshlrev_b32_e32 v3, 1, v3
	v_add_lshl_u32 v8, v3, v9, 2
	ds_bpermute_b32 v3, v8, v1
	ds_bpermute_b32 v4, v8, v2
	s_waitcnt lgkmcnt(0)
	v_add_f64 v[1:2], v[1:2], v[3:4]
	v_add_co_ci_u32_e64 v3, s2, 0, v9, s2
	s_delay_alu instid0(VALU_DEP_1)
	v_lshlrev_b32_e32 v9, 2, v3
	ds_bpermute_b32 v3, v9, v1
	ds_bpermute_b32 v4, v9, v2
	v_cmpx_eq_u32_e32 0, v10
	s_cbranch_execz .LBB439_8
; %bb.7:
	s_waitcnt lgkmcnt(0)
	v_add_f64 v[1:2], v[1:2], v[3:4]
	v_lshrrev_b32_e32 v3, 2, v0
	s_delay_alu instid0(VALU_DEP_1)
	v_and_b32_e32 v3, 0x78, v3
	ds_store_b64 v3, v[1:2]
.LBB439_8:
	s_or_b32 exec_lo, exec_lo, s4
	v_mov_b32_e32 v1, 0
	v_mov_b32_e32 v2, 0
	s_mov_b32 s4, exec_lo
	s_waitcnt lgkmcnt(0)
	s_barrier
	buffer_gl0_inv
	v_cmpx_gt_u32_e32 16, v0
	s_cbranch_execz .LBB439_10
; %bb.9:
	ds_load_b64 v[1:2], v5
.LBB439_10:
	s_or_b32 exec_lo, exec_lo, s4
	s_and_saveexec_b32 s2, vcc_lo
	s_cbranch_execz .LBB439_12
; %bb.11:
	s_waitcnt lgkmcnt(0)
	ds_bpermute_b32 v3, v6, v1
	ds_bpermute_b32 v4, v6, v2
	s_waitcnt lgkmcnt(0)
	v_add_f64 v[1:2], v[1:2], v[3:4]
	ds_bpermute_b32 v3, v7, v1
	ds_bpermute_b32 v4, v7, v2
	s_waitcnt lgkmcnt(0)
	v_add_f64 v[1:2], v[1:2], v[3:4]
	;; [unrolled: 4-line block ×4, first 2 shown]
.LBB439_12:
	s_or_b32 exec_lo, exec_lo, s2
	s_delay_alu instid0(SALU_CYCLE_1)
	s_mov_b32 s2, exec_lo
	v_cmpx_eq_u32_e32 0, v0
	s_cbranch_execz .LBB439_18
; %bb.13:
	s_cmp_lg_u32 s3, 1
	s_cbranch_scc0 .LBB439_15
; %bb.14:
	s_load_b64 s[4:5], s[0:1], 0x30
	s_mul_hi_u32 s7, s3, s8
	s_mul_i32 s6, s3, s8
	s_mov_b32 s15, 0
	s_lshl_b64 s[2:3], s[6:7], 3
	s_waitcnt lgkmcnt(0)
	s_add_u32 s4, s4, s2
	s_addc_u32 s5, s5, s3
	s_lshl_b64 s[2:3], s[14:15], 3
	s_delay_alu instid0(SALU_CYCLE_1)
	s_add_u32 s2, s4, s2
	s_addc_u32 s3, s5, s3
	s_cbranch_execz .LBB439_16
	s_branch .LBB439_17
.LBB439_15:
                                        ; implicit-def: $sgpr2_sgpr3
.LBB439_16:
	s_load_b64 s[0:1], s[0:1], 0x38
	s_lshl_b64 s[2:3], s[8:9], 3
	s_waitcnt lgkmcnt(0)
	s_add_u32 s2, s0, s2
	s_addc_u32 s3, s1, s3
.LBB439_17:
	v_mov_b32_e32 v0, 0
	s_waitcnt lgkmcnt(0)
	global_store_b64 v0, v[1:2], s[2:3]
.LBB439_18:
	s_nop 0
	s_sendmsg sendmsg(MSG_DEALLOC_VGPRS)
	s_endpgm
	.section	.rodata,"a",@progbits
	.p2align	6, 0x0
	.amdhsa_kernel _ZL24rocblas_dot_kernel_magsqIlLb0ELi512ELi2ELb0EdPKfdEviT5_lT_liPT6_PT4_
		.amdhsa_group_segment_fixed_size 256
		.amdhsa_private_segment_fixed_size 0
		.amdhsa_kernarg_size 320
		.amdhsa_user_sgpr_count 14
		.amdhsa_user_sgpr_dispatch_ptr 0
		.amdhsa_user_sgpr_queue_ptr 0
		.amdhsa_user_sgpr_kernarg_segment_ptr 1
		.amdhsa_user_sgpr_dispatch_id 0
		.amdhsa_user_sgpr_private_segment_size 0
		.amdhsa_wavefront_size32 1
		.amdhsa_uses_dynamic_stack 0
		.amdhsa_enable_private_segment 0
		.amdhsa_system_sgpr_workgroup_id_x 1
		.amdhsa_system_sgpr_workgroup_id_y 0
		.amdhsa_system_sgpr_workgroup_id_z 1
		.amdhsa_system_sgpr_workgroup_info 0
		.amdhsa_system_vgpr_workitem_id 0
		.amdhsa_next_free_vgpr 11
		.amdhsa_next_free_sgpr 18
		.amdhsa_reserve_vcc 1
		.amdhsa_float_round_mode_32 0
		.amdhsa_float_round_mode_16_64 0
		.amdhsa_float_denorm_mode_32 3
		.amdhsa_float_denorm_mode_16_64 3
		.amdhsa_dx10_clamp 1
		.amdhsa_ieee_mode 1
		.amdhsa_fp16_overflow 0
		.amdhsa_workgroup_processor_mode 1
		.amdhsa_memory_ordered 1
		.amdhsa_forward_progress 0
		.amdhsa_shared_vgpr_count 0
		.amdhsa_exception_fp_ieee_invalid_op 0
		.amdhsa_exception_fp_denorm_src 0
		.amdhsa_exception_fp_ieee_div_zero 0
		.amdhsa_exception_fp_ieee_overflow 0
		.amdhsa_exception_fp_ieee_underflow 0
		.amdhsa_exception_fp_ieee_inexact 0
		.amdhsa_exception_int_div_zero 0
	.end_amdhsa_kernel
	.section	.text._ZL24rocblas_dot_kernel_magsqIlLb0ELi512ELi2ELb0EdPKfdEviT5_lT_liPT6_PT4_,"axG",@progbits,_ZL24rocblas_dot_kernel_magsqIlLb0ELi512ELi2ELb0EdPKfdEviT5_lT_liPT6_PT4_,comdat
.Lfunc_end439:
	.size	_ZL24rocblas_dot_kernel_magsqIlLb0ELi512ELi2ELb0EdPKfdEviT5_lT_liPT6_PT4_, .Lfunc_end439-_ZL24rocblas_dot_kernel_magsqIlLb0ELi512ELi2ELb0EdPKfdEviT5_lT_liPT6_PT4_
                                        ; -- End function
	.section	.AMDGPU.csdata,"",@progbits
; Kernel info:
; codeLenInByte = 1080
; NumSgprs: 20
; NumVgprs: 11
; ScratchSize: 0
; MemoryBound: 0
; FloatMode: 240
; IeeeMode: 1
; LDSByteSize: 256 bytes/workgroup (compile time only)
; SGPRBlocks: 2
; VGPRBlocks: 1
; NumSGPRsForWavesPerEU: 20
; NumVGPRsForWavesPerEU: 11
; Occupancy: 16
; WaveLimiterHint : 0
; COMPUTE_PGM_RSRC2:SCRATCH_EN: 0
; COMPUTE_PGM_RSRC2:USER_SGPR: 14
; COMPUTE_PGM_RSRC2:TRAP_HANDLER: 0
; COMPUTE_PGM_RSRC2:TGID_X_EN: 1
; COMPUTE_PGM_RSRC2:TGID_Y_EN: 0
; COMPUTE_PGM_RSRC2:TGID_Z_EN: 1
; COMPUTE_PGM_RSRC2:TIDIG_COMP_CNT: 0
	.section	.text._ZL28rocblas_dot_batched_4_kernelIiLi32ELi4ELb0EddPKPKfEviT5_lT_lS4_lS5_liPT4_,"axG",@progbits,_ZL28rocblas_dot_batched_4_kernelIiLi32ELi4ELb0EddPKPKfEviT5_lT_lS4_lS5_liPT4_,comdat
	.globl	_ZL28rocblas_dot_batched_4_kernelIiLi32ELi4ELb0EddPKPKfEviT5_lT_lS4_lS5_liPT4_ ; -- Begin function _ZL28rocblas_dot_batched_4_kernelIiLi32ELi4ELb0EddPKPKfEviT5_lT_lS4_lS5_liPT4_
	.p2align	8
	.type	_ZL28rocblas_dot_batched_4_kernelIiLi32ELi4ELb0EddPKPKfEviT5_lT_lS4_lS5_liPT4_,@function
_ZL28rocblas_dot_batched_4_kernelIiLi32ELi4ELb0EddPKPKfEviT5_lT_lS4_lS5_liPT4_: ; @_ZL28rocblas_dot_batched_4_kernelIiLi32ELi4ELb0EddPKPKfEviT5_lT_lS4_lS5_liPT4_
; %bb.0:
	s_load_b32 s2, s[0:1], 0x48
	v_bfe_u32 v1, v0, 10, 10
	s_delay_alu instid0(VALU_DEP_1) | instskip(SKIP_1) | instid1(VALU_DEP_1)
	v_lshl_add_u32 v4, s15, 2, v1
	s_waitcnt lgkmcnt(0)
	v_cmp_gt_u32_e32 vcc_lo, s2, v4
	s_and_saveexec_b32 s2, vcc_lo
	s_cbranch_execz .LBB440_7
; %bb.1:
	s_clause 0x1
	s_load_b32 s12, s[0:1], 0x0
	s_load_b64 s[2:3], s[0:1], 0x50
	v_dual_mov_b32 v5, 0 :: v_dual_and_b32 v8, 0x3ff, v0
	v_mov_b32_e32 v2, 0
	v_mov_b32_e32 v3, 0
	s_mov_b32 s13, exec_lo
	s_delay_alu instid0(VALU_DEP_3)
	v_lshlrev_b64 v[0:1], 3, v[4:5]
	s_waitcnt lgkmcnt(0)
	v_cmpx_gt_i32_e64 s12, v8
	s_cbranch_execz .LBB440_5
; %bb.2:
	s_clause 0x3
	s_load_b128 s[4:7], s[0:1], 0x8
	s_load_b128 s[8:11], s[0:1], 0x28
	s_load_b32 s14, s[0:1], 0x18
	s_load_b32 s0, s[0:1], 0x38
	s_waitcnt lgkmcnt(0)
	v_add_co_u32 v2, vcc_lo, s4, v0
	v_add_co_ci_u32_e32 v3, vcc_lo, s5, v1, vcc_lo
	v_add_co_u32 v4, vcc_lo, s8, v0
	v_add_co_ci_u32_e32 v5, vcc_lo, s9, v1, vcc_lo
	v_mad_i64_i32 v[11:12], null, s0, v8, 0
	global_load_b64 v[6:7], v[2:3], off
	global_load_b64 v[9:10], v[4:5], off
	v_mad_i64_i32 v[4:5], null, s14, v8, 0
	s_lshl_b64 s[4:5], s[6:7], 2
	s_lshl_b64 s[6:7], s[10:11], 2
	v_mov_b32_e32 v2, 0
	v_lshlrev_b64 v[11:12], 2, v[11:12]
	v_mov_b32_e32 v3, 0
	s_ashr_i32 s15, s14, 31
	s_delay_alu instid0(VALU_DEP_4) | instskip(SKIP_1) | instid1(VALU_DEP_1)
	v_lshlrev_b64 v[4:5], 2, v[4:5]
	s_ashr_i32 s1, s0, 31
	v_add_co_u32 v4, vcc_lo, v4, s4
	s_delay_alu instid0(VALU_DEP_2)
	v_add_co_ci_u32_e32 v5, vcc_lo, s5, v5, vcc_lo
	v_add_co_u32 v11, vcc_lo, v11, s6
	v_add_co_ci_u32_e32 v12, vcc_lo, s7, v12, vcc_lo
	s_lshl_b64 s[4:5], s[14:15], 7
	s_lshl_b64 s[6:7], s[0:1], 7
	s_mov_b32 s1, 0
	s_waitcnt vmcnt(1)
	v_add_co_u32 v4, vcc_lo, v6, v4
	v_add_co_ci_u32_e32 v5, vcc_lo, v7, v5, vcc_lo
	s_waitcnt vmcnt(0)
	v_add_co_u32 v6, vcc_lo, v9, v11
	v_mov_b32_e32 v9, v8
	v_add_co_ci_u32_e32 v7, vcc_lo, v10, v12, vcc_lo
	.p2align	6
.LBB440_3:                              ; =>This Inner Loop Header: Depth=1
	global_load_b32 v10, v[4:5], off
	global_load_b32 v12, v[6:7], off
	v_add_nc_u32_e32 v9, 32, v9
	v_add_co_u32 v4, vcc_lo, v4, s4
	v_add_co_ci_u32_e32 v5, vcc_lo, s5, v5, vcc_lo
	s_delay_alu instid0(VALU_DEP_3) | instskip(SKIP_1) | instid1(VALU_DEP_1)
	v_cmp_le_i32_e32 vcc_lo, s12, v9
	v_add_co_u32 v6, s0, v6, s6
	v_add_co_ci_u32_e64 v7, s0, s7, v7, s0
	s_or_b32 s1, vcc_lo, s1
	s_waitcnt vmcnt(1)
	v_cvt_f64_f32_e32 v[10:11], v10
	s_waitcnt vmcnt(0)
	v_cvt_f64_f32_e32 v[12:13], v12
	s_delay_alu instid0(VALU_DEP_1)
	v_fma_f64 v[2:3], v[10:11], v[12:13], v[2:3]
	s_and_not1_b32 exec_lo, exec_lo, s1
	s_cbranch_execnz .LBB440_3
; %bb.4:
	s_or_b32 exec_lo, exec_lo, s1
.LBB440_5:
	s_delay_alu instid0(SALU_CYCLE_1)
	s_or_b32 exec_lo, exec_lo, s13
	v_mbcnt_lo_u32_b32 v6, -1, 0
	s_barrier
	buffer_gl0_inv
	v_cmp_gt_u32_e32 vcc_lo, 16, v6
	v_cndmask_b32_e64 v4, 0, 1, vcc_lo
	v_cmp_gt_u32_e32 vcc_lo, 24, v6
	s_delay_alu instid0(VALU_DEP_2) | instskip(NEXT) | instid1(VALU_DEP_1)
	v_lshlrev_b32_e32 v4, 4, v4
	v_add_lshl_u32 v5, v4, v6, 2
	ds_bpermute_b32 v4, v5, v2
	ds_bpermute_b32 v5, v5, v3
	s_waitcnt lgkmcnt(0)
	v_add_f64 v[2:3], v[2:3], v[4:5]
	v_cndmask_b32_e64 v4, 0, 1, vcc_lo
	v_cmp_gt_u32_e32 vcc_lo, 28, v6
	s_delay_alu instid0(VALU_DEP_2) | instskip(NEXT) | instid1(VALU_DEP_1)
	v_lshlrev_b32_e32 v4, 3, v4
	v_add_lshl_u32 v5, v4, v6, 2
	ds_bpermute_b32 v4, v5, v2
	ds_bpermute_b32 v5, v5, v3
	s_waitcnt lgkmcnt(0)
	v_add_f64 v[2:3], v[2:3], v[4:5]
	v_cndmask_b32_e64 v4, 0, 1, vcc_lo
	v_cmp_gt_u32_e32 vcc_lo, 30, v6
	s_delay_alu instid0(VALU_DEP_2) | instskip(NEXT) | instid1(VALU_DEP_1)
	v_lshlrev_b32_e32 v4, 2, v4
	v_add_lshl_u32 v5, v4, v6, 2
	ds_bpermute_b32 v4, v5, v2
	ds_bpermute_b32 v5, v5, v3
	s_waitcnt lgkmcnt(0)
	v_add_f64 v[2:3], v[2:3], v[4:5]
	v_cndmask_b32_e64 v4, 0, 1, vcc_lo
	v_cmp_ne_u32_e32 vcc_lo, 31, v6
	s_delay_alu instid0(VALU_DEP_2) | instskip(NEXT) | instid1(VALU_DEP_1)
	v_lshlrev_b32_e32 v4, 1, v4
	v_add_lshl_u32 v5, v4, v6, 2
	ds_bpermute_b32 v4, v5, v2
	ds_bpermute_b32 v5, v5, v3
	s_waitcnt lgkmcnt(0)
	v_add_f64 v[2:3], v[2:3], v[4:5]
	v_add_co_ci_u32_e32 v4, vcc_lo, 0, v6, vcc_lo
	v_cmp_eq_u32_e32 vcc_lo, 0, v8
	s_delay_alu instid0(VALU_DEP_2)
	v_lshlrev_b32_e32 v5, 2, v4
	ds_bpermute_b32 v4, v5, v2
	ds_bpermute_b32 v5, v5, v3
	s_and_b32 exec_lo, exec_lo, vcc_lo
	s_cbranch_execz .LBB440_7
; %bb.6:
	s_waitcnt lgkmcnt(0)
	v_add_f64 v[2:3], v[2:3], v[4:5]
	v_add_co_u32 v0, vcc_lo, s2, v0
	v_add_co_ci_u32_e32 v1, vcc_lo, s3, v1, vcc_lo
	global_store_b64 v[0:1], v[2:3], off
.LBB440_7:
	s_nop 0
	s_sendmsg sendmsg(MSG_DEALLOC_VGPRS)
	s_endpgm
	.section	.rodata,"a",@progbits
	.p2align	6, 0x0
	.amdhsa_kernel _ZL28rocblas_dot_batched_4_kernelIiLi32ELi4ELb0EddPKPKfEviT5_lT_lS4_lS5_liPT4_
		.amdhsa_group_segment_fixed_size 0
		.amdhsa_private_segment_fixed_size 0
		.amdhsa_kernarg_size 88
		.amdhsa_user_sgpr_count 15
		.amdhsa_user_sgpr_dispatch_ptr 0
		.amdhsa_user_sgpr_queue_ptr 0
		.amdhsa_user_sgpr_kernarg_segment_ptr 1
		.amdhsa_user_sgpr_dispatch_id 0
		.amdhsa_user_sgpr_private_segment_size 0
		.amdhsa_wavefront_size32 1
		.amdhsa_uses_dynamic_stack 0
		.amdhsa_enable_private_segment 0
		.amdhsa_system_sgpr_workgroup_id_x 1
		.amdhsa_system_sgpr_workgroup_id_y 0
		.amdhsa_system_sgpr_workgroup_id_z 0
		.amdhsa_system_sgpr_workgroup_info 0
		.amdhsa_system_vgpr_workitem_id 1
		.amdhsa_next_free_vgpr 14
		.amdhsa_next_free_sgpr 16
		.amdhsa_reserve_vcc 1
		.amdhsa_float_round_mode_32 0
		.amdhsa_float_round_mode_16_64 0
		.amdhsa_float_denorm_mode_32 3
		.amdhsa_float_denorm_mode_16_64 3
		.amdhsa_dx10_clamp 1
		.amdhsa_ieee_mode 1
		.amdhsa_fp16_overflow 0
		.amdhsa_workgroup_processor_mode 1
		.amdhsa_memory_ordered 1
		.amdhsa_forward_progress 0
		.amdhsa_shared_vgpr_count 0
		.amdhsa_exception_fp_ieee_invalid_op 0
		.amdhsa_exception_fp_denorm_src 0
		.amdhsa_exception_fp_ieee_div_zero 0
		.amdhsa_exception_fp_ieee_overflow 0
		.amdhsa_exception_fp_ieee_underflow 0
		.amdhsa_exception_fp_ieee_inexact 0
		.amdhsa_exception_int_div_zero 0
	.end_amdhsa_kernel
	.section	.text._ZL28rocblas_dot_batched_4_kernelIiLi32ELi4ELb0EddPKPKfEviT5_lT_lS4_lS5_liPT4_,"axG",@progbits,_ZL28rocblas_dot_batched_4_kernelIiLi32ELi4ELb0EddPKPKfEviT5_lT_lS4_lS5_liPT4_,comdat
.Lfunc_end440:
	.size	_ZL28rocblas_dot_batched_4_kernelIiLi32ELi4ELb0EddPKPKfEviT5_lT_lS4_lS5_liPT4_, .Lfunc_end440-_ZL28rocblas_dot_batched_4_kernelIiLi32ELi4ELb0EddPKPKfEviT5_lT_lS4_lS5_liPT4_
                                        ; -- End function
	.section	.AMDGPU.csdata,"",@progbits
; Kernel info:
; codeLenInByte = 772
; NumSgprs: 18
; NumVgprs: 14
; ScratchSize: 0
; MemoryBound: 0
; FloatMode: 240
; IeeeMode: 1
; LDSByteSize: 0 bytes/workgroup (compile time only)
; SGPRBlocks: 2
; VGPRBlocks: 1
; NumSGPRsForWavesPerEU: 18
; NumVGPRsForWavesPerEU: 14
; Occupancy: 16
; WaveLimiterHint : 0
; COMPUTE_PGM_RSRC2:SCRATCH_EN: 0
; COMPUTE_PGM_RSRC2:USER_SGPR: 15
; COMPUTE_PGM_RSRC2:TRAP_HANDLER: 0
; COMPUTE_PGM_RSRC2:TGID_X_EN: 1
; COMPUTE_PGM_RSRC2:TGID_Y_EN: 0
; COMPUTE_PGM_RSRC2:TGID_Z_EN: 0
; COMPUTE_PGM_RSRC2:TIDIG_COMP_CNT: 1
	.section	.text._ZL28rocblas_dot_batched_4_kernelIiLi64ELi4ELb0EddPKPKfEviT5_lT_lS4_lS5_liPT4_,"axG",@progbits,_ZL28rocblas_dot_batched_4_kernelIiLi64ELi4ELb0EddPKPKfEviT5_lT_lS4_lS5_liPT4_,comdat
	.globl	_ZL28rocblas_dot_batched_4_kernelIiLi64ELi4ELb0EddPKPKfEviT5_lT_lS4_lS5_liPT4_ ; -- Begin function _ZL28rocblas_dot_batched_4_kernelIiLi64ELi4ELb0EddPKPKfEviT5_lT_lS4_lS5_liPT4_
	.p2align	8
	.type	_ZL28rocblas_dot_batched_4_kernelIiLi64ELi4ELb0EddPKPKfEviT5_lT_lS4_lS5_liPT4_,@function
_ZL28rocblas_dot_batched_4_kernelIiLi64ELi4ELb0EddPKPKfEviT5_lT_lS4_lS5_liPT4_: ; @_ZL28rocblas_dot_batched_4_kernelIiLi64ELi4ELb0EddPKPKfEviT5_lT_lS4_lS5_liPT4_
; %bb.0:
	s_load_b32 s2, s[0:1], 0x48
	v_bfe_u32 v1, v0, 10, 10
	s_delay_alu instid0(VALU_DEP_1) | instskip(SKIP_1) | instid1(VALU_DEP_1)
	v_lshl_add_u32 v4, s15, 2, v1
	s_waitcnt lgkmcnt(0)
	v_cmp_gt_u32_e32 vcc_lo, s2, v4
	s_and_saveexec_b32 s2, vcc_lo
	s_cbranch_execz .LBB441_7
; %bb.1:
	s_clause 0x1
	s_load_b32 s12, s[0:1], 0x0
	s_load_b64 s[2:3], s[0:1], 0x50
	v_dual_mov_b32 v5, 0 :: v_dual_and_b32 v8, 0x3ff, v0
	v_mov_b32_e32 v2, 0
	v_mov_b32_e32 v3, 0
	s_mov_b32 s13, exec_lo
	s_delay_alu instid0(VALU_DEP_3)
	v_lshlrev_b64 v[0:1], 3, v[4:5]
	s_waitcnt lgkmcnt(0)
	v_cmpx_gt_i32_e64 s12, v8
	s_cbranch_execz .LBB441_5
; %bb.2:
	s_clause 0x3
	s_load_b128 s[4:7], s[0:1], 0x8
	s_load_b128 s[8:11], s[0:1], 0x28
	s_load_b32 s14, s[0:1], 0x18
	s_load_b32 s0, s[0:1], 0x38
	s_waitcnt lgkmcnt(0)
	v_add_co_u32 v2, vcc_lo, s4, v0
	v_add_co_ci_u32_e32 v3, vcc_lo, s5, v1, vcc_lo
	v_add_co_u32 v4, vcc_lo, s8, v0
	v_add_co_ci_u32_e32 v5, vcc_lo, s9, v1, vcc_lo
	v_mad_i64_i32 v[11:12], null, s0, v8, 0
	global_load_b64 v[6:7], v[2:3], off
	global_load_b64 v[9:10], v[4:5], off
	v_mad_i64_i32 v[4:5], null, s14, v8, 0
	s_lshl_b64 s[4:5], s[6:7], 2
	s_lshl_b64 s[6:7], s[10:11], 2
	v_mov_b32_e32 v2, 0
	v_lshlrev_b64 v[11:12], 2, v[11:12]
	v_mov_b32_e32 v3, 0
	s_ashr_i32 s15, s14, 31
	s_delay_alu instid0(VALU_DEP_4) | instskip(SKIP_1) | instid1(VALU_DEP_1)
	v_lshlrev_b64 v[4:5], 2, v[4:5]
	s_ashr_i32 s1, s0, 31
	v_add_co_u32 v4, vcc_lo, v4, s4
	s_delay_alu instid0(VALU_DEP_2)
	v_add_co_ci_u32_e32 v5, vcc_lo, s5, v5, vcc_lo
	v_add_co_u32 v11, vcc_lo, v11, s6
	v_add_co_ci_u32_e32 v12, vcc_lo, s7, v12, vcc_lo
	s_lshl_b64 s[4:5], s[14:15], 8
	s_lshl_b64 s[6:7], s[0:1], 8
	s_mov_b32 s1, 0
	s_waitcnt vmcnt(1)
	v_add_co_u32 v4, vcc_lo, v6, v4
	v_add_co_ci_u32_e32 v5, vcc_lo, v7, v5, vcc_lo
	s_waitcnt vmcnt(0)
	v_add_co_u32 v6, vcc_lo, v9, v11
	v_mov_b32_e32 v9, v8
	v_add_co_ci_u32_e32 v7, vcc_lo, v10, v12, vcc_lo
	.p2align	6
.LBB441_3:                              ; =>This Inner Loop Header: Depth=1
	global_load_b32 v10, v[4:5], off
	global_load_b32 v12, v[6:7], off
	v_add_nc_u32_e32 v9, 64, v9
	v_add_co_u32 v4, vcc_lo, v4, s4
	v_add_co_ci_u32_e32 v5, vcc_lo, s5, v5, vcc_lo
	s_delay_alu instid0(VALU_DEP_3) | instskip(SKIP_1) | instid1(VALU_DEP_1)
	v_cmp_le_i32_e32 vcc_lo, s12, v9
	v_add_co_u32 v6, s0, v6, s6
	v_add_co_ci_u32_e64 v7, s0, s7, v7, s0
	s_or_b32 s1, vcc_lo, s1
	s_waitcnt vmcnt(1)
	v_cvt_f64_f32_e32 v[10:11], v10
	s_waitcnt vmcnt(0)
	v_cvt_f64_f32_e32 v[12:13], v12
	s_delay_alu instid0(VALU_DEP_1)
	v_fma_f64 v[2:3], v[10:11], v[12:13], v[2:3]
	s_and_not1_b32 exec_lo, exec_lo, s1
	s_cbranch_execnz .LBB441_3
; %bb.4:
	s_or_b32 exec_lo, exec_lo, s1
.LBB441_5:
	s_delay_alu instid0(SALU_CYCLE_1)
	s_or_b32 exec_lo, exec_lo, s13
	v_mbcnt_lo_u32_b32 v6, -1, 0
	s_barrier
	buffer_gl0_inv
	v_lshlrev_b32_e32 v5, 2, v6
	v_cmp_gt_u32_e32 vcc_lo, 16, v6
	ds_bpermute_b32 v4, v5, v2
	ds_bpermute_b32 v5, v5, v3
	s_waitcnt lgkmcnt(0)
	v_add_f64 v[2:3], v[2:3], v[4:5]
	v_cndmask_b32_e64 v4, 0, 1, vcc_lo
	v_cmp_gt_u32_e32 vcc_lo, 24, v6
	s_delay_alu instid0(VALU_DEP_2) | instskip(NEXT) | instid1(VALU_DEP_1)
	v_lshlrev_b32_e32 v4, 4, v4
	v_add_lshl_u32 v5, v4, v6, 2
	ds_bpermute_b32 v4, v5, v2
	ds_bpermute_b32 v5, v5, v3
	s_waitcnt lgkmcnt(0)
	v_add_f64 v[2:3], v[2:3], v[4:5]
	v_cndmask_b32_e64 v4, 0, 1, vcc_lo
	v_cmp_gt_u32_e32 vcc_lo, 28, v6
	s_delay_alu instid0(VALU_DEP_2) | instskip(NEXT) | instid1(VALU_DEP_1)
	v_lshlrev_b32_e32 v4, 3, v4
	v_add_lshl_u32 v5, v4, v6, 2
	;; [unrolled: 9-line block ×3, first 2 shown]
	ds_bpermute_b32 v4, v5, v2
	ds_bpermute_b32 v5, v5, v3
	s_waitcnt lgkmcnt(0)
	v_add_f64 v[2:3], v[2:3], v[4:5]
	v_cndmask_b32_e64 v4, 0, 1, vcc_lo
	v_cmp_ne_u32_e32 vcc_lo, 31, v6
	s_delay_alu instid0(VALU_DEP_2) | instskip(NEXT) | instid1(VALU_DEP_1)
	v_lshlrev_b32_e32 v4, 1, v4
	v_add_lshl_u32 v5, v4, v6, 2
	ds_bpermute_b32 v4, v5, v2
	ds_bpermute_b32 v5, v5, v3
	s_waitcnt lgkmcnt(0)
	v_add_f64 v[2:3], v[2:3], v[4:5]
	v_add_co_ci_u32_e32 v4, vcc_lo, 0, v6, vcc_lo
	v_cmp_eq_u32_e32 vcc_lo, 0, v8
	s_delay_alu instid0(VALU_DEP_2)
	v_lshlrev_b32_e32 v5, 2, v4
	ds_bpermute_b32 v4, v5, v2
	ds_bpermute_b32 v5, v5, v3
	s_and_b32 exec_lo, exec_lo, vcc_lo
	s_cbranch_execz .LBB441_7
; %bb.6:
	s_waitcnt lgkmcnt(0)
	v_add_f64 v[2:3], v[2:3], v[4:5]
	v_add_co_u32 v0, vcc_lo, s2, v0
	v_add_co_ci_u32_e32 v1, vcc_lo, s3, v1, vcc_lo
	global_store_b64 v[0:1], v[2:3], off
.LBB441_7:
	s_nop 0
	s_sendmsg sendmsg(MSG_DEALLOC_VGPRS)
	s_endpgm
	.section	.rodata,"a",@progbits
	.p2align	6, 0x0
	.amdhsa_kernel _ZL28rocblas_dot_batched_4_kernelIiLi64ELi4ELb0EddPKPKfEviT5_lT_lS4_lS5_liPT4_
		.amdhsa_group_segment_fixed_size 0
		.amdhsa_private_segment_fixed_size 0
		.amdhsa_kernarg_size 88
		.amdhsa_user_sgpr_count 15
		.amdhsa_user_sgpr_dispatch_ptr 0
		.amdhsa_user_sgpr_queue_ptr 0
		.amdhsa_user_sgpr_kernarg_segment_ptr 1
		.amdhsa_user_sgpr_dispatch_id 0
		.amdhsa_user_sgpr_private_segment_size 0
		.amdhsa_wavefront_size32 1
		.amdhsa_uses_dynamic_stack 0
		.amdhsa_enable_private_segment 0
		.amdhsa_system_sgpr_workgroup_id_x 1
		.amdhsa_system_sgpr_workgroup_id_y 0
		.amdhsa_system_sgpr_workgroup_id_z 0
		.amdhsa_system_sgpr_workgroup_info 0
		.amdhsa_system_vgpr_workitem_id 1
		.amdhsa_next_free_vgpr 14
		.amdhsa_next_free_sgpr 16
		.amdhsa_reserve_vcc 1
		.amdhsa_float_round_mode_32 0
		.amdhsa_float_round_mode_16_64 0
		.amdhsa_float_denorm_mode_32 3
		.amdhsa_float_denorm_mode_16_64 3
		.amdhsa_dx10_clamp 1
		.amdhsa_ieee_mode 1
		.amdhsa_fp16_overflow 0
		.amdhsa_workgroup_processor_mode 1
		.amdhsa_memory_ordered 1
		.amdhsa_forward_progress 0
		.amdhsa_shared_vgpr_count 0
		.amdhsa_exception_fp_ieee_invalid_op 0
		.amdhsa_exception_fp_denorm_src 0
		.amdhsa_exception_fp_ieee_div_zero 0
		.amdhsa_exception_fp_ieee_overflow 0
		.amdhsa_exception_fp_ieee_underflow 0
		.amdhsa_exception_fp_ieee_inexact 0
		.amdhsa_exception_int_div_zero 0
	.end_amdhsa_kernel
	.section	.text._ZL28rocblas_dot_batched_4_kernelIiLi64ELi4ELb0EddPKPKfEviT5_lT_lS4_lS5_liPT4_,"axG",@progbits,_ZL28rocblas_dot_batched_4_kernelIiLi64ELi4ELb0EddPKPKfEviT5_lT_lS4_lS5_liPT4_,comdat
.Lfunc_end441:
	.size	_ZL28rocblas_dot_batched_4_kernelIiLi64ELi4ELb0EddPKPKfEviT5_lT_lS4_lS5_liPT4_, .Lfunc_end441-_ZL28rocblas_dot_batched_4_kernelIiLi64ELi4ELb0EddPKPKfEviT5_lT_lS4_lS5_liPT4_
                                        ; -- End function
	.section	.AMDGPU.csdata,"",@progbits
; Kernel info:
; codeLenInByte = 804
; NumSgprs: 18
; NumVgprs: 14
; ScratchSize: 0
; MemoryBound: 0
; FloatMode: 240
; IeeeMode: 1
; LDSByteSize: 0 bytes/workgroup (compile time only)
; SGPRBlocks: 2
; VGPRBlocks: 1
; NumSGPRsForWavesPerEU: 18
; NumVGPRsForWavesPerEU: 14
; Occupancy: 16
; WaveLimiterHint : 0
; COMPUTE_PGM_RSRC2:SCRATCH_EN: 0
; COMPUTE_PGM_RSRC2:USER_SGPR: 15
; COMPUTE_PGM_RSRC2:TRAP_HANDLER: 0
; COMPUTE_PGM_RSRC2:TGID_X_EN: 1
; COMPUTE_PGM_RSRC2:TGID_Y_EN: 0
; COMPUTE_PGM_RSRC2:TGID_Z_EN: 0
; COMPUTE_PGM_RSRC2:TIDIG_COMP_CNT: 1
	.section	.text._ZL26rocblas_dot_kernel_inc1by2ILb1ELi1024ELi32ELb0EdPKPKfdEviT4_llS4_lliPT5_PT3_,"axG",@progbits,_ZL26rocblas_dot_kernel_inc1by2ILb1ELi1024ELi32ELb0EdPKPKfdEviT4_llS4_lliPT5_PT3_,comdat
	.globl	_ZL26rocblas_dot_kernel_inc1by2ILb1ELi1024ELi32ELb0EdPKPKfdEviT4_llS4_lliPT5_PT3_ ; -- Begin function _ZL26rocblas_dot_kernel_inc1by2ILb1ELi1024ELi32ELb0EdPKPKfdEviT4_llS4_lliPT5_PT3_
	.p2align	8
	.type	_ZL26rocblas_dot_kernel_inc1by2ILb1ELi1024ELi32ELb0EdPKPKfdEviT4_llS4_lliPT5_PT3_,@function
_ZL26rocblas_dot_kernel_inc1by2ILb1ELi1024ELi32ELb0EdPKPKfdEviT4_llS4_lliPT5_PT3_: ; @_ZL26rocblas_dot_kernel_inc1by2ILb1ELi1024ELi32ELb0EdPKPKfdEviT4_llS4_lliPT5_PT3_
; %bb.0:
	s_clause 0x1
	s_load_b32 s6, s[0:1], 0x0
	s_load_b64 s[2:3], s[0:1], 0x48
	v_mov_b32_e32 v1, 0
	v_mov_b32_e32 v2, 0
	s_mov_b32 s4, s15
	s_mov_b32 s5, 0
	s_mov_b32 s7, exec_lo
	s_waitcnt lgkmcnt(0)
	v_cmpx_gt_i32_e64 s6, v0
	s_cbranch_execz .LBB442_4
; %bb.1:
	s_clause 0x1
	s_load_b128 s[8:11], s[0:1], 0x8
	s_load_b128 s[12:15], s[0:1], 0x20
	s_lshl_b64 s[0:1], s[4:5], 3
	v_lshlrev_b32_e32 v5, 2, v0
	v_mov_b32_e32 v1, 0
	v_mov_b32_e32 v2, 0
	v_or_b32_e32 v7, 0x400, v0
	s_waitcnt lgkmcnt(0)
	s_add_u32 s8, s8, s0
	s_addc_u32 s9, s9, s1
	s_add_u32 s0, s12, s0
	s_addc_u32 s1, s13, s1
	s_lshl_b64 s[12:13], s[14:15], 2
	s_load_b64 s[0:1], s[0:1], 0x0
	s_load_b64 s[8:9], s[8:9], 0x0
	s_waitcnt lgkmcnt(0)
	s_add_u32 s12, s0, s12
	s_addc_u32 s13, s1, s13
	s_lshl_b64 s[0:1], s[10:11], 2
	v_add_co_u32 v3, s10, s12, v5
	s_add_u32 s0, s8, s0
	s_addc_u32 s1, s9, s1
	v_add_co_u32 v5, s0, s0, v5
	v_add_co_ci_u32_e64 v4, null, s13, 0, s10
	v_add_co_ci_u32_e64 v6, null, s1, 0, s0
	s_mov_b32 s1, s5
	s_mov_b32 s8, s5
	.p2align	6
.LBB442_2:                              ; =>This Inner Loop Header: Depth=1
	global_load_b32 v8, v[3:4], off
	global_load_b32 v10, v[5:6], off
	s_add_i32 s9, s8, 1
	v_cmp_le_i32_e32 vcc_lo, s6, v7
	v_add_co_u32 v3, s0, 0x1000, v3
	s_cmp_gt_u32 s8, 30
	v_add_co_ci_u32_e64 v4, s0, 0, v4, s0
	s_cselect_b32 s8, -1, 0
	v_add_co_u32 v5, s0, 0x1000, v5
	s_or_b32 s8, s8, vcc_lo
	v_add_nc_u32_e32 v7, 0x400, v7
	v_add_co_ci_u32_e64 v6, vcc_lo, 0, v6, s0
	s_and_b32 s0, exec_lo, s8
	s_mov_b32 s8, s9
	s_or_b32 s1, s0, s1
	s_waitcnt vmcnt(1)
	v_cvt_f64_f32_e32 v[8:9], v8
	s_waitcnt vmcnt(0)
	v_cvt_f64_f32_e32 v[10:11], v10
	s_delay_alu instid0(VALU_DEP_1)
	v_fma_f64 v[1:2], v[8:9], v[10:11], v[1:2]
	s_and_not1_b32 exec_lo, exec_lo, s1
	s_cbranch_execnz .LBB442_2
; %bb.3:
	s_or_b32 exec_lo, exec_lo, s1
.LBB442_4:
	s_delay_alu instid0(SALU_CYCLE_1) | instskip(SKIP_2) | instid1(VALU_DEP_2)
	s_or_b32 exec_lo, exec_lo, s7
	v_and_b32_e32 v11, 31, v0
	v_cmp_gt_u32_e32 vcc_lo, 32, v0
	v_lshlrev_b32_e32 v5, 3, v11
	s_and_saveexec_b32 s0, vcc_lo
	s_cbranch_execz .LBB442_6
; %bb.5:
	v_mov_b32_e32 v3, 0
	s_delay_alu instid0(VALU_DEP_1)
	v_mov_b32_e32 v4, v3
	ds_store_b64 v5, v[3:4]
.LBB442_6:
	s_or_b32 exec_lo, exec_lo, s0
	v_mbcnt_lo_u32_b32 v10, -1, 0
	s_mov_b32 s1, exec_lo
	s_waitcnt lgkmcnt(0)
	s_barrier
	buffer_gl0_inv
	v_cmp_gt_u32_e64 s0, 16, v10
	s_delay_alu instid0(VALU_DEP_1) | instskip(SKIP_1) | instid1(VALU_DEP_2)
	v_cndmask_b32_e64 v3, 0, 1, s0
	v_cmp_gt_u32_e64 s0, 24, v10
	v_lshlrev_b32_e32 v3, 4, v3
	s_delay_alu instid0(VALU_DEP_1)
	v_add_lshl_u32 v6, v3, v10, 2
	ds_bpermute_b32 v3, v6, v1
	ds_bpermute_b32 v4, v6, v2
	s_waitcnt lgkmcnt(0)
	v_add_f64 v[1:2], v[1:2], v[3:4]
	v_cndmask_b32_e64 v3, 0, 1, s0
	v_cmp_gt_u32_e64 s0, 28, v10
	s_delay_alu instid0(VALU_DEP_2) | instskip(NEXT) | instid1(VALU_DEP_1)
	v_lshlrev_b32_e32 v3, 3, v3
	v_add_lshl_u32 v7, v3, v10, 2
	ds_bpermute_b32 v3, v7, v1
	ds_bpermute_b32 v4, v7, v2
	s_waitcnt lgkmcnt(0)
	v_add_f64 v[1:2], v[1:2], v[3:4]
	v_cndmask_b32_e64 v3, 0, 1, s0
	v_cmp_gt_u32_e64 s0, 30, v10
	s_delay_alu instid0(VALU_DEP_2) | instskip(NEXT) | instid1(VALU_DEP_1)
	v_lshlrev_b32_e32 v3, 2, v3
	v_add_lshl_u32 v8, v3, v10, 2
	ds_bpermute_b32 v3, v8, v1
	ds_bpermute_b32 v4, v8, v2
	s_waitcnt lgkmcnt(0)
	v_add_f64 v[1:2], v[1:2], v[3:4]
	v_cndmask_b32_e64 v3, 0, 1, s0
	v_cmp_ne_u32_e64 s0, 31, v10
	s_delay_alu instid0(VALU_DEP_2) | instskip(NEXT) | instid1(VALU_DEP_1)
	v_lshlrev_b32_e32 v3, 1, v3
	v_add_lshl_u32 v9, v3, v10, 2
	ds_bpermute_b32 v3, v9, v1
	ds_bpermute_b32 v4, v9, v2
	s_waitcnt lgkmcnt(0)
	v_add_f64 v[1:2], v[1:2], v[3:4]
	v_add_co_ci_u32_e64 v3, s0, 0, v10, s0
	s_delay_alu instid0(VALU_DEP_1)
	v_lshlrev_b32_e32 v10, 2, v3
	ds_bpermute_b32 v3, v10, v1
	ds_bpermute_b32 v4, v10, v2
	v_cmpx_eq_u32_e32 0, v11
	s_cbranch_execz .LBB442_8
; %bb.7:
	s_waitcnt lgkmcnt(0)
	v_add_f64 v[1:2], v[1:2], v[3:4]
	v_lshrrev_b32_e32 v3, 2, v0
	s_delay_alu instid0(VALU_DEP_1)
	v_and_b32_e32 v3, 0xf8, v3
	ds_store_b64 v3, v[1:2]
.LBB442_8:
	s_or_b32 exec_lo, exec_lo, s1
	v_mov_b32_e32 v1, 0
	v_mov_b32_e32 v2, 0
	s_waitcnt lgkmcnt(0)
	s_barrier
	buffer_gl0_inv
	s_and_saveexec_b32 s0, vcc_lo
	s_cbranch_execz .LBB442_10
; %bb.9:
	ds_load_b64 v[1:2], v5
.LBB442_10:
	s_or_b32 exec_lo, exec_lo, s0
	s_and_saveexec_b32 s0, vcc_lo
	s_cbranch_execz .LBB442_12
; %bb.11:
	s_waitcnt lgkmcnt(0)
	ds_bpermute_b32 v3, v6, v1
	ds_bpermute_b32 v4, v6, v2
	s_waitcnt lgkmcnt(0)
	v_add_f64 v[1:2], v[1:2], v[3:4]
	ds_bpermute_b32 v3, v7, v1
	ds_bpermute_b32 v4, v7, v2
	s_waitcnt lgkmcnt(0)
	v_add_f64 v[1:2], v[1:2], v[3:4]
	;; [unrolled: 4-line block ×5, first 2 shown]
.LBB442_12:
	s_or_b32 exec_lo, exec_lo, s0
	s_delay_alu instid0(SALU_CYCLE_1)
	s_mov_b32 s0, exec_lo
	v_cmpx_eq_u32_e32 0, v0
	s_cbranch_execz .LBB442_14
; %bb.13:
	s_lshl_b64 s[0:1], s[4:5], 3
	v_mov_b32_e32 v0, 0
	s_add_u32 s0, s2, s0
	s_addc_u32 s1, s3, s1
	s_waitcnt lgkmcnt(0)
	global_store_b64 v0, v[1:2], s[0:1]
.LBB442_14:
	s_nop 0
	s_sendmsg sendmsg(MSG_DEALLOC_VGPRS)
	s_endpgm
	.section	.rodata,"a",@progbits
	.p2align	6, 0x0
	.amdhsa_kernel _ZL26rocblas_dot_kernel_inc1by2ILb1ELi1024ELi32ELb0EdPKPKfdEviT4_llS4_lliPT5_PT3_
		.amdhsa_group_segment_fixed_size 256
		.amdhsa_private_segment_fixed_size 0
		.amdhsa_kernarg_size 80
		.amdhsa_user_sgpr_count 14
		.amdhsa_user_sgpr_dispatch_ptr 0
		.amdhsa_user_sgpr_queue_ptr 0
		.amdhsa_user_sgpr_kernarg_segment_ptr 1
		.amdhsa_user_sgpr_dispatch_id 0
		.amdhsa_user_sgpr_private_segment_size 0
		.amdhsa_wavefront_size32 1
		.amdhsa_uses_dynamic_stack 0
		.amdhsa_enable_private_segment 0
		.amdhsa_system_sgpr_workgroup_id_x 1
		.amdhsa_system_sgpr_workgroup_id_y 0
		.amdhsa_system_sgpr_workgroup_id_z 1
		.amdhsa_system_sgpr_workgroup_info 0
		.amdhsa_system_vgpr_workitem_id 0
		.amdhsa_next_free_vgpr 12
		.amdhsa_next_free_sgpr 16
		.amdhsa_reserve_vcc 1
		.amdhsa_float_round_mode_32 0
		.amdhsa_float_round_mode_16_64 0
		.amdhsa_float_denorm_mode_32 3
		.amdhsa_float_denorm_mode_16_64 3
		.amdhsa_dx10_clamp 1
		.amdhsa_ieee_mode 1
		.amdhsa_fp16_overflow 0
		.amdhsa_workgroup_processor_mode 1
		.amdhsa_memory_ordered 1
		.amdhsa_forward_progress 0
		.amdhsa_shared_vgpr_count 0
		.amdhsa_exception_fp_ieee_invalid_op 0
		.amdhsa_exception_fp_denorm_src 0
		.amdhsa_exception_fp_ieee_div_zero 0
		.amdhsa_exception_fp_ieee_overflow 0
		.amdhsa_exception_fp_ieee_underflow 0
		.amdhsa_exception_fp_ieee_inexact 0
		.amdhsa_exception_int_div_zero 0
	.end_amdhsa_kernel
	.section	.text._ZL26rocblas_dot_kernel_inc1by2ILb1ELi1024ELi32ELb0EdPKPKfdEviT4_llS4_lliPT5_PT3_,"axG",@progbits,_ZL26rocblas_dot_kernel_inc1by2ILb1ELi1024ELi32ELb0EdPKPKfdEviT4_llS4_lliPT5_PT3_,comdat
.Lfunc_end442:
	.size	_ZL26rocblas_dot_kernel_inc1by2ILb1ELi1024ELi32ELb0EdPKPKfdEviT4_llS4_lliPT5_PT3_, .Lfunc_end442-_ZL26rocblas_dot_kernel_inc1by2ILb1ELi1024ELi32ELb0EdPKPKfdEviT4_llS4_lliPT5_PT3_
                                        ; -- End function
	.section	.AMDGPU.csdata,"",@progbits
; Kernel info:
; codeLenInByte = 1008
; NumSgprs: 18
; NumVgprs: 12
; ScratchSize: 0
; MemoryBound: 0
; FloatMode: 240
; IeeeMode: 1
; LDSByteSize: 256 bytes/workgroup (compile time only)
; SGPRBlocks: 2
; VGPRBlocks: 1
; NumSGPRsForWavesPerEU: 18
; NumVGPRsForWavesPerEU: 12
; Occupancy: 16
; WaveLimiterHint : 0
; COMPUTE_PGM_RSRC2:SCRATCH_EN: 0
; COMPUTE_PGM_RSRC2:USER_SGPR: 14
; COMPUTE_PGM_RSRC2:TRAP_HANDLER: 0
; COMPUTE_PGM_RSRC2:TGID_X_EN: 1
; COMPUTE_PGM_RSRC2:TGID_Y_EN: 0
; COMPUTE_PGM_RSRC2:TGID_Z_EN: 1
; COMPUTE_PGM_RSRC2:TIDIG_COMP_CNT: 0
	.section	.text._ZL18rocblas_dot_kernelIiLb1ELi1024ELi32ELb0EdPKPKfdEviT5_lT_lS4_lS5_liPT6_PT4_,"axG",@progbits,_ZL18rocblas_dot_kernelIiLb1ELi1024ELi32ELb0EdPKPKfdEviT5_lT_lS4_lS5_liPT6_PT4_,comdat
	.globl	_ZL18rocblas_dot_kernelIiLb1ELi1024ELi32ELb0EdPKPKfdEviT5_lT_lS4_lS5_liPT6_PT4_ ; -- Begin function _ZL18rocblas_dot_kernelIiLb1ELi1024ELi32ELb0EdPKPKfdEviT5_lT_lS4_lS5_liPT6_PT4_
	.p2align	8
	.type	_ZL18rocblas_dot_kernelIiLb1ELi1024ELi32ELb0EdPKPKfdEviT5_lT_lS4_lS5_liPT6_PT4_,@function
_ZL18rocblas_dot_kernelIiLb1ELi1024ELi32ELb0EdPKPKfdEviT5_lT_lS4_lS5_liPT6_PT4_: ; @_ZL18rocblas_dot_kernelIiLb1ELi1024ELi32ELb0EdPKPKfdEviT5_lT_lS4_lS5_liPT6_PT4_
; %bb.0:
	s_clause 0x1
	s_load_b32 s14, s[0:1], 0x0
	s_load_b64 s[2:3], s[0:1], 0x58
	v_mov_b32_e32 v1, 0
	v_mov_b32_e32 v2, 0
	s_mov_b32 s12, s15
	s_mov_b32 s13, 0
	s_mov_b32 s15, exec_lo
	s_waitcnt lgkmcnt(0)
	v_cmpx_gt_i32_e64 s14, v0
	s_cbranch_execz .LBB443_4
; %bb.1:
	s_clause 0x4
	s_load_b128 s[8:11], s[0:1], 0x8
	s_load_b128 s[4:7], s[0:1], 0x28
	s_load_b32 s18, s[0:1], 0x18
	s_load_b32 s20, s[0:1], 0x38
	s_load_b32 s19, s[0:1], 0x60
	s_lshl_b64 s[0:1], s[12:13], 3
	v_mov_b32_e32 v1, 0
	v_mov_b32_e32 v2, 0
	s_waitcnt lgkmcnt(0)
	s_add_u32 s8, s8, s0
	s_addc_u32 s9, s9, s1
	s_add_u32 s0, s4, s0
	s_load_b64 s[8:9], s[8:9], 0x0
	s_addc_u32 s1, s5, s1
	v_mad_i64_i32 v[3:4], null, s18, v0, 0
	s_load_b64 s[16:17], s[0:1], 0x0
	v_mad_i64_i32 v[5:6], null, s20, v0, 0
	s_lshl_b32 s1, s19, 10
	s_lshl_b64 s[4:5], s[10:11], 2
	s_mul_hi_i32 s11, s18, s1
	s_delay_alu instid0(VALU_DEP_2) | instskip(SKIP_2) | instid1(VALU_DEP_3)
	v_lshlrev_b64 v[3:4], 2, v[3:4]
	s_mul_i32 s10, s18, s1
	v_or_b32_e32 v7, s1, v0
	v_lshlrev_b64 v[5:6], 2, v[5:6]
	s_mul_hi_i32 s19, s20, s1
	s_mul_i32 s18, s20, s1
	s_waitcnt lgkmcnt(0)
	s_add_u32 s0, s8, s4
	s_addc_u32 s8, s9, s5
	s_lshl_b64 s[6:7], s[6:7], 2
	s_lshl_b64 s[4:5], s[10:11], 2
	v_add_co_u32 v3, vcc_lo, s0, v3
	s_add_u32 s0, s16, s6
	v_add_co_ci_u32_e32 v4, vcc_lo, s8, v4, vcc_lo
	s_addc_u32 s6, s17, s7
	v_add_co_u32 v5, vcc_lo, s0, v5
	v_add_co_ci_u32_e32 v6, vcc_lo, s6, v6, vcc_lo
	s_lshl_b64 s[6:7], s[18:19], 2
	s_mov_b32 s8, s13
	s_mov_b32 s9, s13
	.p2align	6
.LBB443_2:                              ; =>This Inner Loop Header: Depth=1
	global_load_b32 v8, v[5:6], off
	global_load_b32 v10, v[3:4], off
	s_add_i32 s10, s9, 1
	v_cmp_le_i32_e32 vcc_lo, s14, v7
	v_add_co_u32 v3, s0, v3, s4
	s_cmp_gt_u32 s9, 30
	v_add_co_ci_u32_e64 v4, s0, s5, v4, s0
	s_cselect_b32 s9, -1, 0
	v_add_co_u32 v5, s0, v5, s6
	s_or_b32 s9, s9, vcc_lo
	v_add_nc_u32_e32 v7, s1, v7
	v_add_co_ci_u32_e64 v6, vcc_lo, s7, v6, s0
	s_and_b32 s0, exec_lo, s9
	s_mov_b32 s9, s10
	s_or_b32 s8, s0, s8
	s_waitcnt vmcnt(1)
	v_cvt_f64_f32_e32 v[8:9], v8
	s_waitcnt vmcnt(0)
	v_cvt_f64_f32_e32 v[10:11], v10
	s_delay_alu instid0(VALU_DEP_1)
	v_fma_f64 v[1:2], v[8:9], v[10:11], v[1:2]
	s_and_not1_b32 exec_lo, exec_lo, s8
	s_cbranch_execnz .LBB443_2
; %bb.3:
	s_or_b32 exec_lo, exec_lo, s8
.LBB443_4:
	s_delay_alu instid0(SALU_CYCLE_1) | instskip(SKIP_2) | instid1(VALU_DEP_2)
	s_or_b32 exec_lo, exec_lo, s15
	v_and_b32_e32 v11, 31, v0
	v_cmp_gt_u32_e32 vcc_lo, 32, v0
	v_lshlrev_b32_e32 v5, 3, v11
	s_and_saveexec_b32 s0, vcc_lo
	s_cbranch_execz .LBB443_6
; %bb.5:
	v_mov_b32_e32 v3, 0
	s_delay_alu instid0(VALU_DEP_1)
	v_mov_b32_e32 v4, v3
	ds_store_b64 v5, v[3:4]
.LBB443_6:
	s_or_b32 exec_lo, exec_lo, s0
	v_mbcnt_lo_u32_b32 v10, -1, 0
	s_mov_b32 s1, exec_lo
	s_waitcnt lgkmcnt(0)
	s_barrier
	buffer_gl0_inv
	v_cmp_gt_u32_e64 s0, 16, v10
	s_delay_alu instid0(VALU_DEP_1) | instskip(SKIP_1) | instid1(VALU_DEP_2)
	v_cndmask_b32_e64 v3, 0, 1, s0
	v_cmp_gt_u32_e64 s0, 24, v10
	v_lshlrev_b32_e32 v3, 4, v3
	s_delay_alu instid0(VALU_DEP_1)
	v_add_lshl_u32 v6, v3, v10, 2
	ds_bpermute_b32 v3, v6, v1
	ds_bpermute_b32 v4, v6, v2
	s_waitcnt lgkmcnt(0)
	v_add_f64 v[1:2], v[1:2], v[3:4]
	v_cndmask_b32_e64 v3, 0, 1, s0
	v_cmp_gt_u32_e64 s0, 28, v10
	s_delay_alu instid0(VALU_DEP_2) | instskip(NEXT) | instid1(VALU_DEP_1)
	v_lshlrev_b32_e32 v3, 3, v3
	v_add_lshl_u32 v7, v3, v10, 2
	ds_bpermute_b32 v3, v7, v1
	ds_bpermute_b32 v4, v7, v2
	s_waitcnt lgkmcnt(0)
	v_add_f64 v[1:2], v[1:2], v[3:4]
	v_cndmask_b32_e64 v3, 0, 1, s0
	v_cmp_gt_u32_e64 s0, 30, v10
	s_delay_alu instid0(VALU_DEP_2) | instskip(NEXT) | instid1(VALU_DEP_1)
	v_lshlrev_b32_e32 v3, 2, v3
	v_add_lshl_u32 v8, v3, v10, 2
	ds_bpermute_b32 v3, v8, v1
	ds_bpermute_b32 v4, v8, v2
	s_waitcnt lgkmcnt(0)
	v_add_f64 v[1:2], v[1:2], v[3:4]
	v_cndmask_b32_e64 v3, 0, 1, s0
	v_cmp_ne_u32_e64 s0, 31, v10
	s_delay_alu instid0(VALU_DEP_2) | instskip(NEXT) | instid1(VALU_DEP_1)
	v_lshlrev_b32_e32 v3, 1, v3
	v_add_lshl_u32 v9, v3, v10, 2
	ds_bpermute_b32 v3, v9, v1
	ds_bpermute_b32 v4, v9, v2
	s_waitcnt lgkmcnt(0)
	v_add_f64 v[1:2], v[1:2], v[3:4]
	v_add_co_ci_u32_e64 v3, s0, 0, v10, s0
	s_delay_alu instid0(VALU_DEP_1)
	v_lshlrev_b32_e32 v10, 2, v3
	ds_bpermute_b32 v3, v10, v1
	ds_bpermute_b32 v4, v10, v2
	v_cmpx_eq_u32_e32 0, v11
	s_cbranch_execz .LBB443_8
; %bb.7:
	s_waitcnt lgkmcnt(0)
	v_add_f64 v[1:2], v[1:2], v[3:4]
	v_lshrrev_b32_e32 v3, 2, v0
	s_delay_alu instid0(VALU_DEP_1)
	v_and_b32_e32 v3, 0xf8, v3
	ds_store_b64 v3, v[1:2]
.LBB443_8:
	s_or_b32 exec_lo, exec_lo, s1
	v_mov_b32_e32 v1, 0
	v_mov_b32_e32 v2, 0
	s_waitcnt lgkmcnt(0)
	s_barrier
	buffer_gl0_inv
	s_and_saveexec_b32 s0, vcc_lo
	s_cbranch_execz .LBB443_10
; %bb.9:
	ds_load_b64 v[1:2], v5
.LBB443_10:
	s_or_b32 exec_lo, exec_lo, s0
	s_and_saveexec_b32 s0, vcc_lo
	s_cbranch_execz .LBB443_12
; %bb.11:
	s_waitcnt lgkmcnt(0)
	ds_bpermute_b32 v3, v6, v1
	ds_bpermute_b32 v4, v6, v2
	s_waitcnt lgkmcnt(0)
	v_add_f64 v[1:2], v[1:2], v[3:4]
	ds_bpermute_b32 v3, v7, v1
	ds_bpermute_b32 v4, v7, v2
	s_waitcnt lgkmcnt(0)
	v_add_f64 v[1:2], v[1:2], v[3:4]
	ds_bpermute_b32 v3, v8, v1
	ds_bpermute_b32 v4, v8, v2
	s_waitcnt lgkmcnt(0)
	v_add_f64 v[1:2], v[1:2], v[3:4]
	ds_bpermute_b32 v3, v9, v1
	ds_bpermute_b32 v4, v9, v2
	s_waitcnt lgkmcnt(0)
	v_add_f64 v[1:2], v[1:2], v[3:4]
	ds_bpermute_b32 v3, v10, v1
	ds_bpermute_b32 v4, v10, v2
	s_waitcnt lgkmcnt(0)
	v_add_f64 v[1:2], v[1:2], v[3:4]
.LBB443_12:
	s_or_b32 exec_lo, exec_lo, s0
	s_delay_alu instid0(SALU_CYCLE_1)
	s_mov_b32 s0, exec_lo
	v_cmpx_eq_u32_e32 0, v0
	s_cbranch_execz .LBB443_14
; %bb.13:
	s_lshl_b64 s[0:1], s[12:13], 3
	v_mov_b32_e32 v0, 0
	s_add_u32 s0, s2, s0
	s_addc_u32 s1, s3, s1
	s_waitcnt lgkmcnt(0)
	global_store_b64 v0, v[1:2], s[0:1]
.LBB443_14:
	s_nop 0
	s_sendmsg sendmsg(MSG_DEALLOC_VGPRS)
	s_endpgm
	.section	.rodata,"a",@progbits
	.p2align	6, 0x0
	.amdhsa_kernel _ZL18rocblas_dot_kernelIiLb1ELi1024ELi32ELb0EdPKPKfdEviT5_lT_lS4_lS5_liPT6_PT4_
		.amdhsa_group_segment_fixed_size 256
		.amdhsa_private_segment_fixed_size 0
		.amdhsa_kernarg_size 352
		.amdhsa_user_sgpr_count 14
		.amdhsa_user_sgpr_dispatch_ptr 0
		.amdhsa_user_sgpr_queue_ptr 0
		.amdhsa_user_sgpr_kernarg_segment_ptr 1
		.amdhsa_user_sgpr_dispatch_id 0
		.amdhsa_user_sgpr_private_segment_size 0
		.amdhsa_wavefront_size32 1
		.amdhsa_uses_dynamic_stack 0
		.amdhsa_enable_private_segment 0
		.amdhsa_system_sgpr_workgroup_id_x 1
		.amdhsa_system_sgpr_workgroup_id_y 0
		.amdhsa_system_sgpr_workgroup_id_z 1
		.amdhsa_system_sgpr_workgroup_info 0
		.amdhsa_system_vgpr_workitem_id 0
		.amdhsa_next_free_vgpr 12
		.amdhsa_next_free_sgpr 21
		.amdhsa_reserve_vcc 1
		.amdhsa_float_round_mode_32 0
		.amdhsa_float_round_mode_16_64 0
		.amdhsa_float_denorm_mode_32 3
		.amdhsa_float_denorm_mode_16_64 3
		.amdhsa_dx10_clamp 1
		.amdhsa_ieee_mode 1
		.amdhsa_fp16_overflow 0
		.amdhsa_workgroup_processor_mode 1
		.amdhsa_memory_ordered 1
		.amdhsa_forward_progress 0
		.amdhsa_shared_vgpr_count 0
		.amdhsa_exception_fp_ieee_invalid_op 0
		.amdhsa_exception_fp_denorm_src 0
		.amdhsa_exception_fp_ieee_div_zero 0
		.amdhsa_exception_fp_ieee_overflow 0
		.amdhsa_exception_fp_ieee_underflow 0
		.amdhsa_exception_fp_ieee_inexact 0
		.amdhsa_exception_int_div_zero 0
	.end_amdhsa_kernel
	.section	.text._ZL18rocblas_dot_kernelIiLb1ELi1024ELi32ELb0EdPKPKfdEviT5_lT_lS4_lS5_liPT6_PT4_,"axG",@progbits,_ZL18rocblas_dot_kernelIiLb1ELi1024ELi32ELb0EdPKPKfdEviT5_lT_lS4_lS5_liPT6_PT4_,comdat
.Lfunc_end443:
	.size	_ZL18rocblas_dot_kernelIiLb1ELi1024ELi32ELb0EdPKPKfdEviT5_lT_lS4_lS5_liPT6_PT4_, .Lfunc_end443-_ZL18rocblas_dot_kernelIiLb1ELi1024ELi32ELb0EdPKPKfdEviT5_lT_lS4_lS5_liPT6_PT4_
                                        ; -- End function
	.section	.AMDGPU.csdata,"",@progbits
; Kernel info:
; codeLenInByte = 1068
; NumSgprs: 23
; NumVgprs: 12
; ScratchSize: 0
; MemoryBound: 0
; FloatMode: 240
; IeeeMode: 1
; LDSByteSize: 256 bytes/workgroup (compile time only)
; SGPRBlocks: 2
; VGPRBlocks: 1
; NumSGPRsForWavesPerEU: 23
; NumVGPRsForWavesPerEU: 12
; Occupancy: 16
; WaveLimiterHint : 0
; COMPUTE_PGM_RSRC2:SCRATCH_EN: 0
; COMPUTE_PGM_RSRC2:USER_SGPR: 14
; COMPUTE_PGM_RSRC2:TRAP_HANDLER: 0
; COMPUTE_PGM_RSRC2:TGID_X_EN: 1
; COMPUTE_PGM_RSRC2:TGID_Y_EN: 0
; COMPUTE_PGM_RSRC2:TGID_Z_EN: 1
; COMPUTE_PGM_RSRC2:TIDIG_COMP_CNT: 0
	.section	.text._ZL24rocblas_dot_kernel_magsqIiLb1ELi1024ELi32ELb0EdPKPKfdEviT5_lT_liPT6_PT4_,"axG",@progbits,_ZL24rocblas_dot_kernel_magsqIiLb1ELi1024ELi32ELb0EdPKPKfdEviT5_lT_liPT6_PT4_,comdat
	.globl	_ZL24rocblas_dot_kernel_magsqIiLb1ELi1024ELi32ELb0EdPKPKfdEviT5_lT_liPT6_PT4_ ; -- Begin function _ZL24rocblas_dot_kernel_magsqIiLb1ELi1024ELi32ELb0EdPKPKfdEviT5_lT_liPT6_PT4_
	.p2align	8
	.type	_ZL24rocblas_dot_kernel_magsqIiLb1ELi1024ELi32ELb0EdPKPKfdEviT5_lT_liPT6_PT4_,@function
_ZL24rocblas_dot_kernel_magsqIiLb1ELi1024ELi32ELb0EdPKPKfdEviT5_lT_liPT6_PT4_: ; @_ZL24rocblas_dot_kernel_magsqIiLb1ELi1024ELi32ELb0EdPKPKfdEviT5_lT_liPT6_PT4_
; %bb.0:
	s_clause 0x1
	s_load_b32 s8, s[0:1], 0x0
	s_load_b64 s[2:3], s[0:1], 0x38
	v_mov_b32_e32 v1, 0
	v_mov_b32_e32 v2, 0
	s_mov_b32 s4, s15
	s_mov_b32 s5, 0
	s_mov_b32 s9, exec_lo
	s_waitcnt lgkmcnt(0)
	v_cmpx_gt_i32_e64 s8, v0
	s_cbranch_execz .LBB444_4
; %bb.1:
	s_clause 0x2
	s_load_b128 s[12:15], s[0:1], 0x8
	s_load_b32 s16, s[0:1], 0x18
	s_load_b32 s10, s[0:1], 0x40
	s_lshl_b64 s[0:1], s[4:5], 3
	v_mov_b32_e32 v1, 0
	v_mov_b32_e32 v2, 0
	s_waitcnt lgkmcnt(0)
	s_add_u32 s0, s12, s0
	s_addc_u32 s1, s13, s1
	v_mad_i64_i32 v[3:4], null, s16, v0, 0
	s_load_b64 s[6:7], s[0:1], 0x0
	s_lshl_b32 s1, s10, 10
	s_lshl_b64 s[10:11], s[14:15], 2
	v_or_b32_e32 v5, s1, v0
	s_mul_hi_i32 s13, s16, s1
	s_mul_i32 s12, s16, s1
	s_delay_alu instid0(VALU_DEP_2) | instskip(SKIP_3) | instid1(VALU_DEP_1)
	v_lshlrev_b64 v[3:4], 2, v[3:4]
	s_waitcnt lgkmcnt(0)
	s_add_u32 s0, s6, s10
	s_addc_u32 s6, s7, s11
	v_add_co_u32 v3, vcc_lo, s0, v3
	s_delay_alu instid0(VALU_DEP_2)
	v_add_co_ci_u32_e32 v4, vcc_lo, s6, v4, vcc_lo
	s_lshl_b64 s[6:7], s[12:13], 2
	s_mov_b32 s10, s5
	s_mov_b32 s11, s5
	.p2align	6
.LBB444_2:                              ; =>This Inner Loop Header: Depth=1
	global_load_b32 v6, v[3:4], off
	s_add_i32 s12, s11, 1
	v_cmp_le_i32_e32 vcc_lo, s8, v5
	s_cmp_gt_u32 s11, 30
	v_add_co_u32 v3, s0, v3, s6
	s_cselect_b32 s11, -1, 0
	v_add_nc_u32_e32 v5, s1, v5
	s_or_b32 s11, s11, vcc_lo
	v_add_co_ci_u32_e64 v4, vcc_lo, s7, v4, s0
	s_and_b32 s0, exec_lo, s11
	s_mov_b32 s11, s12
	s_or_b32 s10, s0, s10
	s_waitcnt vmcnt(0)
	v_cvt_f64_f32_e32 v[6:7], v6
	s_delay_alu instid0(VALU_DEP_1)
	v_fma_f64 v[1:2], v[6:7], v[6:7], v[1:2]
	s_and_not1_b32 exec_lo, exec_lo, s10
	s_cbranch_execnz .LBB444_2
; %bb.3:
	s_or_b32 exec_lo, exec_lo, s10
.LBB444_4:
	s_delay_alu instid0(SALU_CYCLE_1) | instskip(SKIP_2) | instid1(VALU_DEP_2)
	s_or_b32 exec_lo, exec_lo, s9
	v_and_b32_e32 v11, 31, v0
	v_cmp_gt_u32_e32 vcc_lo, 32, v0
	v_lshlrev_b32_e32 v5, 3, v11
	s_and_saveexec_b32 s0, vcc_lo
	s_cbranch_execz .LBB444_6
; %bb.5:
	v_mov_b32_e32 v3, 0
	s_delay_alu instid0(VALU_DEP_1)
	v_mov_b32_e32 v4, v3
	ds_store_b64 v5, v[3:4]
.LBB444_6:
	s_or_b32 exec_lo, exec_lo, s0
	v_mbcnt_lo_u32_b32 v10, -1, 0
	s_mov_b32 s1, exec_lo
	s_waitcnt lgkmcnt(0)
	s_barrier
	buffer_gl0_inv
	v_cmp_gt_u32_e64 s0, 16, v10
	s_delay_alu instid0(VALU_DEP_1) | instskip(SKIP_1) | instid1(VALU_DEP_2)
	v_cndmask_b32_e64 v3, 0, 1, s0
	v_cmp_gt_u32_e64 s0, 24, v10
	v_lshlrev_b32_e32 v3, 4, v3
	s_delay_alu instid0(VALU_DEP_1)
	v_add_lshl_u32 v6, v3, v10, 2
	ds_bpermute_b32 v3, v6, v1
	ds_bpermute_b32 v4, v6, v2
	s_waitcnt lgkmcnt(0)
	v_add_f64 v[1:2], v[1:2], v[3:4]
	v_cndmask_b32_e64 v3, 0, 1, s0
	v_cmp_gt_u32_e64 s0, 28, v10
	s_delay_alu instid0(VALU_DEP_2) | instskip(NEXT) | instid1(VALU_DEP_1)
	v_lshlrev_b32_e32 v3, 3, v3
	v_add_lshl_u32 v7, v3, v10, 2
	ds_bpermute_b32 v3, v7, v1
	ds_bpermute_b32 v4, v7, v2
	s_waitcnt lgkmcnt(0)
	v_add_f64 v[1:2], v[1:2], v[3:4]
	v_cndmask_b32_e64 v3, 0, 1, s0
	v_cmp_gt_u32_e64 s0, 30, v10
	s_delay_alu instid0(VALU_DEP_2) | instskip(NEXT) | instid1(VALU_DEP_1)
	v_lshlrev_b32_e32 v3, 2, v3
	v_add_lshl_u32 v8, v3, v10, 2
	ds_bpermute_b32 v3, v8, v1
	ds_bpermute_b32 v4, v8, v2
	s_waitcnt lgkmcnt(0)
	v_add_f64 v[1:2], v[1:2], v[3:4]
	v_cndmask_b32_e64 v3, 0, 1, s0
	v_cmp_ne_u32_e64 s0, 31, v10
	s_delay_alu instid0(VALU_DEP_2) | instskip(NEXT) | instid1(VALU_DEP_1)
	v_lshlrev_b32_e32 v3, 1, v3
	v_add_lshl_u32 v9, v3, v10, 2
	ds_bpermute_b32 v3, v9, v1
	ds_bpermute_b32 v4, v9, v2
	s_waitcnt lgkmcnt(0)
	v_add_f64 v[1:2], v[1:2], v[3:4]
	v_add_co_ci_u32_e64 v3, s0, 0, v10, s0
	s_delay_alu instid0(VALU_DEP_1)
	v_lshlrev_b32_e32 v10, 2, v3
	ds_bpermute_b32 v3, v10, v1
	ds_bpermute_b32 v4, v10, v2
	v_cmpx_eq_u32_e32 0, v11
	s_cbranch_execz .LBB444_8
; %bb.7:
	s_waitcnt lgkmcnt(0)
	v_add_f64 v[1:2], v[1:2], v[3:4]
	v_lshrrev_b32_e32 v3, 2, v0
	s_delay_alu instid0(VALU_DEP_1)
	v_and_b32_e32 v3, 0xf8, v3
	ds_store_b64 v3, v[1:2]
.LBB444_8:
	s_or_b32 exec_lo, exec_lo, s1
	v_mov_b32_e32 v1, 0
	v_mov_b32_e32 v2, 0
	s_waitcnt lgkmcnt(0)
	s_barrier
	buffer_gl0_inv
	s_and_saveexec_b32 s0, vcc_lo
	s_cbranch_execz .LBB444_10
; %bb.9:
	ds_load_b64 v[1:2], v5
.LBB444_10:
	s_or_b32 exec_lo, exec_lo, s0
	s_and_saveexec_b32 s0, vcc_lo
	s_cbranch_execz .LBB444_12
; %bb.11:
	s_waitcnt lgkmcnt(0)
	ds_bpermute_b32 v3, v6, v1
	ds_bpermute_b32 v4, v6, v2
	s_waitcnt lgkmcnt(0)
	v_add_f64 v[1:2], v[1:2], v[3:4]
	ds_bpermute_b32 v3, v7, v1
	ds_bpermute_b32 v4, v7, v2
	s_waitcnt lgkmcnt(0)
	v_add_f64 v[1:2], v[1:2], v[3:4]
	;; [unrolled: 4-line block ×5, first 2 shown]
.LBB444_12:
	s_or_b32 exec_lo, exec_lo, s0
	s_delay_alu instid0(SALU_CYCLE_1)
	s_mov_b32 s0, exec_lo
	v_cmpx_eq_u32_e32 0, v0
	s_cbranch_execz .LBB444_14
; %bb.13:
	s_lshl_b64 s[0:1], s[4:5], 3
	v_mov_b32_e32 v0, 0
	s_add_u32 s0, s2, s0
	s_addc_u32 s1, s3, s1
	s_waitcnt lgkmcnt(0)
	global_store_b64 v0, v[1:2], s[0:1]
.LBB444_14:
	s_nop 0
	s_sendmsg sendmsg(MSG_DEALLOC_VGPRS)
	s_endpgm
	.section	.rodata,"a",@progbits
	.p2align	6, 0x0
	.amdhsa_kernel _ZL24rocblas_dot_kernel_magsqIiLb1ELi1024ELi32ELb0EdPKPKfdEviT5_lT_liPT6_PT4_
		.amdhsa_group_segment_fixed_size 256
		.amdhsa_private_segment_fixed_size 0
		.amdhsa_kernarg_size 320
		.amdhsa_user_sgpr_count 14
		.amdhsa_user_sgpr_dispatch_ptr 0
		.amdhsa_user_sgpr_queue_ptr 0
		.amdhsa_user_sgpr_kernarg_segment_ptr 1
		.amdhsa_user_sgpr_dispatch_id 0
		.amdhsa_user_sgpr_private_segment_size 0
		.amdhsa_wavefront_size32 1
		.amdhsa_uses_dynamic_stack 0
		.amdhsa_enable_private_segment 0
		.amdhsa_system_sgpr_workgroup_id_x 1
		.amdhsa_system_sgpr_workgroup_id_y 0
		.amdhsa_system_sgpr_workgroup_id_z 1
		.amdhsa_system_sgpr_workgroup_info 0
		.amdhsa_system_vgpr_workitem_id 0
		.amdhsa_next_free_vgpr 12
		.amdhsa_next_free_sgpr 17
		.amdhsa_reserve_vcc 1
		.amdhsa_float_round_mode_32 0
		.amdhsa_float_round_mode_16_64 0
		.amdhsa_float_denorm_mode_32 3
		.amdhsa_float_denorm_mode_16_64 3
		.amdhsa_dx10_clamp 1
		.amdhsa_ieee_mode 1
		.amdhsa_fp16_overflow 0
		.amdhsa_workgroup_processor_mode 1
		.amdhsa_memory_ordered 1
		.amdhsa_forward_progress 0
		.amdhsa_shared_vgpr_count 0
		.amdhsa_exception_fp_ieee_invalid_op 0
		.amdhsa_exception_fp_denorm_src 0
		.amdhsa_exception_fp_ieee_div_zero 0
		.amdhsa_exception_fp_ieee_overflow 0
		.amdhsa_exception_fp_ieee_underflow 0
		.amdhsa_exception_fp_ieee_inexact 0
		.amdhsa_exception_int_div_zero 0
	.end_amdhsa_kernel
	.section	.text._ZL24rocblas_dot_kernel_magsqIiLb1ELi1024ELi32ELb0EdPKPKfdEviT5_lT_liPT6_PT4_,"axG",@progbits,_ZL24rocblas_dot_kernel_magsqIiLb1ELi1024ELi32ELb0EdPKPKfdEviT5_lT_liPT6_PT4_,comdat
.Lfunc_end444:
	.size	_ZL24rocblas_dot_kernel_magsqIiLb1ELi1024ELi32ELb0EdPKPKfdEviT5_lT_liPT6_PT4_, .Lfunc_end444-_ZL24rocblas_dot_kernel_magsqIiLb1ELi1024ELi32ELb0EdPKPKfdEviT5_lT_liPT6_PT4_
                                        ; -- End function
	.section	.AMDGPU.csdata,"",@progbits
; Kernel info:
; codeLenInByte = 956
; NumSgprs: 19
; NumVgprs: 12
; ScratchSize: 0
; MemoryBound: 0
; FloatMode: 240
; IeeeMode: 1
; LDSByteSize: 256 bytes/workgroup (compile time only)
; SGPRBlocks: 2
; VGPRBlocks: 1
; NumSGPRsForWavesPerEU: 19
; NumVGPRsForWavesPerEU: 12
; Occupancy: 16
; WaveLimiterHint : 0
; COMPUTE_PGM_RSRC2:SCRATCH_EN: 0
; COMPUTE_PGM_RSRC2:USER_SGPR: 14
; COMPUTE_PGM_RSRC2:TRAP_HANDLER: 0
; COMPUTE_PGM_RSRC2:TGID_X_EN: 1
; COMPUTE_PGM_RSRC2:TGID_Y_EN: 0
; COMPUTE_PGM_RSRC2:TGID_Z_EN: 1
; COMPUTE_PGM_RSRC2:TIDIG_COMP_CNT: 0
	.section	.text._ZL38rocblas_dot_kernel_gfx942_float_doubleIiLi1024EdPKPKfdEviT2_lT_lS4_lS5_lPT3_PT1_,"axG",@progbits,_ZL38rocblas_dot_kernel_gfx942_float_doubleIiLi1024EdPKPKfdEviT2_lT_lS4_lS5_lPT3_PT1_,comdat
	.globl	_ZL38rocblas_dot_kernel_gfx942_float_doubleIiLi1024EdPKPKfdEviT2_lT_lS4_lS5_lPT3_PT1_ ; -- Begin function _ZL38rocblas_dot_kernel_gfx942_float_doubleIiLi1024EdPKPKfdEviT2_lT_lS4_lS5_lPT3_PT1_
	.p2align	8
	.type	_ZL38rocblas_dot_kernel_gfx942_float_doubleIiLi1024EdPKPKfdEviT2_lT_lS4_lS5_lPT3_PT1_,@function
_ZL38rocblas_dot_kernel_gfx942_float_doubleIiLi1024EdPKPKfdEviT2_lT_lS4_lS5_lPT3_PT1_: ; @_ZL38rocblas_dot_kernel_gfx942_float_doubleIiLi1024EdPKPKfdEviT2_lT_lS4_lS5_lPT3_PT1_
; %bb.0:
	s_endpgm
	.section	.rodata,"a",@progbits
	.p2align	6, 0x0
	.amdhsa_kernel _ZL38rocblas_dot_kernel_gfx942_float_doubleIiLi1024EdPKPKfdEviT2_lT_lS4_lS5_lPT3_PT1_
		.amdhsa_group_segment_fixed_size 0
		.amdhsa_private_segment_fixed_size 0
		.amdhsa_kernarg_size 88
		.amdhsa_user_sgpr_count 15
		.amdhsa_user_sgpr_dispatch_ptr 0
		.amdhsa_user_sgpr_queue_ptr 0
		.amdhsa_user_sgpr_kernarg_segment_ptr 1
		.amdhsa_user_sgpr_dispatch_id 0
		.amdhsa_user_sgpr_private_segment_size 0
		.amdhsa_wavefront_size32 1
		.amdhsa_uses_dynamic_stack 0
		.amdhsa_enable_private_segment 0
		.amdhsa_system_sgpr_workgroup_id_x 1
		.amdhsa_system_sgpr_workgroup_id_y 0
		.amdhsa_system_sgpr_workgroup_id_z 0
		.amdhsa_system_sgpr_workgroup_info 0
		.amdhsa_system_vgpr_workitem_id 0
		.amdhsa_next_free_vgpr 1
		.amdhsa_next_free_sgpr 1
		.amdhsa_reserve_vcc 0
		.amdhsa_float_round_mode_32 0
		.amdhsa_float_round_mode_16_64 0
		.amdhsa_float_denorm_mode_32 3
		.amdhsa_float_denorm_mode_16_64 3
		.amdhsa_dx10_clamp 1
		.amdhsa_ieee_mode 1
		.amdhsa_fp16_overflow 0
		.amdhsa_workgroup_processor_mode 1
		.amdhsa_memory_ordered 1
		.amdhsa_forward_progress 0
		.amdhsa_shared_vgpr_count 0
		.amdhsa_exception_fp_ieee_invalid_op 0
		.amdhsa_exception_fp_denorm_src 0
		.amdhsa_exception_fp_ieee_div_zero 0
		.amdhsa_exception_fp_ieee_overflow 0
		.amdhsa_exception_fp_ieee_underflow 0
		.amdhsa_exception_fp_ieee_inexact 0
		.amdhsa_exception_int_div_zero 0
	.end_amdhsa_kernel
	.section	.text._ZL38rocblas_dot_kernel_gfx942_float_doubleIiLi1024EdPKPKfdEviT2_lT_lS4_lS5_lPT3_PT1_,"axG",@progbits,_ZL38rocblas_dot_kernel_gfx942_float_doubleIiLi1024EdPKPKfdEviT2_lT_lS4_lS5_lPT3_PT1_,comdat
.Lfunc_end445:
	.size	_ZL38rocblas_dot_kernel_gfx942_float_doubleIiLi1024EdPKPKfdEviT2_lT_lS4_lS5_lPT3_PT1_, .Lfunc_end445-_ZL38rocblas_dot_kernel_gfx942_float_doubleIiLi1024EdPKPKfdEviT2_lT_lS4_lS5_lPT3_PT1_
                                        ; -- End function
	.section	.AMDGPU.csdata,"",@progbits
; Kernel info:
; codeLenInByte = 4
; NumSgprs: 0
; NumVgprs: 0
; ScratchSize: 0
; MemoryBound: 0
; FloatMode: 240
; IeeeMode: 1
; LDSByteSize: 0 bytes/workgroup (compile time only)
; SGPRBlocks: 0
; VGPRBlocks: 0
; NumSGPRsForWavesPerEU: 1
; NumVGPRsForWavesPerEU: 1
; Occupancy: 16
; WaveLimiterHint : 0
; COMPUTE_PGM_RSRC2:SCRATCH_EN: 0
; COMPUTE_PGM_RSRC2:USER_SGPR: 15
; COMPUTE_PGM_RSRC2:TRAP_HANDLER: 0
; COMPUTE_PGM_RSRC2:TGID_X_EN: 1
; COMPUTE_PGM_RSRC2:TGID_Y_EN: 0
; COMPUTE_PGM_RSRC2:TGID_Z_EN: 0
; COMPUTE_PGM_RSRC2:TIDIG_COMP_CNT: 0
	.section	.text._ZL23rocblas_dot_kernel_inc1ILb0ELi512ELi2ELb0EdPKPKfdEviT4_llS4_lliPT5_PT3_,"axG",@progbits,_ZL23rocblas_dot_kernel_inc1ILb0ELi512ELi2ELb0EdPKPKfdEviT4_llS4_lliPT5_PT3_,comdat
	.globl	_ZL23rocblas_dot_kernel_inc1ILb0ELi512ELi2ELb0EdPKPKfdEviT4_llS4_lliPT5_PT3_ ; -- Begin function _ZL23rocblas_dot_kernel_inc1ILb0ELi512ELi2ELb0EdPKPKfdEviT4_llS4_lliPT5_PT3_
	.p2align	8
	.type	_ZL23rocblas_dot_kernel_inc1ILb0ELi512ELi2ELb0EdPKPKfdEviT4_llS4_lliPT5_PT3_,@function
_ZL23rocblas_dot_kernel_inc1ILb0ELi512ELi2ELb0EdPKPKfdEviT4_llS4_lliPT5_PT3_: ; @_ZL23rocblas_dot_kernel_inc1ILb0ELi512ELi2ELb0EdPKPKfdEviT4_llS4_lliPT5_PT3_
; %bb.0:
	s_clause 0x1
	s_load_b32 s6, s[0:1], 0x0
	s_load_b32 s3, s[0:1], 0x50
	v_mov_b32_e32 v1, 0
	v_lshl_or_b32 v3, s14, 9, v0
	v_mov_b32_e32 v2, 0
	s_mov_b32 s4, s15
	s_mov_b32 s5, 0
	s_mov_b32 s2, exec_lo
	s_waitcnt lgkmcnt(0)
	v_cmpx_gt_i32_e64 s6, v3
	s_cbranch_execz .LBB446_4
; %bb.1:
	s_clause 0x1
	s_load_b128 s[8:11], s[0:1], 0x8
	s_load_b128 s[16:19], s[0:1], 0x20
	s_lshl_b64 s[12:13], s[4:5], 3
	v_ashrrev_i32_e32 v4, 31, v3
	s_delay_alu instid0(VALU_DEP_1)
	v_lshlrev_b64 v[1:2], 2, v[3:4]
	s_waitcnt lgkmcnt(0)
	s_add_u32 s8, s8, s12
	s_addc_u32 s9, s9, s13
	s_lshl_b64 s[10:11], s[10:11], 2
	s_load_b64 s[8:9], s[8:9], 0x0
	s_waitcnt lgkmcnt(0)
	s_add_u32 s7, s8, s10
	s_addc_u32 s8, s9, s11
	s_add_u32 s10, s16, s12
	s_addc_u32 s11, s17, s13
	s_lshl_b64 s[12:13], s[18:19], 2
	s_load_b64 s[10:11], s[10:11], 0x0
	s_waitcnt lgkmcnt(0)
	s_add_u32 s9, s10, s12
	s_addc_u32 s10, s11, s13
	v_add_co_u32 v3, vcc_lo, s9, v1
	v_add_co_ci_u32_e32 v4, vcc_lo, s10, v2, vcc_lo
	v_add_co_u32 v1, vcc_lo, s7, v1
	v_add_co_ci_u32_e32 v2, vcc_lo, s8, v2, vcc_lo
	s_add_i32 s11, s14, s3
	global_load_b32 v3, v[3:4], off
	global_load_b32 v4, v[1:2], off
	s_waitcnt vmcnt(1)
	v_cvt_f64_f32_e32 v[1:2], v3
	s_waitcnt vmcnt(0)
	v_cvt_f64_f32_e32 v[3:4], v4
	s_delay_alu instid0(VALU_DEP_1) | instskip(SKIP_1) | instid1(VALU_DEP_1)
	v_fma_f64 v[1:2], v[1:2], v[3:4], 0
	v_lshl_or_b32 v3, s11, 9, v0
	v_cmp_gt_i32_e32 vcc_lo, s6, v3
	s_and_saveexec_b32 s6, vcc_lo
	s_cbranch_execz .LBB446_3
; %bb.2:
	v_ashrrev_i32_e32 v4, 31, v3
	s_delay_alu instid0(VALU_DEP_1) | instskip(NEXT) | instid1(VALU_DEP_1)
	v_lshlrev_b64 v[3:4], 2, v[3:4]
	v_add_co_u32 v5, vcc_lo, s9, v3
	s_delay_alu instid0(VALU_DEP_2)
	v_add_co_ci_u32_e32 v6, vcc_lo, s10, v4, vcc_lo
	v_add_co_u32 v3, vcc_lo, s7, v3
	v_add_co_ci_u32_e32 v4, vcc_lo, s8, v4, vcc_lo
	global_load_b32 v5, v[5:6], off
	global_load_b32 v6, v[3:4], off
	s_waitcnt vmcnt(1)
	v_cvt_f64_f32_e32 v[3:4], v5
	s_waitcnt vmcnt(0)
	v_cvt_f64_f32_e32 v[5:6], v6
	s_delay_alu instid0(VALU_DEP_1)
	v_fma_f64 v[1:2], v[3:4], v[5:6], v[1:2]
.LBB446_3:
	s_or_b32 exec_lo, exec_lo, s6
.LBB446_4:
	s_delay_alu instid0(SALU_CYCLE_1) | instskip(SKIP_2) | instid1(VALU_DEP_2)
	s_or_b32 exec_lo, exec_lo, s2
	v_and_b32_e32 v10, 31, v0
	v_cmp_gt_u32_e32 vcc_lo, 32, v0
	v_lshlrev_b32_e32 v5, 3, v10
	s_and_saveexec_b32 s2, vcc_lo
	s_cbranch_execz .LBB446_6
; %bb.5:
	v_mov_b32_e32 v3, 0
	s_delay_alu instid0(VALU_DEP_1)
	v_mov_b32_e32 v4, v3
	ds_store_b64 v5, v[3:4]
.LBB446_6:
	s_or_b32 exec_lo, exec_lo, s2
	v_mbcnt_lo_u32_b32 v9, -1, 0
	s_mov_b32 s6, exec_lo
	s_waitcnt lgkmcnt(0)
	s_barrier
	buffer_gl0_inv
	v_cmp_gt_u32_e64 s2, 16, v9
	s_delay_alu instid0(VALU_DEP_1) | instskip(SKIP_1) | instid1(VALU_DEP_2)
	v_cndmask_b32_e64 v3, 0, 1, s2
	v_cmp_gt_u32_e64 s2, 24, v9
	v_lshlrev_b32_e32 v3, 4, v3
	s_delay_alu instid0(VALU_DEP_1)
	v_add_lshl_u32 v4, v3, v9, 2
	ds_bpermute_b32 v3, v4, v1
	ds_bpermute_b32 v4, v4, v2
	s_waitcnt lgkmcnt(0)
	v_add_f64 v[1:2], v[1:2], v[3:4]
	v_cndmask_b32_e64 v3, 0, 1, s2
	v_cmp_gt_u32_e64 s2, 28, v9
	s_delay_alu instid0(VALU_DEP_2) | instskip(NEXT) | instid1(VALU_DEP_1)
	v_lshlrev_b32_e32 v3, 3, v3
	v_add_lshl_u32 v6, v3, v9, 2
	ds_bpermute_b32 v3, v6, v1
	ds_bpermute_b32 v4, v6, v2
	s_waitcnt lgkmcnt(0)
	v_add_f64 v[1:2], v[1:2], v[3:4]
	v_cndmask_b32_e64 v3, 0, 1, s2
	v_cmp_gt_u32_e64 s2, 30, v9
	s_delay_alu instid0(VALU_DEP_2) | instskip(NEXT) | instid1(VALU_DEP_1)
	v_lshlrev_b32_e32 v3, 2, v3
	v_add_lshl_u32 v7, v3, v9, 2
	ds_bpermute_b32 v3, v7, v1
	ds_bpermute_b32 v4, v7, v2
	s_waitcnt lgkmcnt(0)
	v_add_f64 v[1:2], v[1:2], v[3:4]
	v_cndmask_b32_e64 v3, 0, 1, s2
	v_cmp_ne_u32_e64 s2, 31, v9
	s_delay_alu instid0(VALU_DEP_2) | instskip(NEXT) | instid1(VALU_DEP_1)
	v_lshlrev_b32_e32 v3, 1, v3
	v_add_lshl_u32 v8, v3, v9, 2
	ds_bpermute_b32 v3, v8, v1
	ds_bpermute_b32 v4, v8, v2
	s_waitcnt lgkmcnt(0)
	v_add_f64 v[1:2], v[1:2], v[3:4]
	v_add_co_ci_u32_e64 v3, s2, 0, v9, s2
	s_delay_alu instid0(VALU_DEP_1)
	v_lshlrev_b32_e32 v9, 2, v3
	ds_bpermute_b32 v3, v9, v1
	ds_bpermute_b32 v4, v9, v2
	v_cmpx_eq_u32_e32 0, v10
	s_cbranch_execz .LBB446_8
; %bb.7:
	s_waitcnt lgkmcnt(0)
	v_add_f64 v[1:2], v[1:2], v[3:4]
	v_lshrrev_b32_e32 v3, 2, v0
	s_delay_alu instid0(VALU_DEP_1)
	v_and_b32_e32 v3, 0x78, v3
	ds_store_b64 v3, v[1:2]
.LBB446_8:
	s_or_b32 exec_lo, exec_lo, s6
	v_mov_b32_e32 v1, 0
	v_mov_b32_e32 v2, 0
	s_mov_b32 s6, exec_lo
	s_waitcnt lgkmcnt(0)
	s_barrier
	buffer_gl0_inv
	v_cmpx_gt_u32_e32 16, v0
	s_cbranch_execz .LBB446_10
; %bb.9:
	ds_load_b64 v[1:2], v5
.LBB446_10:
	s_or_b32 exec_lo, exec_lo, s6
	s_and_saveexec_b32 s2, vcc_lo
	s_cbranch_execz .LBB446_12
; %bb.11:
	s_waitcnt lgkmcnt(0)
	ds_bpermute_b32 v3, v6, v1
	ds_bpermute_b32 v4, v6, v2
	s_waitcnt lgkmcnt(0)
	v_add_f64 v[1:2], v[1:2], v[3:4]
	ds_bpermute_b32 v3, v7, v1
	ds_bpermute_b32 v4, v7, v2
	s_waitcnt lgkmcnt(0)
	v_add_f64 v[1:2], v[1:2], v[3:4]
	;; [unrolled: 4-line block ×4, first 2 shown]
.LBB446_12:
	s_or_b32 exec_lo, exec_lo, s2
	s_delay_alu instid0(SALU_CYCLE_1)
	s_mov_b32 s2, exec_lo
	v_cmpx_eq_u32_e32 0, v0
	s_cbranch_execz .LBB446_18
; %bb.13:
	s_cmp_lg_u32 s3, 1
	s_cbranch_scc0 .LBB446_15
; %bb.14:
	s_load_b64 s[6:7], s[0:1], 0x40
	s_mul_hi_u32 s9, s3, s4
	s_mul_i32 s8, s3, s4
	s_mov_b32 s15, 0
	s_lshl_b64 s[2:3], s[8:9], 3
	s_waitcnt lgkmcnt(0)
	s_add_u32 s6, s6, s2
	s_addc_u32 s7, s7, s3
	s_lshl_b64 s[2:3], s[14:15], 3
	s_delay_alu instid0(SALU_CYCLE_1)
	s_add_u32 s2, s6, s2
	s_addc_u32 s3, s7, s3
	s_cbranch_execz .LBB446_16
	s_branch .LBB446_17
.LBB446_15:
                                        ; implicit-def: $sgpr2_sgpr3
.LBB446_16:
	s_load_b64 s[0:1], s[0:1], 0x48
	s_lshl_b64 s[2:3], s[4:5], 3
	s_waitcnt lgkmcnt(0)
	s_add_u32 s2, s0, s2
	s_addc_u32 s3, s1, s3
.LBB446_17:
	v_mov_b32_e32 v0, 0
	s_waitcnt lgkmcnt(0)
	global_store_b64 v0, v[1:2], s[2:3]
.LBB446_18:
	s_nop 0
	s_sendmsg sendmsg(MSG_DEALLOC_VGPRS)
	s_endpgm
	.section	.rodata,"a",@progbits
	.p2align	6, 0x0
	.amdhsa_kernel _ZL23rocblas_dot_kernel_inc1ILb0ELi512ELi2ELb0EdPKPKfdEviT4_llS4_lliPT5_PT3_
		.amdhsa_group_segment_fixed_size 256
		.amdhsa_private_segment_fixed_size 0
		.amdhsa_kernarg_size 336
		.amdhsa_user_sgpr_count 14
		.amdhsa_user_sgpr_dispatch_ptr 0
		.amdhsa_user_sgpr_queue_ptr 0
		.amdhsa_user_sgpr_kernarg_segment_ptr 1
		.amdhsa_user_sgpr_dispatch_id 0
		.amdhsa_user_sgpr_private_segment_size 0
		.amdhsa_wavefront_size32 1
		.amdhsa_uses_dynamic_stack 0
		.amdhsa_enable_private_segment 0
		.amdhsa_system_sgpr_workgroup_id_x 1
		.amdhsa_system_sgpr_workgroup_id_y 0
		.amdhsa_system_sgpr_workgroup_id_z 1
		.amdhsa_system_sgpr_workgroup_info 0
		.amdhsa_system_vgpr_workitem_id 0
		.amdhsa_next_free_vgpr 11
		.amdhsa_next_free_sgpr 20
		.amdhsa_reserve_vcc 1
		.amdhsa_float_round_mode_32 0
		.amdhsa_float_round_mode_16_64 0
		.amdhsa_float_denorm_mode_32 3
		.amdhsa_float_denorm_mode_16_64 3
		.amdhsa_dx10_clamp 1
		.amdhsa_ieee_mode 1
		.amdhsa_fp16_overflow 0
		.amdhsa_workgroup_processor_mode 1
		.amdhsa_memory_ordered 1
		.amdhsa_forward_progress 0
		.amdhsa_shared_vgpr_count 0
		.amdhsa_exception_fp_ieee_invalid_op 0
		.amdhsa_exception_fp_denorm_src 0
		.amdhsa_exception_fp_ieee_div_zero 0
		.amdhsa_exception_fp_ieee_overflow 0
		.amdhsa_exception_fp_ieee_underflow 0
		.amdhsa_exception_fp_ieee_inexact 0
		.amdhsa_exception_int_div_zero 0
	.end_amdhsa_kernel
	.section	.text._ZL23rocblas_dot_kernel_inc1ILb0ELi512ELi2ELb0EdPKPKfdEviT4_llS4_lliPT5_PT3_,"axG",@progbits,_ZL23rocblas_dot_kernel_inc1ILb0ELi512ELi2ELb0EdPKPKfdEviT4_llS4_lliPT5_PT3_,comdat
.Lfunc_end446:
	.size	_ZL23rocblas_dot_kernel_inc1ILb0ELi512ELi2ELb0EdPKPKfdEviT4_llS4_lliPT5_PT3_, .Lfunc_end446-_ZL23rocblas_dot_kernel_inc1ILb0ELi512ELi2ELb0EdPKPKfdEviT4_llS4_lliPT5_PT3_
                                        ; -- End function
	.section	.AMDGPU.csdata,"",@progbits
; Kernel info:
; codeLenInByte = 1080
; NumSgprs: 22
; NumVgprs: 11
; ScratchSize: 0
; MemoryBound: 0
; FloatMode: 240
; IeeeMode: 1
; LDSByteSize: 256 bytes/workgroup (compile time only)
; SGPRBlocks: 2
; VGPRBlocks: 1
; NumSGPRsForWavesPerEU: 22
; NumVGPRsForWavesPerEU: 11
; Occupancy: 16
; WaveLimiterHint : 1
; COMPUTE_PGM_RSRC2:SCRATCH_EN: 0
; COMPUTE_PGM_RSRC2:USER_SGPR: 14
; COMPUTE_PGM_RSRC2:TRAP_HANDLER: 0
; COMPUTE_PGM_RSRC2:TGID_X_EN: 1
; COMPUTE_PGM_RSRC2:TGID_Y_EN: 0
; COMPUTE_PGM_RSRC2:TGID_Z_EN: 1
; COMPUTE_PGM_RSRC2:TIDIG_COMP_CNT: 0
	.section	.text._ZL18rocblas_dot_kernelIiLb0ELi512ELi2ELb0EdPKPKfdEviT5_lT_lS4_lS5_liPT6_PT4_,"axG",@progbits,_ZL18rocblas_dot_kernelIiLb0ELi512ELi2ELb0EdPKPKfdEviT5_lT_lS4_lS5_liPT6_PT4_,comdat
	.globl	_ZL18rocblas_dot_kernelIiLb0ELi512ELi2ELb0EdPKPKfdEviT5_lT_lS4_lS5_liPT6_PT4_ ; -- Begin function _ZL18rocblas_dot_kernelIiLb0ELi512ELi2ELb0EdPKPKfdEviT5_lT_lS4_lS5_liPT6_PT4_
	.p2align	8
	.type	_ZL18rocblas_dot_kernelIiLb0ELi512ELi2ELb0EdPKPKfdEviT5_lT_lS4_lS5_liPT6_PT4_,@function
_ZL18rocblas_dot_kernelIiLb0ELi512ELi2ELb0EdPKPKfdEviT5_lT_lS4_lS5_liPT6_PT4_: ; @_ZL18rocblas_dot_kernelIiLb0ELi512ELi2ELb0EdPKPKfdEviT5_lT_lS4_lS5_liPT6_PT4_
; %bb.0:
	s_clause 0x1
	s_load_b32 s6, s[0:1], 0x0
	s_load_b32 s3, s[0:1], 0x60
	v_mov_b32_e32 v1, 0
	v_lshl_or_b32 v3, s14, 9, v0
	v_mov_b32_e32 v2, 0
	s_mov_b32 s4, s15
	s_mov_b32 s5, 0
	s_mov_b32 s2, exec_lo
	s_waitcnt lgkmcnt(0)
	v_cmpx_gt_i32_e64 s6, v3
	s_cbranch_execz .LBB447_4
; %bb.1:
	s_clause 0x1
	s_load_b128 s[16:19], s[0:1], 0x8
	s_load_b32 s7, s[0:1], 0x18
	s_lshl_b64 s[12:13], s[4:5], 3
	s_waitcnt lgkmcnt(0)
	s_add_u32 s8, s16, s12
	s_addc_u32 s9, s17, s13
	s_lshl_b64 s[16:17], s[18:19], 2
	s_load_b64 s[8:9], s[8:9], 0x0
	s_clause 0x1
	s_load_b128 s[20:23], s[0:1], 0x28
	s_load_b32 s10, s[0:1], 0x38
	v_mad_i64_i32 v[4:5], null, v3, s7, 0
	s_waitcnt lgkmcnt(0)
	s_add_u32 s8, s8, s16
	s_addc_u32 s9, s9, s17
	s_add_u32 s12, s20, s12
	s_addc_u32 s13, s21, s13
	v_mad_i64_i32 v[1:2], null, v3, s10, 0
	s_load_b64 s[12:13], s[12:13], 0x0
	s_lshl_b64 s[16:17], s[22:23], 2
	v_lshlrev_b64 v[3:4], 2, v[4:5]
	s_delay_alu instid0(VALU_DEP_2) | instskip(SKIP_3) | instid1(VALU_DEP_1)
	v_lshlrev_b64 v[1:2], 2, v[1:2]
	s_waitcnt lgkmcnt(0)
	s_add_u32 s11, s12, s16
	s_addc_u32 s12, s13, s17
	v_add_co_u32 v1, vcc_lo, s11, v1
	s_delay_alu instid0(VALU_DEP_2)
	v_add_co_ci_u32_e32 v2, vcc_lo, s12, v2, vcc_lo
	v_add_co_u32 v3, vcc_lo, s8, v3
	v_add_co_ci_u32_e32 v4, vcc_lo, s9, v4, vcc_lo
	global_load_b32 v1, v[1:2], off
	global_load_b32 v3, v[3:4], off
	s_add_i32 s13, s14, s3
	s_waitcnt vmcnt(1)
	v_cvt_f64_f32_e32 v[1:2], v1
	s_waitcnt vmcnt(0)
	v_cvt_f64_f32_e32 v[3:4], v3
	s_delay_alu instid0(VALU_DEP_1) | instskip(SKIP_1) | instid1(VALU_DEP_1)
	v_fma_f64 v[1:2], v[1:2], v[3:4], 0
	v_lshl_or_b32 v3, s13, 9, v0
	v_cmp_gt_i32_e32 vcc_lo, s6, v3
	s_and_saveexec_b32 s6, vcc_lo
	s_cbranch_execz .LBB447_3
; %bb.2:
	v_mad_i64_i32 v[4:5], null, v3, s10, 0
	v_mad_i64_i32 v[6:7], null, v3, s7, 0
	s_delay_alu instid0(VALU_DEP_2) | instskip(NEXT) | instid1(VALU_DEP_2)
	v_lshlrev_b64 v[3:4], 2, v[4:5]
	v_lshlrev_b64 v[5:6], 2, v[6:7]
	s_delay_alu instid0(VALU_DEP_2) | instskip(NEXT) | instid1(VALU_DEP_3)
	v_add_co_u32 v3, vcc_lo, s11, v3
	v_add_co_ci_u32_e32 v4, vcc_lo, s12, v4, vcc_lo
	s_delay_alu instid0(VALU_DEP_3) | instskip(NEXT) | instid1(VALU_DEP_4)
	v_add_co_u32 v5, vcc_lo, s8, v5
	v_add_co_ci_u32_e32 v6, vcc_lo, s9, v6, vcc_lo
	global_load_b32 v3, v[3:4], off
	global_load_b32 v5, v[5:6], off
	s_waitcnt vmcnt(1)
	v_cvt_f64_f32_e32 v[3:4], v3
	s_waitcnt vmcnt(0)
	v_cvt_f64_f32_e32 v[5:6], v5
	s_delay_alu instid0(VALU_DEP_1)
	v_fma_f64 v[1:2], v[3:4], v[5:6], v[1:2]
.LBB447_3:
	s_or_b32 exec_lo, exec_lo, s6
.LBB447_4:
	s_delay_alu instid0(SALU_CYCLE_1) | instskip(SKIP_2) | instid1(VALU_DEP_2)
	s_or_b32 exec_lo, exec_lo, s2
	v_and_b32_e32 v10, 31, v0
	v_cmp_gt_u32_e32 vcc_lo, 32, v0
	v_lshlrev_b32_e32 v5, 3, v10
	s_and_saveexec_b32 s2, vcc_lo
	s_cbranch_execz .LBB447_6
; %bb.5:
	v_mov_b32_e32 v3, 0
	s_delay_alu instid0(VALU_DEP_1)
	v_mov_b32_e32 v4, v3
	ds_store_b64 v5, v[3:4]
.LBB447_6:
	s_or_b32 exec_lo, exec_lo, s2
	v_mbcnt_lo_u32_b32 v9, -1, 0
	s_mov_b32 s6, exec_lo
	s_waitcnt lgkmcnt(0)
	s_barrier
	buffer_gl0_inv
	v_cmp_gt_u32_e64 s2, 16, v9
	s_delay_alu instid0(VALU_DEP_1) | instskip(SKIP_1) | instid1(VALU_DEP_2)
	v_cndmask_b32_e64 v3, 0, 1, s2
	v_cmp_gt_u32_e64 s2, 24, v9
	v_lshlrev_b32_e32 v3, 4, v3
	s_delay_alu instid0(VALU_DEP_1)
	v_add_lshl_u32 v4, v3, v9, 2
	ds_bpermute_b32 v3, v4, v1
	ds_bpermute_b32 v4, v4, v2
	s_waitcnt lgkmcnt(0)
	v_add_f64 v[1:2], v[1:2], v[3:4]
	v_cndmask_b32_e64 v3, 0, 1, s2
	v_cmp_gt_u32_e64 s2, 28, v9
	s_delay_alu instid0(VALU_DEP_2) | instskip(NEXT) | instid1(VALU_DEP_1)
	v_lshlrev_b32_e32 v3, 3, v3
	v_add_lshl_u32 v6, v3, v9, 2
	ds_bpermute_b32 v3, v6, v1
	ds_bpermute_b32 v4, v6, v2
	s_waitcnt lgkmcnt(0)
	v_add_f64 v[1:2], v[1:2], v[3:4]
	v_cndmask_b32_e64 v3, 0, 1, s2
	v_cmp_gt_u32_e64 s2, 30, v9
	s_delay_alu instid0(VALU_DEP_2) | instskip(NEXT) | instid1(VALU_DEP_1)
	v_lshlrev_b32_e32 v3, 2, v3
	v_add_lshl_u32 v7, v3, v9, 2
	ds_bpermute_b32 v3, v7, v1
	ds_bpermute_b32 v4, v7, v2
	s_waitcnt lgkmcnt(0)
	v_add_f64 v[1:2], v[1:2], v[3:4]
	v_cndmask_b32_e64 v3, 0, 1, s2
	v_cmp_ne_u32_e64 s2, 31, v9
	s_delay_alu instid0(VALU_DEP_2) | instskip(NEXT) | instid1(VALU_DEP_1)
	v_lshlrev_b32_e32 v3, 1, v3
	v_add_lshl_u32 v8, v3, v9, 2
	ds_bpermute_b32 v3, v8, v1
	ds_bpermute_b32 v4, v8, v2
	s_waitcnt lgkmcnt(0)
	v_add_f64 v[1:2], v[1:2], v[3:4]
	v_add_co_ci_u32_e64 v3, s2, 0, v9, s2
	s_delay_alu instid0(VALU_DEP_1)
	v_lshlrev_b32_e32 v9, 2, v3
	ds_bpermute_b32 v3, v9, v1
	ds_bpermute_b32 v4, v9, v2
	v_cmpx_eq_u32_e32 0, v10
	s_cbranch_execz .LBB447_8
; %bb.7:
	s_waitcnt lgkmcnt(0)
	v_add_f64 v[1:2], v[1:2], v[3:4]
	v_lshrrev_b32_e32 v3, 2, v0
	s_delay_alu instid0(VALU_DEP_1)
	v_and_b32_e32 v3, 0x78, v3
	ds_store_b64 v3, v[1:2]
.LBB447_8:
	s_or_b32 exec_lo, exec_lo, s6
	v_mov_b32_e32 v1, 0
	v_mov_b32_e32 v2, 0
	s_mov_b32 s6, exec_lo
	s_waitcnt lgkmcnt(0)
	s_barrier
	buffer_gl0_inv
	v_cmpx_gt_u32_e32 16, v0
	s_cbranch_execz .LBB447_10
; %bb.9:
	ds_load_b64 v[1:2], v5
.LBB447_10:
	s_or_b32 exec_lo, exec_lo, s6
	s_and_saveexec_b32 s2, vcc_lo
	s_cbranch_execz .LBB447_12
; %bb.11:
	s_waitcnt lgkmcnt(0)
	ds_bpermute_b32 v3, v6, v1
	ds_bpermute_b32 v4, v6, v2
	s_waitcnt lgkmcnt(0)
	v_add_f64 v[1:2], v[1:2], v[3:4]
	ds_bpermute_b32 v3, v7, v1
	ds_bpermute_b32 v4, v7, v2
	s_waitcnt lgkmcnt(0)
	v_add_f64 v[1:2], v[1:2], v[3:4]
	ds_bpermute_b32 v3, v8, v1
	ds_bpermute_b32 v4, v8, v2
	s_waitcnt lgkmcnt(0)
	v_add_f64 v[1:2], v[1:2], v[3:4]
	ds_bpermute_b32 v3, v9, v1
	ds_bpermute_b32 v4, v9, v2
	s_waitcnt lgkmcnt(0)
	v_add_f64 v[1:2], v[1:2], v[3:4]
.LBB447_12:
	s_or_b32 exec_lo, exec_lo, s2
	s_delay_alu instid0(SALU_CYCLE_1)
	s_mov_b32 s2, exec_lo
	v_cmpx_eq_u32_e32 0, v0
	s_cbranch_execz .LBB447_18
; %bb.13:
	s_cmp_lg_u32 s3, 1
	s_cbranch_scc0 .LBB447_15
; %bb.14:
	s_load_b64 s[6:7], s[0:1], 0x50
	s_mul_hi_u32 s9, s3, s4
	s_mul_i32 s8, s3, s4
	s_mov_b32 s15, 0
	s_lshl_b64 s[2:3], s[8:9], 3
	s_waitcnt lgkmcnt(0)
	s_add_u32 s6, s6, s2
	s_addc_u32 s7, s7, s3
	s_lshl_b64 s[2:3], s[14:15], 3
	s_delay_alu instid0(SALU_CYCLE_1)
	s_add_u32 s2, s6, s2
	s_addc_u32 s3, s7, s3
	s_cbranch_execz .LBB447_16
	s_branch .LBB447_17
.LBB447_15:
                                        ; implicit-def: $sgpr2_sgpr3
.LBB447_16:
	s_load_b64 s[0:1], s[0:1], 0x58
	s_lshl_b64 s[2:3], s[4:5], 3
	s_waitcnt lgkmcnt(0)
	s_add_u32 s2, s0, s2
	s_addc_u32 s3, s1, s3
.LBB447_17:
	v_mov_b32_e32 v0, 0
	s_waitcnt lgkmcnt(0)
	global_store_b64 v0, v[1:2], s[2:3]
.LBB447_18:
	s_nop 0
	s_sendmsg sendmsg(MSG_DEALLOC_VGPRS)
	s_endpgm
	.section	.rodata,"a",@progbits
	.p2align	6, 0x0
	.amdhsa_kernel _ZL18rocblas_dot_kernelIiLb0ELi512ELi2ELb0EdPKPKfdEviT5_lT_lS4_lS5_liPT6_PT4_
		.amdhsa_group_segment_fixed_size 256
		.amdhsa_private_segment_fixed_size 0
		.amdhsa_kernarg_size 352
		.amdhsa_user_sgpr_count 14
		.amdhsa_user_sgpr_dispatch_ptr 0
		.amdhsa_user_sgpr_queue_ptr 0
		.amdhsa_user_sgpr_kernarg_segment_ptr 1
		.amdhsa_user_sgpr_dispatch_id 0
		.amdhsa_user_sgpr_private_segment_size 0
		.amdhsa_wavefront_size32 1
		.amdhsa_uses_dynamic_stack 0
		.amdhsa_enable_private_segment 0
		.amdhsa_system_sgpr_workgroup_id_x 1
		.amdhsa_system_sgpr_workgroup_id_y 0
		.amdhsa_system_sgpr_workgroup_id_z 1
		.amdhsa_system_sgpr_workgroup_info 0
		.amdhsa_system_vgpr_workitem_id 0
		.amdhsa_next_free_vgpr 11
		.amdhsa_next_free_sgpr 24
		.amdhsa_reserve_vcc 1
		.amdhsa_float_round_mode_32 0
		.amdhsa_float_round_mode_16_64 0
		.amdhsa_float_denorm_mode_32 3
		.amdhsa_float_denorm_mode_16_64 3
		.amdhsa_dx10_clamp 1
		.amdhsa_ieee_mode 1
		.amdhsa_fp16_overflow 0
		.amdhsa_workgroup_processor_mode 1
		.amdhsa_memory_ordered 1
		.amdhsa_forward_progress 0
		.amdhsa_shared_vgpr_count 0
		.amdhsa_exception_fp_ieee_invalid_op 0
		.amdhsa_exception_fp_denorm_src 0
		.amdhsa_exception_fp_ieee_div_zero 0
		.amdhsa_exception_fp_ieee_overflow 0
		.amdhsa_exception_fp_ieee_underflow 0
		.amdhsa_exception_fp_ieee_inexact 0
		.amdhsa_exception_int_div_zero 0
	.end_amdhsa_kernel
	.section	.text._ZL18rocblas_dot_kernelIiLb0ELi512ELi2ELb0EdPKPKfdEviT5_lT_lS4_lS5_liPT6_PT4_,"axG",@progbits,_ZL18rocblas_dot_kernelIiLb0ELi512ELi2ELb0EdPKPKfdEviT5_lT_lS4_lS5_liPT6_PT4_,comdat
.Lfunc_end447:
	.size	_ZL18rocblas_dot_kernelIiLb0ELi512ELi2ELb0EdPKPKfdEviT5_lT_lS4_lS5_liPT6_PT4_, .Lfunc_end447-_ZL18rocblas_dot_kernelIiLb0ELi512ELi2ELb0EdPKPKfdEviT5_lT_lS4_lS5_liPT6_PT4_
                                        ; -- End function
	.section	.AMDGPU.csdata,"",@progbits
; Kernel info:
; codeLenInByte = 1148
; NumSgprs: 26
; NumVgprs: 11
; ScratchSize: 0
; MemoryBound: 0
; FloatMode: 240
; IeeeMode: 1
; LDSByteSize: 256 bytes/workgroup (compile time only)
; SGPRBlocks: 3
; VGPRBlocks: 1
; NumSGPRsForWavesPerEU: 26
; NumVGPRsForWavesPerEU: 11
; Occupancy: 16
; WaveLimiterHint : 1
; COMPUTE_PGM_RSRC2:SCRATCH_EN: 0
; COMPUTE_PGM_RSRC2:USER_SGPR: 14
; COMPUTE_PGM_RSRC2:TRAP_HANDLER: 0
; COMPUTE_PGM_RSRC2:TGID_X_EN: 1
; COMPUTE_PGM_RSRC2:TGID_Y_EN: 0
; COMPUTE_PGM_RSRC2:TGID_Z_EN: 1
; COMPUTE_PGM_RSRC2:TIDIG_COMP_CNT: 0
	.section	.text._ZL24rocblas_dot_kernel_magsqIiLb0ELi512ELi2ELb0EdPKPKfdEviT5_lT_liPT6_PT4_,"axG",@progbits,_ZL24rocblas_dot_kernel_magsqIiLb0ELi512ELi2ELb0EdPKPKfdEviT5_lT_liPT6_PT4_,comdat
	.globl	_ZL24rocblas_dot_kernel_magsqIiLb0ELi512ELi2ELb0EdPKPKfdEviT5_lT_liPT6_PT4_ ; -- Begin function _ZL24rocblas_dot_kernel_magsqIiLb0ELi512ELi2ELb0EdPKPKfdEviT5_lT_liPT6_PT4_
	.p2align	8
	.type	_ZL24rocblas_dot_kernel_magsqIiLb0ELi512ELi2ELb0EdPKPKfdEviT5_lT_liPT6_PT4_,@function
_ZL24rocblas_dot_kernel_magsqIiLb0ELi512ELi2ELb0EdPKPKfdEviT5_lT_liPT6_PT4_: ; @_ZL24rocblas_dot_kernel_magsqIiLb0ELi512ELi2ELb0EdPKPKfdEviT5_lT_liPT6_PT4_
; %bb.0:
	s_clause 0x1
	s_load_b32 s6, s[0:1], 0x0
	s_load_b32 s3, s[0:1], 0x40
	v_mov_b32_e32 v1, 0
	v_lshl_or_b32 v3, s14, 9, v0
	v_mov_b32_e32 v2, 0
	s_mov_b32 s4, s15
	s_mov_b32 s5, 0
	s_mov_b32 s2, exec_lo
	s_waitcnt lgkmcnt(0)
	v_cmpx_gt_i32_e64 s6, v3
	s_cbranch_execz .LBB448_4
; %bb.1:
	s_clause 0x1
	s_load_b128 s[8:11], s[0:1], 0x8
	s_load_b32 s7, s[0:1], 0x18
	s_lshl_b64 s[12:13], s[4:5], 3
	s_waitcnt lgkmcnt(0)
	s_add_u32 s8, s8, s12
	s_addc_u32 s9, s9, s13
	v_mad_i64_i32 v[1:2], null, v3, s7, 0
	s_load_b64 s[8:9], s[8:9], 0x0
	s_lshl_b64 s[10:11], s[10:11], 2
	s_delay_alu instid0(VALU_DEP_1) | instskip(SKIP_3) | instid1(VALU_DEP_1)
	v_lshlrev_b64 v[1:2], 2, v[1:2]
	s_waitcnt lgkmcnt(0)
	s_add_u32 s8, s8, s10
	s_addc_u32 s9, s9, s11
	v_add_co_u32 v1, vcc_lo, s8, v1
	s_delay_alu instid0(VALU_DEP_2) | instskip(SKIP_1) | instid1(SALU_CYCLE_1)
	v_add_co_ci_u32_e32 v2, vcc_lo, s9, v2, vcc_lo
	s_add_i32 s10, s14, s3
	v_lshl_or_b32 v3, s10, 9, v0
	global_load_b32 v1, v[1:2], off
	v_cmp_gt_i32_e32 vcc_lo, s6, v3
	s_waitcnt vmcnt(0)
	v_cvt_f64_f32_e32 v[1:2], v1
	s_delay_alu instid0(VALU_DEP_1)
	v_mul_f64 v[1:2], v[1:2], v[1:2]
	s_and_saveexec_b32 s6, vcc_lo
	s_cbranch_execz .LBB448_3
; %bb.2:
	v_mad_i64_i32 v[4:5], null, v3, s7, 0
	s_delay_alu instid0(VALU_DEP_1) | instskip(NEXT) | instid1(VALU_DEP_1)
	v_lshlrev_b64 v[3:4], 2, v[4:5]
	v_add_co_u32 v3, vcc_lo, s8, v3
	s_delay_alu instid0(VALU_DEP_2) | instskip(SKIP_3) | instid1(VALU_DEP_1)
	v_add_co_ci_u32_e32 v4, vcc_lo, s9, v4, vcc_lo
	global_load_b32 v3, v[3:4], off
	s_waitcnt vmcnt(0)
	v_cvt_f64_f32_e32 v[3:4], v3
	v_fma_f64 v[1:2], v[3:4], v[3:4], v[1:2]
.LBB448_3:
	s_or_b32 exec_lo, exec_lo, s6
.LBB448_4:
	s_delay_alu instid0(SALU_CYCLE_1) | instskip(SKIP_2) | instid1(VALU_DEP_2)
	s_or_b32 exec_lo, exec_lo, s2
	v_and_b32_e32 v10, 31, v0
	v_cmp_gt_u32_e32 vcc_lo, 32, v0
	v_lshlrev_b32_e32 v5, 3, v10
	s_and_saveexec_b32 s2, vcc_lo
	s_cbranch_execz .LBB448_6
; %bb.5:
	v_mov_b32_e32 v3, 0
	s_delay_alu instid0(VALU_DEP_1)
	v_mov_b32_e32 v4, v3
	ds_store_b64 v5, v[3:4]
.LBB448_6:
	s_or_b32 exec_lo, exec_lo, s2
	v_mbcnt_lo_u32_b32 v9, -1, 0
	s_mov_b32 s6, exec_lo
	s_waitcnt lgkmcnt(0)
	s_barrier
	buffer_gl0_inv
	v_cmp_gt_u32_e64 s2, 16, v9
	s_delay_alu instid0(VALU_DEP_1) | instskip(SKIP_1) | instid1(VALU_DEP_2)
	v_cndmask_b32_e64 v3, 0, 1, s2
	v_cmp_gt_u32_e64 s2, 24, v9
	v_lshlrev_b32_e32 v3, 4, v3
	s_delay_alu instid0(VALU_DEP_1)
	v_add_lshl_u32 v4, v3, v9, 2
	ds_bpermute_b32 v3, v4, v1
	ds_bpermute_b32 v4, v4, v2
	s_waitcnt lgkmcnt(0)
	v_add_f64 v[1:2], v[1:2], v[3:4]
	v_cndmask_b32_e64 v3, 0, 1, s2
	v_cmp_gt_u32_e64 s2, 28, v9
	s_delay_alu instid0(VALU_DEP_2) | instskip(NEXT) | instid1(VALU_DEP_1)
	v_lshlrev_b32_e32 v3, 3, v3
	v_add_lshl_u32 v6, v3, v9, 2
	ds_bpermute_b32 v3, v6, v1
	ds_bpermute_b32 v4, v6, v2
	s_waitcnt lgkmcnt(0)
	v_add_f64 v[1:2], v[1:2], v[3:4]
	v_cndmask_b32_e64 v3, 0, 1, s2
	v_cmp_gt_u32_e64 s2, 30, v9
	s_delay_alu instid0(VALU_DEP_2) | instskip(NEXT) | instid1(VALU_DEP_1)
	v_lshlrev_b32_e32 v3, 2, v3
	v_add_lshl_u32 v7, v3, v9, 2
	ds_bpermute_b32 v3, v7, v1
	ds_bpermute_b32 v4, v7, v2
	s_waitcnt lgkmcnt(0)
	v_add_f64 v[1:2], v[1:2], v[3:4]
	v_cndmask_b32_e64 v3, 0, 1, s2
	v_cmp_ne_u32_e64 s2, 31, v9
	s_delay_alu instid0(VALU_DEP_2) | instskip(NEXT) | instid1(VALU_DEP_1)
	v_lshlrev_b32_e32 v3, 1, v3
	v_add_lshl_u32 v8, v3, v9, 2
	ds_bpermute_b32 v3, v8, v1
	ds_bpermute_b32 v4, v8, v2
	s_waitcnt lgkmcnt(0)
	v_add_f64 v[1:2], v[1:2], v[3:4]
	v_add_co_ci_u32_e64 v3, s2, 0, v9, s2
	s_delay_alu instid0(VALU_DEP_1)
	v_lshlrev_b32_e32 v9, 2, v3
	ds_bpermute_b32 v3, v9, v1
	ds_bpermute_b32 v4, v9, v2
	v_cmpx_eq_u32_e32 0, v10
	s_cbranch_execz .LBB448_8
; %bb.7:
	s_waitcnt lgkmcnt(0)
	v_add_f64 v[1:2], v[1:2], v[3:4]
	v_lshrrev_b32_e32 v3, 2, v0
	s_delay_alu instid0(VALU_DEP_1)
	v_and_b32_e32 v3, 0x78, v3
	ds_store_b64 v3, v[1:2]
.LBB448_8:
	s_or_b32 exec_lo, exec_lo, s6
	v_mov_b32_e32 v1, 0
	v_mov_b32_e32 v2, 0
	s_mov_b32 s6, exec_lo
	s_waitcnt lgkmcnt(0)
	s_barrier
	buffer_gl0_inv
	v_cmpx_gt_u32_e32 16, v0
	s_cbranch_execz .LBB448_10
; %bb.9:
	ds_load_b64 v[1:2], v5
.LBB448_10:
	s_or_b32 exec_lo, exec_lo, s6
	s_and_saveexec_b32 s2, vcc_lo
	s_cbranch_execz .LBB448_12
; %bb.11:
	s_waitcnt lgkmcnt(0)
	ds_bpermute_b32 v3, v6, v1
	ds_bpermute_b32 v4, v6, v2
	s_waitcnt lgkmcnt(0)
	v_add_f64 v[1:2], v[1:2], v[3:4]
	ds_bpermute_b32 v3, v7, v1
	ds_bpermute_b32 v4, v7, v2
	s_waitcnt lgkmcnt(0)
	v_add_f64 v[1:2], v[1:2], v[3:4]
	;; [unrolled: 4-line block ×4, first 2 shown]
.LBB448_12:
	s_or_b32 exec_lo, exec_lo, s2
	s_delay_alu instid0(SALU_CYCLE_1)
	s_mov_b32 s2, exec_lo
	v_cmpx_eq_u32_e32 0, v0
	s_cbranch_execz .LBB448_18
; %bb.13:
	s_cmp_lg_u32 s3, 1
	s_cbranch_scc0 .LBB448_15
; %bb.14:
	s_load_b64 s[6:7], s[0:1], 0x30
	s_mul_hi_u32 s9, s3, s4
	s_mul_i32 s8, s3, s4
	s_mov_b32 s15, 0
	s_lshl_b64 s[2:3], s[8:9], 3
	s_waitcnt lgkmcnt(0)
	s_add_u32 s6, s6, s2
	s_addc_u32 s7, s7, s3
	s_lshl_b64 s[2:3], s[14:15], 3
	s_delay_alu instid0(SALU_CYCLE_1)
	s_add_u32 s2, s6, s2
	s_addc_u32 s3, s7, s3
	s_cbranch_execz .LBB448_16
	s_branch .LBB448_17
.LBB448_15:
                                        ; implicit-def: $sgpr2_sgpr3
.LBB448_16:
	s_load_b64 s[0:1], s[0:1], 0x38
	s_lshl_b64 s[2:3], s[4:5], 3
	s_waitcnt lgkmcnt(0)
	s_add_u32 s2, s0, s2
	s_addc_u32 s3, s1, s3
.LBB448_17:
	v_mov_b32_e32 v0, 0
	s_waitcnt lgkmcnt(0)
	global_store_b64 v0, v[1:2], s[2:3]
.LBB448_18:
	s_nop 0
	s_sendmsg sendmsg(MSG_DEALLOC_VGPRS)
	s_endpgm
	.section	.rodata,"a",@progbits
	.p2align	6, 0x0
	.amdhsa_kernel _ZL24rocblas_dot_kernel_magsqIiLb0ELi512ELi2ELb0EdPKPKfdEviT5_lT_liPT6_PT4_
		.amdhsa_group_segment_fixed_size 256
		.amdhsa_private_segment_fixed_size 0
		.amdhsa_kernarg_size 320
		.amdhsa_user_sgpr_count 14
		.amdhsa_user_sgpr_dispatch_ptr 0
		.amdhsa_user_sgpr_queue_ptr 0
		.amdhsa_user_sgpr_kernarg_segment_ptr 1
		.amdhsa_user_sgpr_dispatch_id 0
		.amdhsa_user_sgpr_private_segment_size 0
		.amdhsa_wavefront_size32 1
		.amdhsa_uses_dynamic_stack 0
		.amdhsa_enable_private_segment 0
		.amdhsa_system_sgpr_workgroup_id_x 1
		.amdhsa_system_sgpr_workgroup_id_y 0
		.amdhsa_system_sgpr_workgroup_id_z 1
		.amdhsa_system_sgpr_workgroup_info 0
		.amdhsa_system_vgpr_workitem_id 0
		.amdhsa_next_free_vgpr 11
		.amdhsa_next_free_sgpr 16
		.amdhsa_reserve_vcc 1
		.amdhsa_float_round_mode_32 0
		.amdhsa_float_round_mode_16_64 0
		.amdhsa_float_denorm_mode_32 3
		.amdhsa_float_denorm_mode_16_64 3
		.amdhsa_dx10_clamp 1
		.amdhsa_ieee_mode 1
		.amdhsa_fp16_overflow 0
		.amdhsa_workgroup_processor_mode 1
		.amdhsa_memory_ordered 1
		.amdhsa_forward_progress 0
		.amdhsa_shared_vgpr_count 0
		.amdhsa_exception_fp_ieee_invalid_op 0
		.amdhsa_exception_fp_denorm_src 0
		.amdhsa_exception_fp_ieee_div_zero 0
		.amdhsa_exception_fp_ieee_overflow 0
		.amdhsa_exception_fp_ieee_underflow 0
		.amdhsa_exception_fp_ieee_inexact 0
		.amdhsa_exception_int_div_zero 0
	.end_amdhsa_kernel
	.section	.text._ZL24rocblas_dot_kernel_magsqIiLb0ELi512ELi2ELb0EdPKPKfdEviT5_lT_liPT6_PT4_,"axG",@progbits,_ZL24rocblas_dot_kernel_magsqIiLb0ELi512ELi2ELb0EdPKPKfdEviT5_lT_liPT6_PT4_,comdat
.Lfunc_end448:
	.size	_ZL24rocblas_dot_kernel_magsqIiLb0ELi512ELi2ELb0EdPKPKfdEviT5_lT_liPT6_PT4_, .Lfunc_end448-_ZL24rocblas_dot_kernel_magsqIiLb0ELi512ELi2ELb0EdPKPKfdEviT5_lT_liPT6_PT4_
                                        ; -- End function
	.section	.AMDGPU.csdata,"",@progbits
; Kernel info:
; codeLenInByte = 1000
; NumSgprs: 18
; NumVgprs: 11
; ScratchSize: 0
; MemoryBound: 0
; FloatMode: 240
; IeeeMode: 1
; LDSByteSize: 256 bytes/workgroup (compile time only)
; SGPRBlocks: 2
; VGPRBlocks: 1
; NumSGPRsForWavesPerEU: 18
; NumVGPRsForWavesPerEU: 11
; Occupancy: 16
; WaveLimiterHint : 1
; COMPUTE_PGM_RSRC2:SCRATCH_EN: 0
; COMPUTE_PGM_RSRC2:USER_SGPR: 14
; COMPUTE_PGM_RSRC2:TRAP_HANDLER: 0
; COMPUTE_PGM_RSRC2:TGID_X_EN: 1
; COMPUTE_PGM_RSRC2:TGID_Y_EN: 0
; COMPUTE_PGM_RSRC2:TGID_Z_EN: 1
; COMPUTE_PGM_RSRC2:TIDIG_COMP_CNT: 0
	.section	.text._ZL28rocblas_dot_batched_4_kernelIlLi32ELi4ELb0EddPKPKfEviT5_lT_lS4_lS5_liPT4_,"axG",@progbits,_ZL28rocblas_dot_batched_4_kernelIlLi32ELi4ELb0EddPKPKfEviT5_lT_lS4_lS5_liPT4_,comdat
	.globl	_ZL28rocblas_dot_batched_4_kernelIlLi32ELi4ELb0EddPKPKfEviT5_lT_lS4_lS5_liPT4_ ; -- Begin function _ZL28rocblas_dot_batched_4_kernelIlLi32ELi4ELb0EddPKPKfEviT5_lT_lS4_lS5_liPT4_
	.p2align	8
	.type	_ZL28rocblas_dot_batched_4_kernelIlLi32ELi4ELb0EddPKPKfEviT5_lT_lS4_lS5_liPT4_,@function
_ZL28rocblas_dot_batched_4_kernelIlLi32ELi4ELb0EddPKPKfEviT5_lT_lS4_lS5_liPT4_: ; @_ZL28rocblas_dot_batched_4_kernelIlLi32ELi4ELb0EddPKPKfEviT5_lT_lS4_lS5_liPT4_
; %bb.0:
	s_load_b32 s2, s[0:1], 0x48
	v_bfe_u32 v1, v0, 10, 10
	s_delay_alu instid0(VALU_DEP_1) | instskip(SKIP_1) | instid1(VALU_DEP_1)
	v_lshl_add_u32 v4, s15, 2, v1
	s_waitcnt lgkmcnt(0)
	v_cmp_gt_u32_e32 vcc_lo, s2, v4
	s_and_saveexec_b32 s2, vcc_lo
	s_cbranch_execz .LBB449_7
; %bb.1:
	s_clause 0x1
	s_load_b32 s10, s[0:1], 0x0
	s_load_b64 s[8:9], s[0:1], 0x50
	v_dual_mov_b32 v5, 0 :: v_dual_and_b32 v8, 0x3ff, v0
	v_mov_b32_e32 v2, 0
	v_mov_b32_e32 v3, 0
	s_mov_b32 s11, exec_lo
	s_delay_alu instid0(VALU_DEP_3)
	v_lshlrev_b64 v[0:1], 3, v[4:5]
	s_waitcnt lgkmcnt(0)
	v_cmpx_gt_i32_e64 s10, v8
	s_cbranch_execz .LBB449_5
; %bb.2:
	s_clause 0x3
	s_load_b64 s[12:13], s[0:1], 0x8
	s_load_b64 s[14:15], s[0:1], 0x28
	s_load_b128 s[4:7], s[0:1], 0x10
	s_load_b128 s[0:3], s[0:1], 0x30
	s_waitcnt lgkmcnt(0)
	v_add_co_u32 v2, vcc_lo, s12, v0
	v_add_co_ci_u32_e32 v3, vcc_lo, s13, v1, vcc_lo
	v_add_co_u32 v4, vcc_lo, s14, v0
	v_add_co_ci_u32_e32 v5, vcc_lo, s15, v1, vcc_lo
	s_lshl_b64 s[4:5], s[4:5], 2
	global_load_b64 v[6:7], v[2:3], off
	global_load_b64 v[9:10], v[4:5], off
	v_mad_u64_u32 v[2:3], null, s6, v8, 0
	v_mad_u64_u32 v[4:5], null, s2, v8, 0
	s_lshl_b64 s[0:1], s[0:1], 2
	s_delay_alu instid0(VALU_DEP_1) | instskip(NEXT) | instid1(VALU_DEP_1)
	v_mad_u64_u32 v[11:12], null, s7, v8, v[3:4]
	v_mov_b32_e32 v3, v11
	s_waitcnt vmcnt(1)
	s_delay_alu instid0(VALU_DEP_3) | instskip(SKIP_1) | instid1(VALU_DEP_1)
	v_mad_u64_u32 v[12:13], null, s3, v8, v[5:6]
	s_lshl_b64 s[2:3], s[2:3], 7
	v_mov_b32_e32 v5, v12
	v_lshlrev_b64 v[11:12], 2, v[2:3]
	v_mov_b32_e32 v2, 0
	v_mov_b32_e32 v3, 0
	s_delay_alu instid0(VALU_DEP_4) | instskip(NEXT) | instid1(VALU_DEP_4)
	v_lshlrev_b64 v[4:5], 2, v[4:5]
	v_add_co_u32 v11, vcc_lo, v11, s4
	v_add_co_ci_u32_e32 v12, vcc_lo, s5, v12, vcc_lo
	s_delay_alu instid0(VALU_DEP_3) | instskip(NEXT) | instid1(VALU_DEP_4)
	v_add_co_u32 v13, vcc_lo, v4, s0
	v_add_co_ci_u32_e32 v14, vcc_lo, s1, v5, vcc_lo
	s_delay_alu instid0(VALU_DEP_4) | instskip(NEXT) | instid1(VALU_DEP_4)
	v_add_co_u32 v4, vcc_lo, v6, v11
	v_add_co_ci_u32_e32 v5, vcc_lo, v7, v12, vcc_lo
	s_waitcnt vmcnt(0)
	v_add_co_u32 v6, vcc_lo, v9, v13
	v_add_co_ci_u32_e32 v7, vcc_lo, v10, v14, vcc_lo
	v_mov_b32_e32 v9, v8
	s_lshl_b64 s[4:5], s[6:7], 7
	s_mov_b32 s1, 0
	.p2align	6
.LBB449_3:                              ; =>This Inner Loop Header: Depth=1
	global_load_b32 v10, v[4:5], off
	global_load_b32 v12, v[6:7], off
	v_add_nc_u32_e32 v9, 32, v9
	v_add_co_u32 v4, vcc_lo, v4, s4
	v_add_co_ci_u32_e32 v5, vcc_lo, s5, v5, vcc_lo
	s_delay_alu instid0(VALU_DEP_3) | instskip(SKIP_1) | instid1(VALU_DEP_1)
	v_cmp_le_i32_e32 vcc_lo, s10, v9
	v_add_co_u32 v6, s0, v6, s2
	v_add_co_ci_u32_e64 v7, s0, s3, v7, s0
	s_or_b32 s1, vcc_lo, s1
	s_waitcnt vmcnt(1)
	v_cvt_f64_f32_e32 v[10:11], v10
	s_waitcnt vmcnt(0)
	v_cvt_f64_f32_e32 v[12:13], v12
	s_delay_alu instid0(VALU_DEP_1)
	v_fma_f64 v[2:3], v[10:11], v[12:13], v[2:3]
	s_and_not1_b32 exec_lo, exec_lo, s1
	s_cbranch_execnz .LBB449_3
; %bb.4:
	s_or_b32 exec_lo, exec_lo, s1
.LBB449_5:
	s_delay_alu instid0(SALU_CYCLE_1)
	s_or_b32 exec_lo, exec_lo, s11
	v_mbcnt_lo_u32_b32 v6, -1, 0
	s_barrier
	buffer_gl0_inv
	v_cmp_gt_u32_e32 vcc_lo, 16, v6
	v_cndmask_b32_e64 v4, 0, 1, vcc_lo
	v_cmp_gt_u32_e32 vcc_lo, 24, v6
	s_delay_alu instid0(VALU_DEP_2) | instskip(NEXT) | instid1(VALU_DEP_1)
	v_lshlrev_b32_e32 v4, 4, v4
	v_add_lshl_u32 v5, v4, v6, 2
	ds_bpermute_b32 v4, v5, v2
	ds_bpermute_b32 v5, v5, v3
	s_waitcnt lgkmcnt(0)
	v_add_f64 v[2:3], v[2:3], v[4:5]
	v_cndmask_b32_e64 v4, 0, 1, vcc_lo
	v_cmp_gt_u32_e32 vcc_lo, 28, v6
	s_delay_alu instid0(VALU_DEP_2) | instskip(NEXT) | instid1(VALU_DEP_1)
	v_lshlrev_b32_e32 v4, 3, v4
	v_add_lshl_u32 v5, v4, v6, 2
	ds_bpermute_b32 v4, v5, v2
	ds_bpermute_b32 v5, v5, v3
	s_waitcnt lgkmcnt(0)
	v_add_f64 v[2:3], v[2:3], v[4:5]
	;; [unrolled: 9-line block ×3, first 2 shown]
	v_cndmask_b32_e64 v4, 0, 1, vcc_lo
	v_cmp_ne_u32_e32 vcc_lo, 31, v6
	s_delay_alu instid0(VALU_DEP_2) | instskip(NEXT) | instid1(VALU_DEP_1)
	v_lshlrev_b32_e32 v4, 1, v4
	v_add_lshl_u32 v5, v4, v6, 2
	ds_bpermute_b32 v4, v5, v2
	ds_bpermute_b32 v5, v5, v3
	s_waitcnt lgkmcnt(0)
	v_add_f64 v[2:3], v[2:3], v[4:5]
	v_add_co_ci_u32_e32 v4, vcc_lo, 0, v6, vcc_lo
	v_cmp_eq_u32_e32 vcc_lo, 0, v8
	s_delay_alu instid0(VALU_DEP_2)
	v_lshlrev_b32_e32 v5, 2, v4
	ds_bpermute_b32 v4, v5, v2
	ds_bpermute_b32 v5, v5, v3
	s_and_b32 exec_lo, exec_lo, vcc_lo
	s_cbranch_execz .LBB449_7
; %bb.6:
	s_waitcnt lgkmcnt(0)
	v_add_f64 v[2:3], v[2:3], v[4:5]
	v_add_co_u32 v0, vcc_lo, s8, v0
	v_add_co_ci_u32_e32 v1, vcc_lo, s9, v1, vcc_lo
	global_store_b64 v[0:1], v[2:3], off
.LBB449_7:
	s_nop 0
	s_sendmsg sendmsg(MSG_DEALLOC_VGPRS)
	s_endpgm
	.section	.rodata,"a",@progbits
	.p2align	6, 0x0
	.amdhsa_kernel _ZL28rocblas_dot_batched_4_kernelIlLi32ELi4ELb0EddPKPKfEviT5_lT_lS4_lS5_liPT4_
		.amdhsa_group_segment_fixed_size 0
		.amdhsa_private_segment_fixed_size 0
		.amdhsa_kernarg_size 88
		.amdhsa_user_sgpr_count 15
		.amdhsa_user_sgpr_dispatch_ptr 0
		.amdhsa_user_sgpr_queue_ptr 0
		.amdhsa_user_sgpr_kernarg_segment_ptr 1
		.amdhsa_user_sgpr_dispatch_id 0
		.amdhsa_user_sgpr_private_segment_size 0
		.amdhsa_wavefront_size32 1
		.amdhsa_uses_dynamic_stack 0
		.amdhsa_enable_private_segment 0
		.amdhsa_system_sgpr_workgroup_id_x 1
		.amdhsa_system_sgpr_workgroup_id_y 0
		.amdhsa_system_sgpr_workgroup_id_z 0
		.amdhsa_system_sgpr_workgroup_info 0
		.amdhsa_system_vgpr_workitem_id 1
		.amdhsa_next_free_vgpr 15
		.amdhsa_next_free_sgpr 16
		.amdhsa_reserve_vcc 1
		.amdhsa_float_round_mode_32 0
		.amdhsa_float_round_mode_16_64 0
		.amdhsa_float_denorm_mode_32 3
		.amdhsa_float_denorm_mode_16_64 3
		.amdhsa_dx10_clamp 1
		.amdhsa_ieee_mode 1
		.amdhsa_fp16_overflow 0
		.amdhsa_workgroup_processor_mode 1
		.amdhsa_memory_ordered 1
		.amdhsa_forward_progress 0
		.amdhsa_shared_vgpr_count 0
		.amdhsa_exception_fp_ieee_invalid_op 0
		.amdhsa_exception_fp_denorm_src 0
		.amdhsa_exception_fp_ieee_div_zero 0
		.amdhsa_exception_fp_ieee_overflow 0
		.amdhsa_exception_fp_ieee_underflow 0
		.amdhsa_exception_fp_ieee_inexact 0
		.amdhsa_exception_int_div_zero 0
	.end_amdhsa_kernel
	.section	.text._ZL28rocblas_dot_batched_4_kernelIlLi32ELi4ELb0EddPKPKfEviT5_lT_lS4_lS5_liPT4_,"axG",@progbits,_ZL28rocblas_dot_batched_4_kernelIlLi32ELi4ELb0EddPKPKfEviT5_lT_lS4_lS5_liPT4_,comdat
.Lfunc_end449:
	.size	_ZL28rocblas_dot_batched_4_kernelIlLi32ELi4ELb0EddPKPKfEviT5_lT_lS4_lS5_liPT4_, .Lfunc_end449-_ZL28rocblas_dot_batched_4_kernelIlLi32ELi4ELb0EddPKPKfEviT5_lT_lS4_lS5_liPT4_
                                        ; -- End function
	.section	.AMDGPU.csdata,"",@progbits
; Kernel info:
; codeLenInByte = 800
; NumSgprs: 18
; NumVgprs: 15
; ScratchSize: 0
; MemoryBound: 0
; FloatMode: 240
; IeeeMode: 1
; LDSByteSize: 0 bytes/workgroup (compile time only)
; SGPRBlocks: 2
; VGPRBlocks: 1
; NumSGPRsForWavesPerEU: 18
; NumVGPRsForWavesPerEU: 15
; Occupancy: 16
; WaveLimiterHint : 0
; COMPUTE_PGM_RSRC2:SCRATCH_EN: 0
; COMPUTE_PGM_RSRC2:USER_SGPR: 15
; COMPUTE_PGM_RSRC2:TRAP_HANDLER: 0
; COMPUTE_PGM_RSRC2:TGID_X_EN: 1
; COMPUTE_PGM_RSRC2:TGID_Y_EN: 0
; COMPUTE_PGM_RSRC2:TGID_Z_EN: 0
; COMPUTE_PGM_RSRC2:TIDIG_COMP_CNT: 1
	.section	.text._ZL28rocblas_dot_batched_4_kernelIlLi64ELi4ELb0EddPKPKfEviT5_lT_lS4_lS5_liPT4_,"axG",@progbits,_ZL28rocblas_dot_batched_4_kernelIlLi64ELi4ELb0EddPKPKfEviT5_lT_lS4_lS5_liPT4_,comdat
	.globl	_ZL28rocblas_dot_batched_4_kernelIlLi64ELi4ELb0EddPKPKfEviT5_lT_lS4_lS5_liPT4_ ; -- Begin function _ZL28rocblas_dot_batched_4_kernelIlLi64ELi4ELb0EddPKPKfEviT5_lT_lS4_lS5_liPT4_
	.p2align	8
	.type	_ZL28rocblas_dot_batched_4_kernelIlLi64ELi4ELb0EddPKPKfEviT5_lT_lS4_lS5_liPT4_,@function
_ZL28rocblas_dot_batched_4_kernelIlLi64ELi4ELb0EddPKPKfEviT5_lT_lS4_lS5_liPT4_: ; @_ZL28rocblas_dot_batched_4_kernelIlLi64ELi4ELb0EddPKPKfEviT5_lT_lS4_lS5_liPT4_
; %bb.0:
	s_load_b32 s2, s[0:1], 0x48
	v_bfe_u32 v1, v0, 10, 10
	s_delay_alu instid0(VALU_DEP_1) | instskip(SKIP_1) | instid1(VALU_DEP_1)
	v_lshl_add_u32 v4, s15, 2, v1
	s_waitcnt lgkmcnt(0)
	v_cmp_gt_u32_e32 vcc_lo, s2, v4
	s_and_saveexec_b32 s2, vcc_lo
	s_cbranch_execz .LBB450_7
; %bb.1:
	s_clause 0x1
	s_load_b32 s10, s[0:1], 0x0
	s_load_b64 s[8:9], s[0:1], 0x50
	v_dual_mov_b32 v5, 0 :: v_dual_and_b32 v8, 0x3ff, v0
	v_mov_b32_e32 v2, 0
	v_mov_b32_e32 v3, 0
	s_mov_b32 s11, exec_lo
	s_delay_alu instid0(VALU_DEP_3)
	v_lshlrev_b64 v[0:1], 3, v[4:5]
	s_waitcnt lgkmcnt(0)
	v_cmpx_gt_i32_e64 s10, v8
	s_cbranch_execz .LBB450_5
; %bb.2:
	s_clause 0x3
	s_load_b64 s[12:13], s[0:1], 0x8
	s_load_b64 s[14:15], s[0:1], 0x28
	s_load_b128 s[4:7], s[0:1], 0x10
	s_load_b128 s[0:3], s[0:1], 0x30
	s_waitcnt lgkmcnt(0)
	v_add_co_u32 v2, vcc_lo, s12, v0
	v_add_co_ci_u32_e32 v3, vcc_lo, s13, v1, vcc_lo
	v_add_co_u32 v4, vcc_lo, s14, v0
	v_add_co_ci_u32_e32 v5, vcc_lo, s15, v1, vcc_lo
	s_lshl_b64 s[4:5], s[4:5], 2
	global_load_b64 v[6:7], v[2:3], off
	global_load_b64 v[9:10], v[4:5], off
	v_mad_u64_u32 v[2:3], null, s6, v8, 0
	v_mad_u64_u32 v[4:5], null, s2, v8, 0
	s_lshl_b64 s[0:1], s[0:1], 2
	s_delay_alu instid0(VALU_DEP_1) | instskip(NEXT) | instid1(VALU_DEP_1)
	v_mad_u64_u32 v[11:12], null, s7, v8, v[3:4]
	v_mov_b32_e32 v3, v11
	s_waitcnt vmcnt(1)
	s_delay_alu instid0(VALU_DEP_3) | instskip(SKIP_1) | instid1(VALU_DEP_1)
	v_mad_u64_u32 v[12:13], null, s3, v8, v[5:6]
	s_lshl_b64 s[2:3], s[2:3], 8
	v_mov_b32_e32 v5, v12
	v_lshlrev_b64 v[11:12], 2, v[2:3]
	v_mov_b32_e32 v2, 0
	v_mov_b32_e32 v3, 0
	s_delay_alu instid0(VALU_DEP_4) | instskip(NEXT) | instid1(VALU_DEP_4)
	v_lshlrev_b64 v[4:5], 2, v[4:5]
	v_add_co_u32 v11, vcc_lo, v11, s4
	v_add_co_ci_u32_e32 v12, vcc_lo, s5, v12, vcc_lo
	s_delay_alu instid0(VALU_DEP_3) | instskip(NEXT) | instid1(VALU_DEP_4)
	v_add_co_u32 v13, vcc_lo, v4, s0
	v_add_co_ci_u32_e32 v14, vcc_lo, s1, v5, vcc_lo
	s_delay_alu instid0(VALU_DEP_4) | instskip(NEXT) | instid1(VALU_DEP_4)
	v_add_co_u32 v4, vcc_lo, v6, v11
	v_add_co_ci_u32_e32 v5, vcc_lo, v7, v12, vcc_lo
	s_waitcnt vmcnt(0)
	v_add_co_u32 v6, vcc_lo, v9, v13
	v_add_co_ci_u32_e32 v7, vcc_lo, v10, v14, vcc_lo
	v_mov_b32_e32 v9, v8
	s_lshl_b64 s[4:5], s[6:7], 8
	s_mov_b32 s1, 0
	.p2align	6
.LBB450_3:                              ; =>This Inner Loop Header: Depth=1
	global_load_b32 v10, v[4:5], off
	global_load_b32 v12, v[6:7], off
	v_add_nc_u32_e32 v9, 64, v9
	v_add_co_u32 v4, vcc_lo, v4, s4
	v_add_co_ci_u32_e32 v5, vcc_lo, s5, v5, vcc_lo
	s_delay_alu instid0(VALU_DEP_3) | instskip(SKIP_1) | instid1(VALU_DEP_1)
	v_cmp_le_i32_e32 vcc_lo, s10, v9
	v_add_co_u32 v6, s0, v6, s2
	v_add_co_ci_u32_e64 v7, s0, s3, v7, s0
	s_or_b32 s1, vcc_lo, s1
	s_waitcnt vmcnt(1)
	v_cvt_f64_f32_e32 v[10:11], v10
	s_waitcnt vmcnt(0)
	v_cvt_f64_f32_e32 v[12:13], v12
	s_delay_alu instid0(VALU_DEP_1)
	v_fma_f64 v[2:3], v[10:11], v[12:13], v[2:3]
	s_and_not1_b32 exec_lo, exec_lo, s1
	s_cbranch_execnz .LBB450_3
; %bb.4:
	s_or_b32 exec_lo, exec_lo, s1
.LBB450_5:
	s_delay_alu instid0(SALU_CYCLE_1)
	s_or_b32 exec_lo, exec_lo, s11
	v_mbcnt_lo_u32_b32 v6, -1, 0
	s_barrier
	buffer_gl0_inv
	v_lshlrev_b32_e32 v5, 2, v6
	v_cmp_gt_u32_e32 vcc_lo, 16, v6
	ds_bpermute_b32 v4, v5, v2
	ds_bpermute_b32 v5, v5, v3
	s_waitcnt lgkmcnt(0)
	v_add_f64 v[2:3], v[2:3], v[4:5]
	v_cndmask_b32_e64 v4, 0, 1, vcc_lo
	v_cmp_gt_u32_e32 vcc_lo, 24, v6
	s_delay_alu instid0(VALU_DEP_2) | instskip(NEXT) | instid1(VALU_DEP_1)
	v_lshlrev_b32_e32 v4, 4, v4
	v_add_lshl_u32 v5, v4, v6, 2
	ds_bpermute_b32 v4, v5, v2
	ds_bpermute_b32 v5, v5, v3
	s_waitcnt lgkmcnt(0)
	v_add_f64 v[2:3], v[2:3], v[4:5]
	v_cndmask_b32_e64 v4, 0, 1, vcc_lo
	v_cmp_gt_u32_e32 vcc_lo, 28, v6
	s_delay_alu instid0(VALU_DEP_2) | instskip(NEXT) | instid1(VALU_DEP_1)
	v_lshlrev_b32_e32 v4, 3, v4
	v_add_lshl_u32 v5, v4, v6, 2
	;; [unrolled: 9-line block ×3, first 2 shown]
	ds_bpermute_b32 v4, v5, v2
	ds_bpermute_b32 v5, v5, v3
	s_waitcnt lgkmcnt(0)
	v_add_f64 v[2:3], v[2:3], v[4:5]
	v_cndmask_b32_e64 v4, 0, 1, vcc_lo
	v_cmp_ne_u32_e32 vcc_lo, 31, v6
	s_delay_alu instid0(VALU_DEP_2) | instskip(NEXT) | instid1(VALU_DEP_1)
	v_lshlrev_b32_e32 v4, 1, v4
	v_add_lshl_u32 v5, v4, v6, 2
	ds_bpermute_b32 v4, v5, v2
	ds_bpermute_b32 v5, v5, v3
	s_waitcnt lgkmcnt(0)
	v_add_f64 v[2:3], v[2:3], v[4:5]
	v_add_co_ci_u32_e32 v4, vcc_lo, 0, v6, vcc_lo
	v_cmp_eq_u32_e32 vcc_lo, 0, v8
	s_delay_alu instid0(VALU_DEP_2)
	v_lshlrev_b32_e32 v5, 2, v4
	ds_bpermute_b32 v4, v5, v2
	ds_bpermute_b32 v5, v5, v3
	s_and_b32 exec_lo, exec_lo, vcc_lo
	s_cbranch_execz .LBB450_7
; %bb.6:
	s_waitcnt lgkmcnt(0)
	v_add_f64 v[2:3], v[2:3], v[4:5]
	v_add_co_u32 v0, vcc_lo, s8, v0
	v_add_co_ci_u32_e32 v1, vcc_lo, s9, v1, vcc_lo
	global_store_b64 v[0:1], v[2:3], off
.LBB450_7:
	s_nop 0
	s_sendmsg sendmsg(MSG_DEALLOC_VGPRS)
	s_endpgm
	.section	.rodata,"a",@progbits
	.p2align	6, 0x0
	.amdhsa_kernel _ZL28rocblas_dot_batched_4_kernelIlLi64ELi4ELb0EddPKPKfEviT5_lT_lS4_lS5_liPT4_
		.amdhsa_group_segment_fixed_size 0
		.amdhsa_private_segment_fixed_size 0
		.amdhsa_kernarg_size 88
		.amdhsa_user_sgpr_count 15
		.amdhsa_user_sgpr_dispatch_ptr 0
		.amdhsa_user_sgpr_queue_ptr 0
		.amdhsa_user_sgpr_kernarg_segment_ptr 1
		.amdhsa_user_sgpr_dispatch_id 0
		.amdhsa_user_sgpr_private_segment_size 0
		.amdhsa_wavefront_size32 1
		.amdhsa_uses_dynamic_stack 0
		.amdhsa_enable_private_segment 0
		.amdhsa_system_sgpr_workgroup_id_x 1
		.amdhsa_system_sgpr_workgroup_id_y 0
		.amdhsa_system_sgpr_workgroup_id_z 0
		.amdhsa_system_sgpr_workgroup_info 0
		.amdhsa_system_vgpr_workitem_id 1
		.amdhsa_next_free_vgpr 15
		.amdhsa_next_free_sgpr 16
		.amdhsa_reserve_vcc 1
		.amdhsa_float_round_mode_32 0
		.amdhsa_float_round_mode_16_64 0
		.amdhsa_float_denorm_mode_32 3
		.amdhsa_float_denorm_mode_16_64 3
		.amdhsa_dx10_clamp 1
		.amdhsa_ieee_mode 1
		.amdhsa_fp16_overflow 0
		.amdhsa_workgroup_processor_mode 1
		.amdhsa_memory_ordered 1
		.amdhsa_forward_progress 0
		.amdhsa_shared_vgpr_count 0
		.amdhsa_exception_fp_ieee_invalid_op 0
		.amdhsa_exception_fp_denorm_src 0
		.amdhsa_exception_fp_ieee_div_zero 0
		.amdhsa_exception_fp_ieee_overflow 0
		.amdhsa_exception_fp_ieee_underflow 0
		.amdhsa_exception_fp_ieee_inexact 0
		.amdhsa_exception_int_div_zero 0
	.end_amdhsa_kernel
	.section	.text._ZL28rocblas_dot_batched_4_kernelIlLi64ELi4ELb0EddPKPKfEviT5_lT_lS4_lS5_liPT4_,"axG",@progbits,_ZL28rocblas_dot_batched_4_kernelIlLi64ELi4ELb0EddPKPKfEviT5_lT_lS4_lS5_liPT4_,comdat
.Lfunc_end450:
	.size	_ZL28rocblas_dot_batched_4_kernelIlLi64ELi4ELb0EddPKPKfEviT5_lT_lS4_lS5_liPT4_, .Lfunc_end450-_ZL28rocblas_dot_batched_4_kernelIlLi64ELi4ELb0EddPKPKfEviT5_lT_lS4_lS5_liPT4_
                                        ; -- End function
	.section	.AMDGPU.csdata,"",@progbits
; Kernel info:
; codeLenInByte = 832
; NumSgprs: 18
; NumVgprs: 15
; ScratchSize: 0
; MemoryBound: 0
; FloatMode: 240
; IeeeMode: 1
; LDSByteSize: 0 bytes/workgroup (compile time only)
; SGPRBlocks: 2
; VGPRBlocks: 1
; NumSGPRsForWavesPerEU: 18
; NumVGPRsForWavesPerEU: 15
; Occupancy: 16
; WaveLimiterHint : 0
; COMPUTE_PGM_RSRC2:SCRATCH_EN: 0
; COMPUTE_PGM_RSRC2:USER_SGPR: 15
; COMPUTE_PGM_RSRC2:TRAP_HANDLER: 0
; COMPUTE_PGM_RSRC2:TGID_X_EN: 1
; COMPUTE_PGM_RSRC2:TGID_Y_EN: 0
; COMPUTE_PGM_RSRC2:TGID_Z_EN: 0
; COMPUTE_PGM_RSRC2:TIDIG_COMP_CNT: 1
	.section	.text._ZL18rocblas_dot_kernelIlLb1ELi1024ELi32ELb0EdPKPKfdEviT5_lT_lS4_lS5_liPT6_PT4_,"axG",@progbits,_ZL18rocblas_dot_kernelIlLb1ELi1024ELi32ELb0EdPKPKfdEviT5_lT_lS4_lS5_liPT6_PT4_,comdat
	.globl	_ZL18rocblas_dot_kernelIlLb1ELi1024ELi32ELb0EdPKPKfdEviT5_lT_lS4_lS5_liPT6_PT4_ ; -- Begin function _ZL18rocblas_dot_kernelIlLb1ELi1024ELi32ELb0EdPKPKfdEviT5_lT_lS4_lS5_liPT6_PT4_
	.p2align	8
	.type	_ZL18rocblas_dot_kernelIlLb1ELi1024ELi32ELb0EdPKPKfdEviT5_lT_lS4_lS5_liPT6_PT4_,@function
_ZL18rocblas_dot_kernelIlLb1ELi1024ELi32ELb0EdPKPKfdEviT5_lT_lS4_lS5_liPT6_PT4_: ; @_ZL18rocblas_dot_kernelIlLb1ELi1024ELi32ELb0EdPKPKfdEviT5_lT_lS4_lS5_liPT6_PT4_
; %bb.0:
	s_clause 0x1
	s_load_b32 s14, s[0:1], 0x0
	s_load_b64 s[2:3], s[0:1], 0x58
	v_mov_b32_e32 v1, 0
	v_mov_b32_e32 v2, 0
	s_mov_b32 s12, s15
	s_mov_b32 s13, 0
	s_mov_b32 s15, exec_lo
	s_waitcnt lgkmcnt(0)
	v_cmpx_gt_i32_e64 s14, v0
	s_cbranch_execz .LBB451_4
; %bb.1:
	s_clause 0x4
	s_load_b64 s[16:17], s[0:1], 0x8
	s_load_b128 s[8:11], s[0:1], 0x10
	s_load_b128 s[4:7], s[0:1], 0x30
	s_load_b64 s[18:19], s[0:1], 0x28
	s_load_b32 s20, s[0:1], 0x60
	s_lshl_b64 s[0:1], s[12:13], 3
	s_waitcnt lgkmcnt(0)
	s_add_u32 s16, s16, s0
	s_addc_u32 s17, s17, s1
	v_mad_u64_u32 v[3:4], null, s10, v0, 0
	s_load_b64 s[16:17], s[16:17], 0x0
	v_mad_u64_u32 v[5:6], null, s6, v0, 0
	s_add_u32 s18, s18, s0
	s_addc_u32 s19, s19, s1
	s_lshl_b32 s1, s20, 10
	s_load_b64 s[18:19], s[18:19], 0x0
	v_or_b32_e32 v7, s1, v0
	s_lshl_b64 s[8:9], s[8:9], 2
	s_delay_alu instid0(VALU_DEP_2) | instskip(SKIP_1) | instid1(VALU_DEP_3)
	v_mad_u64_u32 v[8:9], null, s11, v0, v[4:5]
	v_mov_b32_e32 v1, 0
	v_mad_u64_u32 v[9:10], null, s7, v0, v[6:7]
	s_mul_hi_u32 s0, s10, s1
	s_mul_i32 s11, s11, s1
	s_mul_i32 s20, s10, s1
	s_delay_alu instid0(VALU_DEP_3)
	v_mov_b32_e32 v4, v8
	s_mul_hi_u32 s23, s6, s1
	s_mul_i32 s22, s6, s1
	s_waitcnt lgkmcnt(0)
	s_add_u32 s16, s16, s8
	v_mov_b32_e32 v6, v9
	s_addc_u32 s17, s17, s9
	s_ashr_i32 s24, s1, 31
	s_lshl_b64 s[8:9], s[4:5], 2
	s_mul_i32 s4, s10, s24
	v_lshlrev_b64 v[3:4], 2, v[3:4]
	s_add_i32 s0, s0, s4
	v_lshlrev_b64 v[5:6], 2, v[5:6]
	s_add_i32 s21, s0, s11
	s_mul_i32 s0, s6, s24
	s_lshl_b64 s[4:5], s[20:21], 2
	v_add_co_u32 v3, vcc_lo, s16, v3
	s_add_u32 s6, s18, s8
	v_add_co_ci_u32_e32 v4, vcc_lo, s17, v4, vcc_lo
	s_addc_u32 s8, s19, s9
	v_add_co_u32 v5, vcc_lo, s6, v5
	s_mul_i32 s7, s7, s1
	s_add_i32 s0, s23, s0
	v_mov_b32_e32 v2, 0
	v_add_co_ci_u32_e32 v6, vcc_lo, s8, v6, vcc_lo
	s_add_i32 s23, s0, s7
	s_mov_b32 s8, s13
	s_lshl_b64 s[6:7], s[22:23], 2
	s_mov_b32 s9, s13
	.p2align	6
.LBB451_2:                              ; =>This Inner Loop Header: Depth=1
	global_load_b32 v8, v[5:6], off
	global_load_b32 v10, v[3:4], off
	s_add_i32 s10, s9, 1
	v_cmp_le_i32_e32 vcc_lo, s14, v7
	v_add_co_u32 v3, s0, v3, s4
	s_cmp_gt_u32 s9, 30
	v_add_co_ci_u32_e64 v4, s0, s5, v4, s0
	s_cselect_b32 s9, -1, 0
	v_add_co_u32 v5, s0, v5, s6
	s_or_b32 s9, s9, vcc_lo
	v_add_nc_u32_e32 v7, s1, v7
	v_add_co_ci_u32_e64 v6, vcc_lo, s7, v6, s0
	s_and_b32 s0, exec_lo, s9
	s_mov_b32 s9, s10
	s_or_b32 s8, s0, s8
	s_waitcnt vmcnt(1)
	v_cvt_f64_f32_e32 v[8:9], v8
	s_waitcnt vmcnt(0)
	v_cvt_f64_f32_e32 v[10:11], v10
	s_delay_alu instid0(VALU_DEP_1)
	v_fma_f64 v[1:2], v[8:9], v[10:11], v[1:2]
	s_and_not1_b32 exec_lo, exec_lo, s8
	s_cbranch_execnz .LBB451_2
; %bb.3:
	s_or_b32 exec_lo, exec_lo, s8
.LBB451_4:
	s_delay_alu instid0(SALU_CYCLE_1) | instskip(SKIP_2) | instid1(VALU_DEP_2)
	s_or_b32 exec_lo, exec_lo, s15
	v_and_b32_e32 v11, 31, v0
	v_cmp_gt_u32_e32 vcc_lo, 32, v0
	v_lshlrev_b32_e32 v5, 3, v11
	s_and_saveexec_b32 s0, vcc_lo
	s_cbranch_execz .LBB451_6
; %bb.5:
	v_mov_b32_e32 v3, 0
	s_delay_alu instid0(VALU_DEP_1)
	v_mov_b32_e32 v4, v3
	ds_store_b64 v5, v[3:4]
.LBB451_6:
	s_or_b32 exec_lo, exec_lo, s0
	v_mbcnt_lo_u32_b32 v10, -1, 0
	s_mov_b32 s1, exec_lo
	s_waitcnt lgkmcnt(0)
	s_barrier
	buffer_gl0_inv
	v_cmp_gt_u32_e64 s0, 16, v10
	s_delay_alu instid0(VALU_DEP_1) | instskip(SKIP_1) | instid1(VALU_DEP_2)
	v_cndmask_b32_e64 v3, 0, 1, s0
	v_cmp_gt_u32_e64 s0, 24, v10
	v_lshlrev_b32_e32 v3, 4, v3
	s_delay_alu instid0(VALU_DEP_1)
	v_add_lshl_u32 v6, v3, v10, 2
	ds_bpermute_b32 v3, v6, v1
	ds_bpermute_b32 v4, v6, v2
	s_waitcnt lgkmcnt(0)
	v_add_f64 v[1:2], v[1:2], v[3:4]
	v_cndmask_b32_e64 v3, 0, 1, s0
	v_cmp_gt_u32_e64 s0, 28, v10
	s_delay_alu instid0(VALU_DEP_2) | instskip(NEXT) | instid1(VALU_DEP_1)
	v_lshlrev_b32_e32 v3, 3, v3
	v_add_lshl_u32 v7, v3, v10, 2
	ds_bpermute_b32 v3, v7, v1
	ds_bpermute_b32 v4, v7, v2
	s_waitcnt lgkmcnt(0)
	v_add_f64 v[1:2], v[1:2], v[3:4]
	v_cndmask_b32_e64 v3, 0, 1, s0
	v_cmp_gt_u32_e64 s0, 30, v10
	s_delay_alu instid0(VALU_DEP_2) | instskip(NEXT) | instid1(VALU_DEP_1)
	v_lshlrev_b32_e32 v3, 2, v3
	v_add_lshl_u32 v8, v3, v10, 2
	ds_bpermute_b32 v3, v8, v1
	ds_bpermute_b32 v4, v8, v2
	s_waitcnt lgkmcnt(0)
	v_add_f64 v[1:2], v[1:2], v[3:4]
	v_cndmask_b32_e64 v3, 0, 1, s0
	v_cmp_ne_u32_e64 s0, 31, v10
	s_delay_alu instid0(VALU_DEP_2) | instskip(NEXT) | instid1(VALU_DEP_1)
	v_lshlrev_b32_e32 v3, 1, v3
	v_add_lshl_u32 v9, v3, v10, 2
	ds_bpermute_b32 v3, v9, v1
	ds_bpermute_b32 v4, v9, v2
	s_waitcnt lgkmcnt(0)
	v_add_f64 v[1:2], v[1:2], v[3:4]
	v_add_co_ci_u32_e64 v3, s0, 0, v10, s0
	s_delay_alu instid0(VALU_DEP_1)
	v_lshlrev_b32_e32 v10, 2, v3
	ds_bpermute_b32 v3, v10, v1
	ds_bpermute_b32 v4, v10, v2
	v_cmpx_eq_u32_e32 0, v11
	s_cbranch_execz .LBB451_8
; %bb.7:
	s_waitcnt lgkmcnt(0)
	v_add_f64 v[1:2], v[1:2], v[3:4]
	v_lshrrev_b32_e32 v3, 2, v0
	s_delay_alu instid0(VALU_DEP_1)
	v_and_b32_e32 v3, 0xf8, v3
	ds_store_b64 v3, v[1:2]
.LBB451_8:
	s_or_b32 exec_lo, exec_lo, s1
	v_mov_b32_e32 v1, 0
	v_mov_b32_e32 v2, 0
	s_waitcnt lgkmcnt(0)
	s_barrier
	buffer_gl0_inv
	s_and_saveexec_b32 s0, vcc_lo
	s_cbranch_execz .LBB451_10
; %bb.9:
	ds_load_b64 v[1:2], v5
.LBB451_10:
	s_or_b32 exec_lo, exec_lo, s0
	s_and_saveexec_b32 s0, vcc_lo
	s_cbranch_execz .LBB451_12
; %bb.11:
	s_waitcnt lgkmcnt(0)
	ds_bpermute_b32 v3, v6, v1
	ds_bpermute_b32 v4, v6, v2
	s_waitcnt lgkmcnt(0)
	v_add_f64 v[1:2], v[1:2], v[3:4]
	ds_bpermute_b32 v3, v7, v1
	ds_bpermute_b32 v4, v7, v2
	s_waitcnt lgkmcnt(0)
	v_add_f64 v[1:2], v[1:2], v[3:4]
	;; [unrolled: 4-line block ×5, first 2 shown]
.LBB451_12:
	s_or_b32 exec_lo, exec_lo, s0
	s_delay_alu instid0(SALU_CYCLE_1)
	s_mov_b32 s0, exec_lo
	v_cmpx_eq_u32_e32 0, v0
	s_cbranch_execz .LBB451_14
; %bb.13:
	s_lshl_b64 s[0:1], s[12:13], 3
	v_mov_b32_e32 v0, 0
	s_add_u32 s0, s2, s0
	s_addc_u32 s1, s3, s1
	s_waitcnt lgkmcnt(0)
	global_store_b64 v0, v[1:2], s[0:1]
.LBB451_14:
	s_nop 0
	s_sendmsg sendmsg(MSG_DEALLOC_VGPRS)
	s_endpgm
	.section	.rodata,"a",@progbits
	.p2align	6, 0x0
	.amdhsa_kernel _ZL18rocblas_dot_kernelIlLb1ELi1024ELi32ELb0EdPKPKfdEviT5_lT_lS4_lS5_liPT6_PT4_
		.amdhsa_group_segment_fixed_size 256
		.amdhsa_private_segment_fixed_size 0
		.amdhsa_kernarg_size 352
		.amdhsa_user_sgpr_count 14
		.amdhsa_user_sgpr_dispatch_ptr 0
		.amdhsa_user_sgpr_queue_ptr 0
		.amdhsa_user_sgpr_kernarg_segment_ptr 1
		.amdhsa_user_sgpr_dispatch_id 0
		.amdhsa_user_sgpr_private_segment_size 0
		.amdhsa_wavefront_size32 1
		.amdhsa_uses_dynamic_stack 0
		.amdhsa_enable_private_segment 0
		.amdhsa_system_sgpr_workgroup_id_x 1
		.amdhsa_system_sgpr_workgroup_id_y 0
		.amdhsa_system_sgpr_workgroup_id_z 1
		.amdhsa_system_sgpr_workgroup_info 0
		.amdhsa_system_vgpr_workitem_id 0
		.amdhsa_next_free_vgpr 12
		.amdhsa_next_free_sgpr 25
		.amdhsa_reserve_vcc 1
		.amdhsa_float_round_mode_32 0
		.amdhsa_float_round_mode_16_64 0
		.amdhsa_float_denorm_mode_32 3
		.amdhsa_float_denorm_mode_16_64 3
		.amdhsa_dx10_clamp 1
		.amdhsa_ieee_mode 1
		.amdhsa_fp16_overflow 0
		.amdhsa_workgroup_processor_mode 1
		.amdhsa_memory_ordered 1
		.amdhsa_forward_progress 0
		.amdhsa_shared_vgpr_count 0
		.amdhsa_exception_fp_ieee_invalid_op 0
		.amdhsa_exception_fp_denorm_src 0
		.amdhsa_exception_fp_ieee_div_zero 0
		.amdhsa_exception_fp_ieee_overflow 0
		.amdhsa_exception_fp_ieee_underflow 0
		.amdhsa_exception_fp_ieee_inexact 0
		.amdhsa_exception_int_div_zero 0
	.end_amdhsa_kernel
	.section	.text._ZL18rocblas_dot_kernelIlLb1ELi1024ELi32ELb0EdPKPKfdEviT5_lT_lS4_lS5_liPT6_PT4_,"axG",@progbits,_ZL18rocblas_dot_kernelIlLb1ELi1024ELi32ELb0EdPKPKfdEviT5_lT_lS4_lS5_liPT6_PT4_,comdat
.Lfunc_end451:
	.size	_ZL18rocblas_dot_kernelIlLb1ELi1024ELi32ELb0EdPKPKfdEviT5_lT_lS4_lS5_liPT6_PT4_, .Lfunc_end451-_ZL18rocblas_dot_kernelIlLb1ELi1024ELi32ELb0EdPKPKfdEviT5_lT_lS4_lS5_liPT6_PT4_
                                        ; -- End function
	.section	.AMDGPU.csdata,"",@progbits
; Kernel info:
; codeLenInByte = 1132
; NumSgprs: 27
; NumVgprs: 12
; ScratchSize: 0
; MemoryBound: 0
; FloatMode: 240
; IeeeMode: 1
; LDSByteSize: 256 bytes/workgroup (compile time only)
; SGPRBlocks: 3
; VGPRBlocks: 1
; NumSGPRsForWavesPerEU: 27
; NumVGPRsForWavesPerEU: 12
; Occupancy: 16
; WaveLimiterHint : 0
; COMPUTE_PGM_RSRC2:SCRATCH_EN: 0
; COMPUTE_PGM_RSRC2:USER_SGPR: 14
; COMPUTE_PGM_RSRC2:TRAP_HANDLER: 0
; COMPUTE_PGM_RSRC2:TGID_X_EN: 1
; COMPUTE_PGM_RSRC2:TGID_Y_EN: 0
; COMPUTE_PGM_RSRC2:TGID_Z_EN: 1
; COMPUTE_PGM_RSRC2:TIDIG_COMP_CNT: 0
	.section	.text._ZL24rocblas_dot_kernel_magsqIlLb1ELi1024ELi32ELb0EdPKPKfdEviT5_lT_liPT6_PT4_,"axG",@progbits,_ZL24rocblas_dot_kernel_magsqIlLb1ELi1024ELi32ELb0EdPKPKfdEviT5_lT_liPT6_PT4_,comdat
	.globl	_ZL24rocblas_dot_kernel_magsqIlLb1ELi1024ELi32ELb0EdPKPKfdEviT5_lT_liPT6_PT4_ ; -- Begin function _ZL24rocblas_dot_kernel_magsqIlLb1ELi1024ELi32ELb0EdPKPKfdEviT5_lT_liPT6_PT4_
	.p2align	8
	.type	_ZL24rocblas_dot_kernel_magsqIlLb1ELi1024ELi32ELb0EdPKPKfdEviT5_lT_liPT6_PT4_,@function
_ZL24rocblas_dot_kernel_magsqIlLb1ELi1024ELi32ELb0EdPKPKfdEviT5_lT_liPT6_PT4_: ; @_ZL24rocblas_dot_kernel_magsqIlLb1ELi1024ELi32ELb0EdPKPKfdEviT5_lT_liPT6_PT4_
; %bb.0:
	s_clause 0x1
	s_load_b32 s10, s[0:1], 0x0
	s_load_b64 s[2:3], s[0:1], 0x38
	v_mov_b32_e32 v1, 0
	v_mov_b32_e32 v2, 0
	s_mov_b32 s8, s15
	s_mov_b32 s9, 0
	s_mov_b32 s11, exec_lo
	s_waitcnt lgkmcnt(0)
	v_cmpx_gt_i32_e64 s10, v0
	s_cbranch_execz .LBB452_4
; %bb.1:
	s_clause 0x1
	s_load_b64 s[12:13], s[0:1], 0x8
	s_load_b128 s[4:7], s[0:1], 0x10
	s_lshl_b64 s[14:15], s[8:9], 3
	s_load_b32 s16, s[0:1], 0x40
	s_waitcnt lgkmcnt(0)
	s_add_u32 s0, s12, s14
	v_mad_u64_u32 v[3:4], null, s6, v0, 0
	s_addc_u32 s1, s13, s15
	s_lshl_b64 s[4:5], s[4:5], 2
	s_load_b64 s[12:13], s[0:1], 0x0
	s_lshl_b32 s1, s16, 10
	s_delay_alu instid0(SALU_CYCLE_1) | instskip(NEXT) | instid1(VALU_DEP_1)
	s_mul_hi_u32 s0, s6, s1
	v_mov_b32_e32 v1, v4
	s_delay_alu instid0(VALU_DEP_1) | instskip(SKIP_3) | instid1(VALU_DEP_4)
	v_mad_u64_u32 v[4:5], null, s7, v0, v[1:2]
	v_mov_b32_e32 v1, 0
	v_mov_b32_e32 v2, 0
	v_or_b32_e32 v5, s1, v0
	v_lshlrev_b64 v[3:4], 2, v[3:4]
	s_waitcnt lgkmcnt(0)
	s_add_u32 s12, s12, s4
	s_addc_u32 s13, s13, s5
	s_ashr_i32 s4, s1, 31
	s_delay_alu instid0(VALU_DEP_1)
	v_add_co_u32 v3, vcc_lo, s12, v3
	s_mul_i32 s4, s6, s4
	s_mul_i32 s5, s7, s1
	s_add_i32 s0, s0, s4
	v_add_co_ci_u32_e32 v4, vcc_lo, s13, v4, vcc_lo
	s_mul_i32 s4, s6, s1
	s_add_i32 s5, s0, s5
	s_mov_b32 s6, s9
	s_lshl_b64 s[4:5], s[4:5], 2
	s_mov_b32 s7, s9
	.p2align	6
.LBB452_2:                              ; =>This Inner Loop Header: Depth=1
	global_load_b32 v6, v[3:4], off
	s_add_i32 s12, s7, 1
	v_cmp_le_i32_e32 vcc_lo, s10, v5
	s_cmp_gt_u32 s7, 30
	v_add_co_u32 v3, s0, v3, s4
	s_cselect_b32 s7, -1, 0
	v_add_nc_u32_e32 v5, s1, v5
	s_or_b32 s7, s7, vcc_lo
	v_add_co_ci_u32_e64 v4, vcc_lo, s5, v4, s0
	s_and_b32 s0, exec_lo, s7
	s_mov_b32 s7, s12
	s_or_b32 s6, s0, s6
	s_waitcnt vmcnt(0)
	v_cvt_f64_f32_e32 v[6:7], v6
	s_delay_alu instid0(VALU_DEP_1)
	v_fma_f64 v[1:2], v[6:7], v[6:7], v[1:2]
	s_and_not1_b32 exec_lo, exec_lo, s6
	s_cbranch_execnz .LBB452_2
; %bb.3:
	s_or_b32 exec_lo, exec_lo, s6
.LBB452_4:
	s_delay_alu instid0(SALU_CYCLE_1) | instskip(SKIP_2) | instid1(VALU_DEP_2)
	s_or_b32 exec_lo, exec_lo, s11
	v_and_b32_e32 v11, 31, v0
	v_cmp_gt_u32_e32 vcc_lo, 32, v0
	v_lshlrev_b32_e32 v5, 3, v11
	s_and_saveexec_b32 s0, vcc_lo
	s_cbranch_execz .LBB452_6
; %bb.5:
	v_mov_b32_e32 v3, 0
	s_delay_alu instid0(VALU_DEP_1)
	v_mov_b32_e32 v4, v3
	ds_store_b64 v5, v[3:4]
.LBB452_6:
	s_or_b32 exec_lo, exec_lo, s0
	v_mbcnt_lo_u32_b32 v10, -1, 0
	s_mov_b32 s1, exec_lo
	s_waitcnt lgkmcnt(0)
	s_barrier
	buffer_gl0_inv
	v_cmp_gt_u32_e64 s0, 16, v10
	s_delay_alu instid0(VALU_DEP_1) | instskip(SKIP_1) | instid1(VALU_DEP_2)
	v_cndmask_b32_e64 v3, 0, 1, s0
	v_cmp_gt_u32_e64 s0, 24, v10
	v_lshlrev_b32_e32 v3, 4, v3
	s_delay_alu instid0(VALU_DEP_1)
	v_add_lshl_u32 v6, v3, v10, 2
	ds_bpermute_b32 v3, v6, v1
	ds_bpermute_b32 v4, v6, v2
	s_waitcnt lgkmcnt(0)
	v_add_f64 v[1:2], v[1:2], v[3:4]
	v_cndmask_b32_e64 v3, 0, 1, s0
	v_cmp_gt_u32_e64 s0, 28, v10
	s_delay_alu instid0(VALU_DEP_2) | instskip(NEXT) | instid1(VALU_DEP_1)
	v_lshlrev_b32_e32 v3, 3, v3
	v_add_lshl_u32 v7, v3, v10, 2
	ds_bpermute_b32 v3, v7, v1
	ds_bpermute_b32 v4, v7, v2
	s_waitcnt lgkmcnt(0)
	v_add_f64 v[1:2], v[1:2], v[3:4]
	v_cndmask_b32_e64 v3, 0, 1, s0
	v_cmp_gt_u32_e64 s0, 30, v10
	s_delay_alu instid0(VALU_DEP_2) | instskip(NEXT) | instid1(VALU_DEP_1)
	v_lshlrev_b32_e32 v3, 2, v3
	v_add_lshl_u32 v8, v3, v10, 2
	ds_bpermute_b32 v3, v8, v1
	ds_bpermute_b32 v4, v8, v2
	s_waitcnt lgkmcnt(0)
	v_add_f64 v[1:2], v[1:2], v[3:4]
	v_cndmask_b32_e64 v3, 0, 1, s0
	v_cmp_ne_u32_e64 s0, 31, v10
	s_delay_alu instid0(VALU_DEP_2) | instskip(NEXT) | instid1(VALU_DEP_1)
	v_lshlrev_b32_e32 v3, 1, v3
	v_add_lshl_u32 v9, v3, v10, 2
	ds_bpermute_b32 v3, v9, v1
	ds_bpermute_b32 v4, v9, v2
	s_waitcnt lgkmcnt(0)
	v_add_f64 v[1:2], v[1:2], v[3:4]
	v_add_co_ci_u32_e64 v3, s0, 0, v10, s0
	s_delay_alu instid0(VALU_DEP_1)
	v_lshlrev_b32_e32 v10, 2, v3
	ds_bpermute_b32 v3, v10, v1
	ds_bpermute_b32 v4, v10, v2
	v_cmpx_eq_u32_e32 0, v11
	s_cbranch_execz .LBB452_8
; %bb.7:
	s_waitcnt lgkmcnt(0)
	v_add_f64 v[1:2], v[1:2], v[3:4]
	v_lshrrev_b32_e32 v3, 2, v0
	s_delay_alu instid0(VALU_DEP_1)
	v_and_b32_e32 v3, 0xf8, v3
	ds_store_b64 v3, v[1:2]
.LBB452_8:
	s_or_b32 exec_lo, exec_lo, s1
	v_mov_b32_e32 v1, 0
	v_mov_b32_e32 v2, 0
	s_waitcnt lgkmcnt(0)
	s_barrier
	buffer_gl0_inv
	s_and_saveexec_b32 s0, vcc_lo
	s_cbranch_execz .LBB452_10
; %bb.9:
	ds_load_b64 v[1:2], v5
.LBB452_10:
	s_or_b32 exec_lo, exec_lo, s0
	s_and_saveexec_b32 s0, vcc_lo
	s_cbranch_execz .LBB452_12
; %bb.11:
	s_waitcnt lgkmcnt(0)
	ds_bpermute_b32 v3, v6, v1
	ds_bpermute_b32 v4, v6, v2
	s_waitcnt lgkmcnt(0)
	v_add_f64 v[1:2], v[1:2], v[3:4]
	ds_bpermute_b32 v3, v7, v1
	ds_bpermute_b32 v4, v7, v2
	s_waitcnt lgkmcnt(0)
	v_add_f64 v[1:2], v[1:2], v[3:4]
	;; [unrolled: 4-line block ×5, first 2 shown]
.LBB452_12:
	s_or_b32 exec_lo, exec_lo, s0
	s_delay_alu instid0(SALU_CYCLE_1)
	s_mov_b32 s0, exec_lo
	v_cmpx_eq_u32_e32 0, v0
	s_cbranch_execz .LBB452_14
; %bb.13:
	s_lshl_b64 s[0:1], s[8:9], 3
	v_mov_b32_e32 v0, 0
	s_add_u32 s0, s2, s0
	s_addc_u32 s1, s3, s1
	s_waitcnt lgkmcnt(0)
	global_store_b64 v0, v[1:2], s[0:1]
.LBB452_14:
	s_nop 0
	s_sendmsg sendmsg(MSG_DEALLOC_VGPRS)
	s_endpgm
	.section	.rodata,"a",@progbits
	.p2align	6, 0x0
	.amdhsa_kernel _ZL24rocblas_dot_kernel_magsqIlLb1ELi1024ELi32ELb0EdPKPKfdEviT5_lT_liPT6_PT4_
		.amdhsa_group_segment_fixed_size 256
		.amdhsa_private_segment_fixed_size 0
		.amdhsa_kernarg_size 320
		.amdhsa_user_sgpr_count 14
		.amdhsa_user_sgpr_dispatch_ptr 0
		.amdhsa_user_sgpr_queue_ptr 0
		.amdhsa_user_sgpr_kernarg_segment_ptr 1
		.amdhsa_user_sgpr_dispatch_id 0
		.amdhsa_user_sgpr_private_segment_size 0
		.amdhsa_wavefront_size32 1
		.amdhsa_uses_dynamic_stack 0
		.amdhsa_enable_private_segment 0
		.amdhsa_system_sgpr_workgroup_id_x 1
		.amdhsa_system_sgpr_workgroup_id_y 0
		.amdhsa_system_sgpr_workgroup_id_z 1
		.amdhsa_system_sgpr_workgroup_info 0
		.amdhsa_system_vgpr_workitem_id 0
		.amdhsa_next_free_vgpr 12
		.amdhsa_next_free_sgpr 17
		.amdhsa_reserve_vcc 1
		.amdhsa_float_round_mode_32 0
		.amdhsa_float_round_mode_16_64 0
		.amdhsa_float_denorm_mode_32 3
		.amdhsa_float_denorm_mode_16_64 3
		.amdhsa_dx10_clamp 1
		.amdhsa_ieee_mode 1
		.amdhsa_fp16_overflow 0
		.amdhsa_workgroup_processor_mode 1
		.amdhsa_memory_ordered 1
		.amdhsa_forward_progress 0
		.amdhsa_shared_vgpr_count 0
		.amdhsa_exception_fp_ieee_invalid_op 0
		.amdhsa_exception_fp_denorm_src 0
		.amdhsa_exception_fp_ieee_div_zero 0
		.amdhsa_exception_fp_ieee_overflow 0
		.amdhsa_exception_fp_ieee_underflow 0
		.amdhsa_exception_fp_ieee_inexact 0
		.amdhsa_exception_int_div_zero 0
	.end_amdhsa_kernel
	.section	.text._ZL24rocblas_dot_kernel_magsqIlLb1ELi1024ELi32ELb0EdPKPKfdEviT5_lT_liPT6_PT4_,"axG",@progbits,_ZL24rocblas_dot_kernel_magsqIlLb1ELi1024ELi32ELb0EdPKPKfdEviT5_lT_liPT6_PT4_,comdat
.Lfunc_end452:
	.size	_ZL24rocblas_dot_kernel_magsqIlLb1ELi1024ELi32ELb0EdPKPKfdEviT5_lT_liPT6_PT4_, .Lfunc_end452-_ZL24rocblas_dot_kernel_magsqIlLb1ELi1024ELi32ELb0EdPKPKfdEviT5_lT_liPT6_PT4_
                                        ; -- End function
	.section	.AMDGPU.csdata,"",@progbits
; Kernel info:
; codeLenInByte = 992
; NumSgprs: 19
; NumVgprs: 12
; ScratchSize: 0
; MemoryBound: 0
; FloatMode: 240
; IeeeMode: 1
; LDSByteSize: 256 bytes/workgroup (compile time only)
; SGPRBlocks: 2
; VGPRBlocks: 1
; NumSGPRsForWavesPerEU: 19
; NumVGPRsForWavesPerEU: 12
; Occupancy: 16
; WaveLimiterHint : 0
; COMPUTE_PGM_RSRC2:SCRATCH_EN: 0
; COMPUTE_PGM_RSRC2:USER_SGPR: 14
; COMPUTE_PGM_RSRC2:TRAP_HANDLER: 0
; COMPUTE_PGM_RSRC2:TGID_X_EN: 1
; COMPUTE_PGM_RSRC2:TGID_Y_EN: 0
; COMPUTE_PGM_RSRC2:TGID_Z_EN: 1
; COMPUTE_PGM_RSRC2:TIDIG_COMP_CNT: 0
	.section	.text._ZL38rocblas_dot_kernel_gfx942_float_doubleIlLi1024EdPKPKfdEviT2_lT_lS4_lS5_lPT3_PT1_,"axG",@progbits,_ZL38rocblas_dot_kernel_gfx942_float_doubleIlLi1024EdPKPKfdEviT2_lT_lS4_lS5_lPT3_PT1_,comdat
	.globl	_ZL38rocblas_dot_kernel_gfx942_float_doubleIlLi1024EdPKPKfdEviT2_lT_lS4_lS5_lPT3_PT1_ ; -- Begin function _ZL38rocblas_dot_kernel_gfx942_float_doubleIlLi1024EdPKPKfdEviT2_lT_lS4_lS5_lPT3_PT1_
	.p2align	8
	.type	_ZL38rocblas_dot_kernel_gfx942_float_doubleIlLi1024EdPKPKfdEviT2_lT_lS4_lS5_lPT3_PT1_,@function
_ZL38rocblas_dot_kernel_gfx942_float_doubleIlLi1024EdPKPKfdEviT2_lT_lS4_lS5_lPT3_PT1_: ; @_ZL38rocblas_dot_kernel_gfx942_float_doubleIlLi1024EdPKPKfdEviT2_lT_lS4_lS5_lPT3_PT1_
; %bb.0:
	s_endpgm
	.section	.rodata,"a",@progbits
	.p2align	6, 0x0
	.amdhsa_kernel _ZL38rocblas_dot_kernel_gfx942_float_doubleIlLi1024EdPKPKfdEviT2_lT_lS4_lS5_lPT3_PT1_
		.amdhsa_group_segment_fixed_size 0
		.amdhsa_private_segment_fixed_size 0
		.amdhsa_kernarg_size 88
		.amdhsa_user_sgpr_count 15
		.amdhsa_user_sgpr_dispatch_ptr 0
		.amdhsa_user_sgpr_queue_ptr 0
		.amdhsa_user_sgpr_kernarg_segment_ptr 1
		.amdhsa_user_sgpr_dispatch_id 0
		.amdhsa_user_sgpr_private_segment_size 0
		.amdhsa_wavefront_size32 1
		.amdhsa_uses_dynamic_stack 0
		.amdhsa_enable_private_segment 0
		.amdhsa_system_sgpr_workgroup_id_x 1
		.amdhsa_system_sgpr_workgroup_id_y 0
		.amdhsa_system_sgpr_workgroup_id_z 0
		.amdhsa_system_sgpr_workgroup_info 0
		.amdhsa_system_vgpr_workitem_id 0
		.amdhsa_next_free_vgpr 1
		.amdhsa_next_free_sgpr 1
		.amdhsa_reserve_vcc 0
		.amdhsa_float_round_mode_32 0
		.amdhsa_float_round_mode_16_64 0
		.amdhsa_float_denorm_mode_32 3
		.amdhsa_float_denorm_mode_16_64 3
		.amdhsa_dx10_clamp 1
		.amdhsa_ieee_mode 1
		.amdhsa_fp16_overflow 0
		.amdhsa_workgroup_processor_mode 1
		.amdhsa_memory_ordered 1
		.amdhsa_forward_progress 0
		.amdhsa_shared_vgpr_count 0
		.amdhsa_exception_fp_ieee_invalid_op 0
		.amdhsa_exception_fp_denorm_src 0
		.amdhsa_exception_fp_ieee_div_zero 0
		.amdhsa_exception_fp_ieee_overflow 0
		.amdhsa_exception_fp_ieee_underflow 0
		.amdhsa_exception_fp_ieee_inexact 0
		.amdhsa_exception_int_div_zero 0
	.end_amdhsa_kernel
	.section	.text._ZL38rocblas_dot_kernel_gfx942_float_doubleIlLi1024EdPKPKfdEviT2_lT_lS4_lS5_lPT3_PT1_,"axG",@progbits,_ZL38rocblas_dot_kernel_gfx942_float_doubleIlLi1024EdPKPKfdEviT2_lT_lS4_lS5_lPT3_PT1_,comdat
.Lfunc_end453:
	.size	_ZL38rocblas_dot_kernel_gfx942_float_doubleIlLi1024EdPKPKfdEviT2_lT_lS4_lS5_lPT3_PT1_, .Lfunc_end453-_ZL38rocblas_dot_kernel_gfx942_float_doubleIlLi1024EdPKPKfdEviT2_lT_lS4_lS5_lPT3_PT1_
                                        ; -- End function
	.section	.AMDGPU.csdata,"",@progbits
; Kernel info:
; codeLenInByte = 4
; NumSgprs: 0
; NumVgprs: 0
; ScratchSize: 0
; MemoryBound: 0
; FloatMode: 240
; IeeeMode: 1
; LDSByteSize: 0 bytes/workgroup (compile time only)
; SGPRBlocks: 0
; VGPRBlocks: 0
; NumSGPRsForWavesPerEU: 1
; NumVGPRsForWavesPerEU: 1
; Occupancy: 16
; WaveLimiterHint : 0
; COMPUTE_PGM_RSRC2:SCRATCH_EN: 0
; COMPUTE_PGM_RSRC2:USER_SGPR: 15
; COMPUTE_PGM_RSRC2:TRAP_HANDLER: 0
; COMPUTE_PGM_RSRC2:TGID_X_EN: 1
; COMPUTE_PGM_RSRC2:TGID_Y_EN: 0
; COMPUTE_PGM_RSRC2:TGID_Z_EN: 0
; COMPUTE_PGM_RSRC2:TIDIG_COMP_CNT: 0
	.section	.text._ZL18rocblas_dot_kernelIlLb0ELi512ELi2ELb0EdPKPKfdEviT5_lT_lS4_lS5_liPT6_PT4_,"axG",@progbits,_ZL18rocblas_dot_kernelIlLb0ELi512ELi2ELb0EdPKPKfdEviT5_lT_lS4_lS5_liPT6_PT4_,comdat
	.globl	_ZL18rocblas_dot_kernelIlLb0ELi512ELi2ELb0EdPKPKfdEviT5_lT_lS4_lS5_liPT6_PT4_ ; -- Begin function _ZL18rocblas_dot_kernelIlLb0ELi512ELi2ELb0EdPKPKfdEviT5_lT_lS4_lS5_liPT6_PT4_
	.p2align	8
	.type	_ZL18rocblas_dot_kernelIlLb0ELi512ELi2ELb0EdPKPKfdEviT5_lT_lS4_lS5_liPT6_PT4_,@function
_ZL18rocblas_dot_kernelIlLb0ELi512ELi2ELb0EdPKPKfdEviT5_lT_lS4_lS5_liPT6_PT4_: ; @_ZL18rocblas_dot_kernelIlLb0ELi512ELi2ELb0EdPKPKfdEviT5_lT_lS4_lS5_liPT6_PT4_
; %bb.0:
	s_mov_b32 s12, s15
	s_clause 0x1
	s_load_b32 s15, s[0:1], 0x0
	s_load_b32 s3, s[0:1], 0x60
	v_mov_b32_e32 v1, 0
	v_lshl_or_b32 v3, s14, 9, v0
	v_mov_b32_e32 v2, 0
	s_mov_b32 s13, 0
	s_mov_b32 s2, exec_lo
	s_waitcnt lgkmcnt(0)
	v_cmpx_gt_i32_e64 s15, v3
	s_cbranch_execz .LBB454_4
; %bb.1:
	s_clause 0x1
	s_load_b64 s[8:9], s[0:1], 0x8
	s_load_b128 s[4:7], s[0:1], 0x10
	s_lshl_b64 s[16:17], s[12:13], 3
	v_ashrrev_i32_e32 v4, 31, v3
	s_waitcnt lgkmcnt(0)
	s_add_u32 s18, s8, s16
	s_addc_u32 s19, s9, s17
	s_load_b128 s[8:11], s[0:1], 0x30
	s_load_b64 s[18:19], s[18:19], 0x0
	s_load_b64 s[20:21], s[0:1], 0x28
	s_lshl_b64 s[4:5], s[4:5], 2
	v_mul_lo_u32 v8, v3, s7
	v_mul_lo_u32 v9, v4, s6
	s_waitcnt lgkmcnt(0)
	v_mul_lo_u32 v6, v3, s11
	s_add_u32 s4, s18, s4
	s_addc_u32 s5, s19, s5
	s_add_u32 s16, s20, s16
	s_addc_u32 s17, s21, s17
	v_mul_lo_u32 v7, v4, s10
	s_load_b64 s[16:17], s[16:17], 0x0
	v_mad_u64_u32 v[1:2], null, v3, s10, 0
	v_mad_u64_u32 v[4:5], null, v3, s6, 0
	s_lshl_b64 s[8:9], s[8:9], 2
	s_delay_alu instid0(VALU_DEP_2) | instskip(NEXT) | instid1(VALU_DEP_2)
	v_add3_u32 v2, v2, v6, v7
	v_add3_u32 v5, v5, v8, v9
	s_delay_alu instid0(VALU_DEP_2) | instskip(NEXT) | instid1(VALU_DEP_2)
	v_lshlrev_b64 v[1:2], 2, v[1:2]
	v_lshlrev_b64 v[3:4], 2, v[4:5]
	s_waitcnt lgkmcnt(0)
	s_add_u32 s8, s16, s8
	s_addc_u32 s9, s17, s9
	s_delay_alu instid0(VALU_DEP_2)
	v_add_co_u32 v1, vcc_lo, s8, v1
	v_add_co_ci_u32_e32 v2, vcc_lo, s9, v2, vcc_lo
	v_add_co_u32 v3, vcc_lo, s4, v3
	v_add_co_ci_u32_e32 v4, vcc_lo, s5, v4, vcc_lo
	s_add_i32 s16, s14, s3
	global_load_b32 v1, v[1:2], off
	global_load_b32 v3, v[3:4], off
	s_waitcnt vmcnt(1)
	v_cvt_f64_f32_e32 v[1:2], v1
	s_waitcnt vmcnt(0)
	v_cvt_f64_f32_e32 v[3:4], v3
	s_delay_alu instid0(VALU_DEP_1) | instskip(SKIP_1) | instid1(VALU_DEP_1)
	v_fma_f64 v[1:2], v[1:2], v[3:4], 0
	v_lshl_or_b32 v3, s16, 9, v0
	v_cmp_gt_i32_e32 vcc_lo, s15, v3
	s_and_saveexec_b32 s15, vcc_lo
	s_cbranch_execz .LBB454_3
; %bb.2:
	v_ashrrev_i32_e32 v8, 31, v3
	v_mul_lo_u32 v9, v3, s11
	v_mad_u64_u32 v[4:5], null, v3, s10, 0
	v_mul_lo_u32 v11, v3, s7
	s_delay_alu instid0(VALU_DEP_4) | instskip(SKIP_2) | instid1(VALU_DEP_3)
	v_mul_lo_u32 v10, v8, s10
	v_mad_u64_u32 v[6:7], null, v3, s6, 0
	v_mul_lo_u32 v3, v8, s6
	v_add3_u32 v5, v5, v9, v10
	s_delay_alu instid0(VALU_DEP_2) | instskip(NEXT) | instid1(VALU_DEP_2)
	v_add3_u32 v7, v7, v11, v3
	v_lshlrev_b64 v[3:4], 2, v[4:5]
	s_delay_alu instid0(VALU_DEP_2) | instskip(NEXT) | instid1(VALU_DEP_2)
	v_lshlrev_b64 v[5:6], 2, v[6:7]
	v_add_co_u32 v3, vcc_lo, s8, v3
	s_delay_alu instid0(VALU_DEP_3) | instskip(NEXT) | instid1(VALU_DEP_3)
	v_add_co_ci_u32_e32 v4, vcc_lo, s9, v4, vcc_lo
	v_add_co_u32 v5, vcc_lo, s4, v5
	s_delay_alu instid0(VALU_DEP_4)
	v_add_co_ci_u32_e32 v6, vcc_lo, s5, v6, vcc_lo
	global_load_b32 v3, v[3:4], off
	global_load_b32 v5, v[5:6], off
	s_waitcnt vmcnt(1)
	v_cvt_f64_f32_e32 v[3:4], v3
	s_waitcnt vmcnt(0)
	v_cvt_f64_f32_e32 v[5:6], v5
	s_delay_alu instid0(VALU_DEP_1)
	v_fma_f64 v[1:2], v[3:4], v[5:6], v[1:2]
.LBB454_3:
	s_or_b32 exec_lo, exec_lo, s15
.LBB454_4:
	s_delay_alu instid0(SALU_CYCLE_1) | instskip(SKIP_2) | instid1(VALU_DEP_2)
	s_or_b32 exec_lo, exec_lo, s2
	v_and_b32_e32 v10, 31, v0
	v_cmp_gt_u32_e32 vcc_lo, 32, v0
	v_lshlrev_b32_e32 v5, 3, v10
	s_and_saveexec_b32 s2, vcc_lo
	s_cbranch_execz .LBB454_6
; %bb.5:
	v_mov_b32_e32 v3, 0
	s_delay_alu instid0(VALU_DEP_1)
	v_mov_b32_e32 v4, v3
	ds_store_b64 v5, v[3:4]
.LBB454_6:
	s_or_b32 exec_lo, exec_lo, s2
	v_mbcnt_lo_u32_b32 v9, -1, 0
	s_mov_b32 s4, exec_lo
	s_waitcnt lgkmcnt(0)
	s_barrier
	buffer_gl0_inv
	v_cmp_gt_u32_e64 s2, 16, v9
	s_delay_alu instid0(VALU_DEP_1) | instskip(SKIP_1) | instid1(VALU_DEP_2)
	v_cndmask_b32_e64 v3, 0, 1, s2
	v_cmp_gt_u32_e64 s2, 24, v9
	v_lshlrev_b32_e32 v3, 4, v3
	s_delay_alu instid0(VALU_DEP_1)
	v_add_lshl_u32 v4, v3, v9, 2
	ds_bpermute_b32 v3, v4, v1
	ds_bpermute_b32 v4, v4, v2
	s_waitcnt lgkmcnt(0)
	v_add_f64 v[1:2], v[1:2], v[3:4]
	v_cndmask_b32_e64 v3, 0, 1, s2
	v_cmp_gt_u32_e64 s2, 28, v9
	s_delay_alu instid0(VALU_DEP_2) | instskip(NEXT) | instid1(VALU_DEP_1)
	v_lshlrev_b32_e32 v3, 3, v3
	v_add_lshl_u32 v6, v3, v9, 2
	ds_bpermute_b32 v3, v6, v1
	ds_bpermute_b32 v4, v6, v2
	s_waitcnt lgkmcnt(0)
	v_add_f64 v[1:2], v[1:2], v[3:4]
	v_cndmask_b32_e64 v3, 0, 1, s2
	v_cmp_gt_u32_e64 s2, 30, v9
	s_delay_alu instid0(VALU_DEP_2) | instskip(NEXT) | instid1(VALU_DEP_1)
	v_lshlrev_b32_e32 v3, 2, v3
	v_add_lshl_u32 v7, v3, v9, 2
	ds_bpermute_b32 v3, v7, v1
	ds_bpermute_b32 v4, v7, v2
	s_waitcnt lgkmcnt(0)
	v_add_f64 v[1:2], v[1:2], v[3:4]
	v_cndmask_b32_e64 v3, 0, 1, s2
	v_cmp_ne_u32_e64 s2, 31, v9
	s_delay_alu instid0(VALU_DEP_2) | instskip(NEXT) | instid1(VALU_DEP_1)
	v_lshlrev_b32_e32 v3, 1, v3
	v_add_lshl_u32 v8, v3, v9, 2
	ds_bpermute_b32 v3, v8, v1
	ds_bpermute_b32 v4, v8, v2
	s_waitcnt lgkmcnt(0)
	v_add_f64 v[1:2], v[1:2], v[3:4]
	v_add_co_ci_u32_e64 v3, s2, 0, v9, s2
	s_delay_alu instid0(VALU_DEP_1)
	v_lshlrev_b32_e32 v9, 2, v3
	ds_bpermute_b32 v3, v9, v1
	ds_bpermute_b32 v4, v9, v2
	v_cmpx_eq_u32_e32 0, v10
	s_cbranch_execz .LBB454_8
; %bb.7:
	s_waitcnt lgkmcnt(0)
	v_add_f64 v[1:2], v[1:2], v[3:4]
	v_lshrrev_b32_e32 v3, 2, v0
	s_delay_alu instid0(VALU_DEP_1)
	v_and_b32_e32 v3, 0x78, v3
	ds_store_b64 v3, v[1:2]
.LBB454_8:
	s_or_b32 exec_lo, exec_lo, s4
	v_mov_b32_e32 v1, 0
	v_mov_b32_e32 v2, 0
	s_mov_b32 s4, exec_lo
	s_waitcnt lgkmcnt(0)
	s_barrier
	buffer_gl0_inv
	v_cmpx_gt_u32_e32 16, v0
	s_cbranch_execz .LBB454_10
; %bb.9:
	ds_load_b64 v[1:2], v5
.LBB454_10:
	s_or_b32 exec_lo, exec_lo, s4
	s_and_saveexec_b32 s2, vcc_lo
	s_cbranch_execz .LBB454_12
; %bb.11:
	s_waitcnt lgkmcnt(0)
	ds_bpermute_b32 v3, v6, v1
	ds_bpermute_b32 v4, v6, v2
	s_waitcnt lgkmcnt(0)
	v_add_f64 v[1:2], v[1:2], v[3:4]
	ds_bpermute_b32 v3, v7, v1
	ds_bpermute_b32 v4, v7, v2
	s_waitcnt lgkmcnt(0)
	v_add_f64 v[1:2], v[1:2], v[3:4]
	;; [unrolled: 4-line block ×4, first 2 shown]
.LBB454_12:
	s_or_b32 exec_lo, exec_lo, s2
	s_delay_alu instid0(SALU_CYCLE_1)
	s_mov_b32 s2, exec_lo
	v_cmpx_eq_u32_e32 0, v0
	s_cbranch_execz .LBB454_18
; %bb.13:
	s_cmp_lg_u32 s3, 1
	s_cbranch_scc0 .LBB454_15
; %bb.14:
	s_load_b64 s[4:5], s[0:1], 0x50
	s_mul_hi_u32 s7, s3, s12
	s_mul_i32 s6, s3, s12
	s_mov_b32 s15, 0
	s_lshl_b64 s[2:3], s[6:7], 3
	s_waitcnt lgkmcnt(0)
	s_add_u32 s4, s4, s2
	s_addc_u32 s5, s5, s3
	s_lshl_b64 s[2:3], s[14:15], 3
	s_delay_alu instid0(SALU_CYCLE_1)
	s_add_u32 s2, s4, s2
	s_addc_u32 s3, s5, s3
	s_cbranch_execz .LBB454_16
	s_branch .LBB454_17
.LBB454_15:
                                        ; implicit-def: $sgpr2_sgpr3
.LBB454_16:
	s_load_b64 s[0:1], s[0:1], 0x58
	s_lshl_b64 s[2:3], s[12:13], 3
	s_waitcnt lgkmcnt(0)
	s_add_u32 s2, s0, s2
	s_addc_u32 s3, s1, s3
.LBB454_17:
	v_mov_b32_e32 v0, 0
	s_waitcnt lgkmcnt(0)
	global_store_b64 v0, v[1:2], s[2:3]
.LBB454_18:
	s_nop 0
	s_sendmsg sendmsg(MSG_DEALLOC_VGPRS)
	s_endpgm
	.section	.rodata,"a",@progbits
	.p2align	6, 0x0
	.amdhsa_kernel _ZL18rocblas_dot_kernelIlLb0ELi512ELi2ELb0EdPKPKfdEviT5_lT_lS4_lS5_liPT6_PT4_
		.amdhsa_group_segment_fixed_size 256
		.amdhsa_private_segment_fixed_size 0
		.amdhsa_kernarg_size 352
		.amdhsa_user_sgpr_count 14
		.amdhsa_user_sgpr_dispatch_ptr 0
		.amdhsa_user_sgpr_queue_ptr 0
		.amdhsa_user_sgpr_kernarg_segment_ptr 1
		.amdhsa_user_sgpr_dispatch_id 0
		.amdhsa_user_sgpr_private_segment_size 0
		.amdhsa_wavefront_size32 1
		.amdhsa_uses_dynamic_stack 0
		.amdhsa_enable_private_segment 0
		.amdhsa_system_sgpr_workgroup_id_x 1
		.amdhsa_system_sgpr_workgroup_id_y 0
		.amdhsa_system_sgpr_workgroup_id_z 1
		.amdhsa_system_sgpr_workgroup_info 0
		.amdhsa_system_vgpr_workitem_id 0
		.amdhsa_next_free_vgpr 12
		.amdhsa_next_free_sgpr 22
		.amdhsa_reserve_vcc 1
		.amdhsa_float_round_mode_32 0
		.amdhsa_float_round_mode_16_64 0
		.amdhsa_float_denorm_mode_32 3
		.amdhsa_float_denorm_mode_16_64 3
		.amdhsa_dx10_clamp 1
		.amdhsa_ieee_mode 1
		.amdhsa_fp16_overflow 0
		.amdhsa_workgroup_processor_mode 1
		.amdhsa_memory_ordered 1
		.amdhsa_forward_progress 0
		.amdhsa_shared_vgpr_count 0
		.amdhsa_exception_fp_ieee_invalid_op 0
		.amdhsa_exception_fp_denorm_src 0
		.amdhsa_exception_fp_ieee_div_zero 0
		.amdhsa_exception_fp_ieee_overflow 0
		.amdhsa_exception_fp_ieee_underflow 0
		.amdhsa_exception_fp_ieee_inexact 0
		.amdhsa_exception_int_div_zero 0
	.end_amdhsa_kernel
	.section	.text._ZL18rocblas_dot_kernelIlLb0ELi512ELi2ELb0EdPKPKfdEviT5_lT_lS4_lS5_liPT6_PT4_,"axG",@progbits,_ZL18rocblas_dot_kernelIlLb0ELi512ELi2ELb0EdPKPKfdEviT5_lT_lS4_lS5_liPT6_PT4_,comdat
.Lfunc_end454:
	.size	_ZL18rocblas_dot_kernelIlLb0ELi512ELi2ELb0EdPKPKfdEviT5_lT_lS4_lS5_liPT6_PT4_, .Lfunc_end454-_ZL18rocblas_dot_kernelIlLb0ELi512ELi2ELb0EdPKPKfdEviT5_lT_lS4_lS5_liPT6_PT4_
                                        ; -- End function
	.section	.AMDGPU.csdata,"",@progbits
; Kernel info:
; codeLenInByte = 1260
; NumSgprs: 24
; NumVgprs: 12
; ScratchSize: 0
; MemoryBound: 0
; FloatMode: 240
; IeeeMode: 1
; LDSByteSize: 256 bytes/workgroup (compile time only)
; SGPRBlocks: 2
; VGPRBlocks: 1
; NumSGPRsForWavesPerEU: 24
; NumVGPRsForWavesPerEU: 12
; Occupancy: 16
; WaveLimiterHint : 1
; COMPUTE_PGM_RSRC2:SCRATCH_EN: 0
; COMPUTE_PGM_RSRC2:USER_SGPR: 14
; COMPUTE_PGM_RSRC2:TRAP_HANDLER: 0
; COMPUTE_PGM_RSRC2:TGID_X_EN: 1
; COMPUTE_PGM_RSRC2:TGID_Y_EN: 0
; COMPUTE_PGM_RSRC2:TGID_Z_EN: 1
; COMPUTE_PGM_RSRC2:TIDIG_COMP_CNT: 0
	.section	.text._ZL24rocblas_dot_kernel_magsqIlLb0ELi512ELi2ELb0EdPKPKfdEviT5_lT_liPT6_PT4_,"axG",@progbits,_ZL24rocblas_dot_kernel_magsqIlLb0ELi512ELi2ELb0EdPKPKfdEviT5_lT_liPT6_PT4_,comdat
	.globl	_ZL24rocblas_dot_kernel_magsqIlLb0ELi512ELi2ELb0EdPKPKfdEviT5_lT_liPT6_PT4_ ; -- Begin function _ZL24rocblas_dot_kernel_magsqIlLb0ELi512ELi2ELb0EdPKPKfdEviT5_lT_liPT6_PT4_
	.p2align	8
	.type	_ZL24rocblas_dot_kernel_magsqIlLb0ELi512ELi2ELb0EdPKPKfdEviT5_lT_liPT6_PT4_,@function
_ZL24rocblas_dot_kernel_magsqIlLb0ELi512ELi2ELb0EdPKPKfdEviT5_lT_liPT6_PT4_: ; @_ZL24rocblas_dot_kernel_magsqIlLb0ELi512ELi2ELb0EdPKPKfdEviT5_lT_liPT6_PT4_
; %bb.0:
	s_clause 0x1
	s_load_b32 s10, s[0:1], 0x0
	s_load_b32 s3, s[0:1], 0x40
	v_mov_b32_e32 v1, 0
	v_lshl_or_b32 v3, s14, 9, v0
	v_mov_b32_e32 v2, 0
	s_mov_b32 s8, s15
	s_mov_b32 s9, 0
	s_mov_b32 s2, exec_lo
	s_waitcnt lgkmcnt(0)
	v_cmpx_gt_i32_e64 s10, v3
	s_cbranch_execz .LBB455_4
; %bb.1:
	s_clause 0x1
	s_load_b64 s[12:13], s[0:1], 0x8
	s_load_b128 s[4:7], s[0:1], 0x10
	s_lshl_b64 s[16:17], s[8:9], 3
	v_ashrrev_i32_e32 v1, 31, v3
	s_waitcnt lgkmcnt(0)
	s_add_u32 s12, s12, s16
	s_addc_u32 s13, s13, s17
	v_mul_lo_u32 v4, v3, s7
	s_load_b64 s[12:13], s[12:13], 0x0
	v_mul_lo_u32 v5, v1, s6
	v_mad_u64_u32 v[1:2], null, v3, s6, 0
	s_lshl_b64 s[4:5], s[4:5], 2
	s_delay_alu instid0(VALU_DEP_1) | instskip(NEXT) | instid1(VALU_DEP_1)
	v_add3_u32 v2, v2, v4, v5
	v_lshlrev_b64 v[1:2], 2, v[1:2]
	s_waitcnt lgkmcnt(0)
	s_add_u32 s4, s12, s4
	s_addc_u32 s5, s13, s5
	s_delay_alu instid0(VALU_DEP_1) | instskip(NEXT) | instid1(VALU_DEP_2)
	v_add_co_u32 v1, vcc_lo, s4, v1
	v_add_co_ci_u32_e32 v2, vcc_lo, s5, v2, vcc_lo
	s_add_i32 s11, s14, s3
	s_delay_alu instid0(SALU_CYCLE_1) | instskip(SKIP_4) | instid1(VALU_DEP_1)
	v_lshl_or_b32 v3, s11, 9, v0
	global_load_b32 v1, v[1:2], off
	v_cmp_gt_i32_e32 vcc_lo, s10, v3
	s_waitcnt vmcnt(0)
	v_cvt_f64_f32_e32 v[1:2], v1
	v_mul_f64 v[1:2], v[1:2], v[1:2]
	s_and_saveexec_b32 s10, vcc_lo
	s_cbranch_execz .LBB455_3
; %bb.2:
	v_ashrrev_i32_e32 v6, 31, v3
	v_mul_lo_u32 v7, v3, s7
	v_mad_u64_u32 v[4:5], null, v3, s6, 0
	s_delay_alu instid0(VALU_DEP_3) | instskip(NEXT) | instid1(VALU_DEP_1)
	v_mul_lo_u32 v3, v6, s6
	v_add3_u32 v5, v5, v7, v3
	s_delay_alu instid0(VALU_DEP_1) | instskip(NEXT) | instid1(VALU_DEP_1)
	v_lshlrev_b64 v[3:4], 2, v[4:5]
	v_add_co_u32 v3, vcc_lo, s4, v3
	s_delay_alu instid0(VALU_DEP_2) | instskip(SKIP_3) | instid1(VALU_DEP_1)
	v_add_co_ci_u32_e32 v4, vcc_lo, s5, v4, vcc_lo
	global_load_b32 v3, v[3:4], off
	s_waitcnt vmcnt(0)
	v_cvt_f64_f32_e32 v[3:4], v3
	v_fma_f64 v[1:2], v[3:4], v[3:4], v[1:2]
.LBB455_3:
	s_or_b32 exec_lo, exec_lo, s10
.LBB455_4:
	s_delay_alu instid0(SALU_CYCLE_1) | instskip(SKIP_2) | instid1(VALU_DEP_2)
	s_or_b32 exec_lo, exec_lo, s2
	v_and_b32_e32 v10, 31, v0
	v_cmp_gt_u32_e32 vcc_lo, 32, v0
	v_lshlrev_b32_e32 v5, 3, v10
	s_and_saveexec_b32 s2, vcc_lo
	s_cbranch_execz .LBB455_6
; %bb.5:
	v_mov_b32_e32 v3, 0
	s_delay_alu instid0(VALU_DEP_1)
	v_mov_b32_e32 v4, v3
	ds_store_b64 v5, v[3:4]
.LBB455_6:
	s_or_b32 exec_lo, exec_lo, s2
	v_mbcnt_lo_u32_b32 v9, -1, 0
	s_mov_b32 s4, exec_lo
	s_waitcnt lgkmcnt(0)
	s_barrier
	buffer_gl0_inv
	v_cmp_gt_u32_e64 s2, 16, v9
	s_delay_alu instid0(VALU_DEP_1) | instskip(SKIP_1) | instid1(VALU_DEP_2)
	v_cndmask_b32_e64 v3, 0, 1, s2
	v_cmp_gt_u32_e64 s2, 24, v9
	v_lshlrev_b32_e32 v3, 4, v3
	s_delay_alu instid0(VALU_DEP_1)
	v_add_lshl_u32 v4, v3, v9, 2
	ds_bpermute_b32 v3, v4, v1
	ds_bpermute_b32 v4, v4, v2
	s_waitcnt lgkmcnt(0)
	v_add_f64 v[1:2], v[1:2], v[3:4]
	v_cndmask_b32_e64 v3, 0, 1, s2
	v_cmp_gt_u32_e64 s2, 28, v9
	s_delay_alu instid0(VALU_DEP_2) | instskip(NEXT) | instid1(VALU_DEP_1)
	v_lshlrev_b32_e32 v3, 3, v3
	v_add_lshl_u32 v6, v3, v9, 2
	ds_bpermute_b32 v3, v6, v1
	ds_bpermute_b32 v4, v6, v2
	s_waitcnt lgkmcnt(0)
	v_add_f64 v[1:2], v[1:2], v[3:4]
	v_cndmask_b32_e64 v3, 0, 1, s2
	v_cmp_gt_u32_e64 s2, 30, v9
	s_delay_alu instid0(VALU_DEP_2) | instskip(NEXT) | instid1(VALU_DEP_1)
	v_lshlrev_b32_e32 v3, 2, v3
	v_add_lshl_u32 v7, v3, v9, 2
	ds_bpermute_b32 v3, v7, v1
	ds_bpermute_b32 v4, v7, v2
	s_waitcnt lgkmcnt(0)
	v_add_f64 v[1:2], v[1:2], v[3:4]
	v_cndmask_b32_e64 v3, 0, 1, s2
	v_cmp_ne_u32_e64 s2, 31, v9
	s_delay_alu instid0(VALU_DEP_2) | instskip(NEXT) | instid1(VALU_DEP_1)
	v_lshlrev_b32_e32 v3, 1, v3
	v_add_lshl_u32 v8, v3, v9, 2
	ds_bpermute_b32 v3, v8, v1
	ds_bpermute_b32 v4, v8, v2
	s_waitcnt lgkmcnt(0)
	v_add_f64 v[1:2], v[1:2], v[3:4]
	v_add_co_ci_u32_e64 v3, s2, 0, v9, s2
	s_delay_alu instid0(VALU_DEP_1)
	v_lshlrev_b32_e32 v9, 2, v3
	ds_bpermute_b32 v3, v9, v1
	ds_bpermute_b32 v4, v9, v2
	v_cmpx_eq_u32_e32 0, v10
	s_cbranch_execz .LBB455_8
; %bb.7:
	s_waitcnt lgkmcnt(0)
	v_add_f64 v[1:2], v[1:2], v[3:4]
	v_lshrrev_b32_e32 v3, 2, v0
	s_delay_alu instid0(VALU_DEP_1)
	v_and_b32_e32 v3, 0x78, v3
	ds_store_b64 v3, v[1:2]
.LBB455_8:
	s_or_b32 exec_lo, exec_lo, s4
	v_mov_b32_e32 v1, 0
	v_mov_b32_e32 v2, 0
	s_mov_b32 s4, exec_lo
	s_waitcnt lgkmcnt(0)
	s_barrier
	buffer_gl0_inv
	v_cmpx_gt_u32_e32 16, v0
	s_cbranch_execz .LBB455_10
; %bb.9:
	ds_load_b64 v[1:2], v5
.LBB455_10:
	s_or_b32 exec_lo, exec_lo, s4
	s_and_saveexec_b32 s2, vcc_lo
	s_cbranch_execz .LBB455_12
; %bb.11:
	s_waitcnt lgkmcnt(0)
	ds_bpermute_b32 v3, v6, v1
	ds_bpermute_b32 v4, v6, v2
	s_waitcnt lgkmcnt(0)
	v_add_f64 v[1:2], v[1:2], v[3:4]
	ds_bpermute_b32 v3, v7, v1
	ds_bpermute_b32 v4, v7, v2
	s_waitcnt lgkmcnt(0)
	v_add_f64 v[1:2], v[1:2], v[3:4]
	;; [unrolled: 4-line block ×4, first 2 shown]
.LBB455_12:
	s_or_b32 exec_lo, exec_lo, s2
	s_delay_alu instid0(SALU_CYCLE_1)
	s_mov_b32 s2, exec_lo
	v_cmpx_eq_u32_e32 0, v0
	s_cbranch_execz .LBB455_18
; %bb.13:
	s_cmp_lg_u32 s3, 1
	s_cbranch_scc0 .LBB455_15
; %bb.14:
	s_load_b64 s[4:5], s[0:1], 0x30
	s_mul_hi_u32 s7, s3, s8
	s_mul_i32 s6, s3, s8
	s_mov_b32 s15, 0
	s_lshl_b64 s[2:3], s[6:7], 3
	s_waitcnt lgkmcnt(0)
	s_add_u32 s4, s4, s2
	s_addc_u32 s5, s5, s3
	s_lshl_b64 s[2:3], s[14:15], 3
	s_delay_alu instid0(SALU_CYCLE_1)
	s_add_u32 s2, s4, s2
	s_addc_u32 s3, s5, s3
	s_cbranch_execz .LBB455_16
	s_branch .LBB455_17
.LBB455_15:
                                        ; implicit-def: $sgpr2_sgpr3
.LBB455_16:
	s_load_b64 s[0:1], s[0:1], 0x38
	s_lshl_b64 s[2:3], s[8:9], 3
	s_waitcnt lgkmcnt(0)
	s_add_u32 s2, s0, s2
	s_addc_u32 s3, s1, s3
.LBB455_17:
	v_mov_b32_e32 v0, 0
	s_waitcnt lgkmcnt(0)
	global_store_b64 v0, v[1:2], s[2:3]
.LBB455_18:
	s_nop 0
	s_sendmsg sendmsg(MSG_DEALLOC_VGPRS)
	s_endpgm
	.section	.rodata,"a",@progbits
	.p2align	6, 0x0
	.amdhsa_kernel _ZL24rocblas_dot_kernel_magsqIlLb0ELi512ELi2ELb0EdPKPKfdEviT5_lT_liPT6_PT4_
		.amdhsa_group_segment_fixed_size 256
		.amdhsa_private_segment_fixed_size 0
		.amdhsa_kernarg_size 320
		.amdhsa_user_sgpr_count 14
		.amdhsa_user_sgpr_dispatch_ptr 0
		.amdhsa_user_sgpr_queue_ptr 0
		.amdhsa_user_sgpr_kernarg_segment_ptr 1
		.amdhsa_user_sgpr_dispatch_id 0
		.amdhsa_user_sgpr_private_segment_size 0
		.amdhsa_wavefront_size32 1
		.amdhsa_uses_dynamic_stack 0
		.amdhsa_enable_private_segment 0
		.amdhsa_system_sgpr_workgroup_id_x 1
		.amdhsa_system_sgpr_workgroup_id_y 0
		.amdhsa_system_sgpr_workgroup_id_z 1
		.amdhsa_system_sgpr_workgroup_info 0
		.amdhsa_system_vgpr_workitem_id 0
		.amdhsa_next_free_vgpr 11
		.amdhsa_next_free_sgpr 18
		.amdhsa_reserve_vcc 1
		.amdhsa_float_round_mode_32 0
		.amdhsa_float_round_mode_16_64 0
		.amdhsa_float_denorm_mode_32 3
		.amdhsa_float_denorm_mode_16_64 3
		.amdhsa_dx10_clamp 1
		.amdhsa_ieee_mode 1
		.amdhsa_fp16_overflow 0
		.amdhsa_workgroup_processor_mode 1
		.amdhsa_memory_ordered 1
		.amdhsa_forward_progress 0
		.amdhsa_shared_vgpr_count 0
		.amdhsa_exception_fp_ieee_invalid_op 0
		.amdhsa_exception_fp_denorm_src 0
		.amdhsa_exception_fp_ieee_div_zero 0
		.amdhsa_exception_fp_ieee_overflow 0
		.amdhsa_exception_fp_ieee_underflow 0
		.amdhsa_exception_fp_ieee_inexact 0
		.amdhsa_exception_int_div_zero 0
	.end_amdhsa_kernel
	.section	.text._ZL24rocblas_dot_kernel_magsqIlLb0ELi512ELi2ELb0EdPKPKfdEviT5_lT_liPT6_PT4_,"axG",@progbits,_ZL24rocblas_dot_kernel_magsqIlLb0ELi512ELi2ELb0EdPKPKfdEviT5_lT_liPT6_PT4_,comdat
.Lfunc_end455:
	.size	_ZL24rocblas_dot_kernel_magsqIlLb0ELi512ELi2ELb0EdPKPKfdEviT5_lT_liPT6_PT4_, .Lfunc_end455-_ZL24rocblas_dot_kernel_magsqIlLb0ELi512ELi2ELb0EdPKPKfdEviT5_lT_liPT6_PT4_
                                        ; -- End function
	.section	.AMDGPU.csdata,"",@progbits
; Kernel info:
; codeLenInByte = 1060
; NumSgprs: 20
; NumVgprs: 11
; ScratchSize: 0
; MemoryBound: 0
; FloatMode: 240
; IeeeMode: 1
; LDSByteSize: 256 bytes/workgroup (compile time only)
; SGPRBlocks: 2
; VGPRBlocks: 1
; NumSGPRsForWavesPerEU: 20
; NumVGPRsForWavesPerEU: 11
; Occupancy: 16
; WaveLimiterHint : 1
; COMPUTE_PGM_RSRC2:SCRATCH_EN: 0
; COMPUTE_PGM_RSRC2:USER_SGPR: 14
; COMPUTE_PGM_RSRC2:TRAP_HANDLER: 0
; COMPUTE_PGM_RSRC2:TGID_X_EN: 1
; COMPUTE_PGM_RSRC2:TGID_Y_EN: 0
; COMPUTE_PGM_RSRC2:TGID_Z_EN: 1
; COMPUTE_PGM_RSRC2:TIDIG_COMP_CNT: 0
	.section	.text._ZL28rocblas_dot_batched_4_kernelIiLi32ELi4ELb1EfDF16_PKDF16_EviT5_lT_lS2_lS3_liPT4_,"axG",@progbits,_ZL28rocblas_dot_batched_4_kernelIiLi32ELi4ELb1EfDF16_PKDF16_EviT5_lT_lS2_lS3_liPT4_,comdat
	.globl	_ZL28rocblas_dot_batched_4_kernelIiLi32ELi4ELb1EfDF16_PKDF16_EviT5_lT_lS2_lS3_liPT4_ ; -- Begin function _ZL28rocblas_dot_batched_4_kernelIiLi32ELi4ELb1EfDF16_PKDF16_EviT5_lT_lS2_lS3_liPT4_
	.p2align	8
	.type	_ZL28rocblas_dot_batched_4_kernelIiLi32ELi4ELb1EfDF16_PKDF16_EviT5_lT_lS2_lS3_liPT4_,@function
_ZL28rocblas_dot_batched_4_kernelIiLi32ELi4ELb1EfDF16_PKDF16_EviT5_lT_lS2_lS3_liPT4_: ; @_ZL28rocblas_dot_batched_4_kernelIiLi32ELi4ELb1EfDF16_PKDF16_EviT5_lT_lS2_lS3_liPT4_
; %bb.0:
	s_load_b32 s2, s[0:1], 0x48
	v_bfe_u32 v1, v0, 10, 10
	s_delay_alu instid0(VALU_DEP_1) | instskip(SKIP_1) | instid1(VALU_DEP_1)
	v_lshl_add_u32 v1, s15, 2, v1
	s_waitcnt lgkmcnt(0)
	v_cmp_gt_u32_e32 vcc_lo, s2, v1
	s_and_saveexec_b32 s2, vcc_lo
	s_cbranch_execz .LBB456_7
; %bb.1:
	s_clause 0x1
	s_load_b32 s12, s[0:1], 0x0
	s_load_b64 s[2:3], s[0:1], 0x50
	v_mov_b32_e32 v2, 0
	v_and_b32_e32 v0, 0x3ff, v0
	s_mov_b32 s13, exec_lo
	s_delay_alu instid0(VALU_DEP_2) | instskip(SKIP_1) | instid1(VALU_DEP_2)
	v_mov_b32_e32 v7, v2
	s_waitcnt lgkmcnt(0)
	v_cmpx_gt_i32_e64 s12, v0
	s_cbranch_execz .LBB456_5
; %bb.2:
	s_clause 0x5
	s_load_b128 s[4:7], s[0:1], 0x20
	s_load_b64 s[14:15], s[0:1], 0x40
	s_load_b32 s16, s[0:1], 0x18
	s_load_b32 s18, s[0:1], 0x38
	s_load_b128 s[8:11], s[0:1], 0x8
	s_load_b64 s[0:1], s[0:1], 0x30
	s_waitcnt lgkmcnt(0)
	v_mad_u64_u32 v[3:4], null, s4, v1, 0
	v_mad_u64_u32 v[5:6], null, s14, v1, 0
	v_mad_i64_i32 v[8:9], null, s16, v0, 0
	s_ashr_i32 s17, s16, 31
	s_ashr_i32 s19, s18, 31
	s_delay_alu instid0(VALU_DEP_2) | instskip(SKIP_1) | instid1(VALU_DEP_3)
	v_mad_u64_u32 v[10:11], null, s5, v1, v[4:5]
	v_mov_b32_e32 v7, 0
	v_lshlrev_b64 v[8:9], 1, v[8:9]
	s_lshl_b64 s[4:5], s[10:11], 1
	s_delay_alu instid0(SALU_CYCLE_1) | instskip(SKIP_1) | instid1(VALU_DEP_3)
	s_add_u32 s8, s8, s4
	s_addc_u32 s9, s9, s5
	v_mov_b32_e32 v4, v10
	v_mad_u64_u32 v[11:12], null, s15, v1, v[6:7]
	v_mad_i64_i32 v[12:13], null, s18, v0, 0
	s_delay_alu instid0(VALU_DEP_3) | instskip(SKIP_3) | instid1(VALU_DEP_3)
	v_lshlrev_b64 v[3:4], 1, v[3:4]
	s_lshl_b64 s[0:1], s[0:1], 1
	s_lshl_b64 s[4:5], s[16:17], 6
	s_add_u32 s0, s6, s0
	v_mov_b32_e32 v6, v11
	s_addc_u32 s1, s7, s1
	s_delay_alu instid0(VALU_DEP_3) | instskip(SKIP_1) | instid1(VALU_DEP_3)
	v_lshlrev_b64 v[10:11], 1, v[12:13]
	v_add_co_u32 v3, vcc_lo, v8, v3
	v_lshlrev_b64 v[5:6], 1, v[5:6]
	v_add_co_ci_u32_e32 v4, vcc_lo, v9, v4, vcc_lo
	v_mov_b32_e32 v8, v0
	s_lshl_b64 s[6:7], s[18:19], 6
	s_delay_alu instid0(VALU_DEP_3) | instskip(NEXT) | instid1(VALU_DEP_4)
	v_add_co_u32 v5, vcc_lo, v10, v5
	v_add_co_ci_u32_e32 v6, vcc_lo, v11, v6, vcc_lo
	v_add_co_u32 v3, vcc_lo, s8, v3
	v_add_co_ci_u32_e32 v4, vcc_lo, s9, v4, vcc_lo
	s_delay_alu instid0(VALU_DEP_4) | instskip(NEXT) | instid1(VALU_DEP_4)
	v_add_co_u32 v5, vcc_lo, s0, v5
	v_add_co_ci_u32_e32 v6, vcc_lo, s1, v6, vcc_lo
	s_mov_b32 s1, 0
	.p2align	6
.LBB456_3:                              ; =>This Inner Loop Header: Depth=1
	global_load_u16 v9, v[3:4], off
	global_load_u16 v10, v[5:6], off
	v_add_nc_u32_e32 v8, 32, v8
	v_add_co_u32 v3, vcc_lo, v3, s4
	v_add_co_ci_u32_e32 v4, vcc_lo, s5, v4, vcc_lo
	v_add_co_u32 v5, vcc_lo, v5, s6
	s_delay_alu instid0(VALU_DEP_4) | instskip(SKIP_1) | instid1(VALU_DEP_2)
	v_cmp_le_i32_e64 s0, s12, v8
	v_add_co_ci_u32_e32 v6, vcc_lo, s7, v6, vcc_lo
	s_or_b32 s1, s0, s1
	s_waitcnt vmcnt(0)
	v_fma_mix_f32 v7, v9, v10, v7 op_sel_hi:[1,1,0]
	s_and_not1_b32 exec_lo, exec_lo, s1
	s_cbranch_execnz .LBB456_3
; %bb.4:
	s_or_b32 exec_lo, exec_lo, s1
.LBB456_5:
	s_delay_alu instid0(SALU_CYCLE_1)
	s_or_b32 exec_lo, exec_lo, s13
	v_mbcnt_lo_u32_b32 v3, -1, 0
	s_barrier
	buffer_gl0_inv
	v_cmp_gt_u32_e32 vcc_lo, 16, v3
	v_cndmask_b32_e64 v4, 0, 1, vcc_lo
	v_cmp_gt_u32_e32 vcc_lo, 24, v3
	s_delay_alu instid0(VALU_DEP_2) | instskip(SKIP_2) | instid1(VALU_DEP_3)
	v_lshlrev_b32_e32 v4, 4, v4
	v_cndmask_b32_e64 v5, 0, 1, vcc_lo
	v_cmp_gt_u32_e32 vcc_lo, 28, v3
	v_add_lshl_u32 v4, v4, v3, 2
	v_cndmask_b32_e64 v6, 0, 1, vcc_lo
	v_cmp_gt_u32_e32 vcc_lo, 30, v3
	ds_bpermute_b32 v4, v4, v7
	v_lshlrev_b32_e32 v5, 3, v5
	v_lshlrev_b32_e32 v6, 2, v6
	s_delay_alu instid0(VALU_DEP_1)
	v_add_lshl_u32 v6, v6, v3, 2
	s_waitcnt lgkmcnt(0)
	v_add_f32_e32 v4, v7, v4
	v_add_lshl_u32 v5, v5, v3, 2
	ds_bpermute_b32 v5, v5, v4
	s_waitcnt lgkmcnt(0)
	v_add_f32_e32 v4, v4, v5
	ds_bpermute_b32 v5, v6, v4
	v_cndmask_b32_e64 v6, 0, 1, vcc_lo
	v_cmp_ne_u32_e32 vcc_lo, 31, v3
	s_delay_alu instid0(VALU_DEP_2) | instskip(NEXT) | instid1(VALU_DEP_1)
	v_lshlrev_b32_e32 v6, 1, v6
	v_add_lshl_u32 v6, v6, v3, 2
	s_waitcnt lgkmcnt(0)
	v_add_f32_e32 v4, v4, v5
	ds_bpermute_b32 v5, v6, v4
	v_add_co_ci_u32_e32 v6, vcc_lo, 0, v3, vcc_lo
	v_cmp_eq_u32_e32 vcc_lo, 0, v0
	s_waitcnt lgkmcnt(0)
	s_delay_alu instid0(VALU_DEP_2)
	v_dual_add_f32 v3, v4, v5 :: v_dual_lshlrev_b32 v4, 2, v6
	ds_bpermute_b32 v4, v4, v3
	s_and_b32 exec_lo, exec_lo, vcc_lo
	s_cbranch_execz .LBB456_7
; %bb.6:
	v_lshlrev_b64 v[0:1], 1, v[1:2]
	s_waitcnt lgkmcnt(0)
	v_add_f32_e32 v2, v3, v4
	s_delay_alu instid0(VALU_DEP_1) | instskip(NEXT) | instid1(VALU_DEP_3)
	v_cvt_f16_f32_e32 v2, v2
	v_add_co_u32 v0, vcc_lo, s2, v0
	s_delay_alu instid0(VALU_DEP_4)
	v_add_co_ci_u32_e32 v1, vcc_lo, s3, v1, vcc_lo
	global_store_b16 v[0:1], v2, off
.LBB456_7:
	s_nop 0
	s_sendmsg sendmsg(MSG_DEALLOC_VGPRS)
	s_endpgm
	.section	.rodata,"a",@progbits
	.p2align	6, 0x0
	.amdhsa_kernel _ZL28rocblas_dot_batched_4_kernelIiLi32ELi4ELb1EfDF16_PKDF16_EviT5_lT_lS2_lS3_liPT4_
		.amdhsa_group_segment_fixed_size 0
		.amdhsa_private_segment_fixed_size 0
		.amdhsa_kernarg_size 88
		.amdhsa_user_sgpr_count 15
		.amdhsa_user_sgpr_dispatch_ptr 0
		.amdhsa_user_sgpr_queue_ptr 0
		.amdhsa_user_sgpr_kernarg_segment_ptr 1
		.amdhsa_user_sgpr_dispatch_id 0
		.amdhsa_user_sgpr_private_segment_size 0
		.amdhsa_wavefront_size32 1
		.amdhsa_uses_dynamic_stack 0
		.amdhsa_enable_private_segment 0
		.amdhsa_system_sgpr_workgroup_id_x 1
		.amdhsa_system_sgpr_workgroup_id_y 0
		.amdhsa_system_sgpr_workgroup_id_z 0
		.amdhsa_system_sgpr_workgroup_info 0
		.amdhsa_system_vgpr_workitem_id 1
		.amdhsa_next_free_vgpr 14
		.amdhsa_next_free_sgpr 20
		.amdhsa_reserve_vcc 1
		.amdhsa_float_round_mode_32 0
		.amdhsa_float_round_mode_16_64 0
		.amdhsa_float_denorm_mode_32 3
		.amdhsa_float_denorm_mode_16_64 3
		.amdhsa_dx10_clamp 1
		.amdhsa_ieee_mode 1
		.amdhsa_fp16_overflow 0
		.amdhsa_workgroup_processor_mode 1
		.amdhsa_memory_ordered 1
		.amdhsa_forward_progress 0
		.amdhsa_shared_vgpr_count 0
		.amdhsa_exception_fp_ieee_invalid_op 0
		.amdhsa_exception_fp_denorm_src 0
		.amdhsa_exception_fp_ieee_div_zero 0
		.amdhsa_exception_fp_ieee_overflow 0
		.amdhsa_exception_fp_ieee_underflow 0
		.amdhsa_exception_fp_ieee_inexact 0
		.amdhsa_exception_int_div_zero 0
	.end_amdhsa_kernel
	.section	.text._ZL28rocblas_dot_batched_4_kernelIiLi32ELi4ELb1EfDF16_PKDF16_EviT5_lT_lS2_lS3_liPT4_,"axG",@progbits,_ZL28rocblas_dot_batched_4_kernelIiLi32ELi4ELb1EfDF16_PKDF16_EviT5_lT_lS2_lS3_liPT4_,comdat
.Lfunc_end456:
	.size	_ZL28rocblas_dot_batched_4_kernelIiLi32ELi4ELb1EfDF16_PKDF16_EviT5_lT_lS2_lS3_liPT4_, .Lfunc_end456-_ZL28rocblas_dot_batched_4_kernelIiLi32ELi4ELb1EfDF16_PKDF16_EviT5_lT_lS2_lS3_liPT4_
                                        ; -- End function
	.section	.AMDGPU.csdata,"",@progbits
; Kernel info:
; codeLenInByte = 752
; NumSgprs: 22
; NumVgprs: 14
; ScratchSize: 0
; MemoryBound: 0
; FloatMode: 240
; IeeeMode: 1
; LDSByteSize: 0 bytes/workgroup (compile time only)
; SGPRBlocks: 2
; VGPRBlocks: 1
; NumSGPRsForWavesPerEU: 22
; NumVGPRsForWavesPerEU: 14
; Occupancy: 16
; WaveLimiterHint : 0
; COMPUTE_PGM_RSRC2:SCRATCH_EN: 0
; COMPUTE_PGM_RSRC2:USER_SGPR: 15
; COMPUTE_PGM_RSRC2:TRAP_HANDLER: 0
; COMPUTE_PGM_RSRC2:TGID_X_EN: 1
; COMPUTE_PGM_RSRC2:TGID_Y_EN: 0
; COMPUTE_PGM_RSRC2:TGID_Z_EN: 0
; COMPUTE_PGM_RSRC2:TIDIG_COMP_CNT: 1
	.section	.text._ZL28rocblas_dot_batched_4_kernelIiLi64ELi4ELb1EfDF16_PKDF16_EviT5_lT_lS2_lS3_liPT4_,"axG",@progbits,_ZL28rocblas_dot_batched_4_kernelIiLi64ELi4ELb1EfDF16_PKDF16_EviT5_lT_lS2_lS3_liPT4_,comdat
	.globl	_ZL28rocblas_dot_batched_4_kernelIiLi64ELi4ELb1EfDF16_PKDF16_EviT5_lT_lS2_lS3_liPT4_ ; -- Begin function _ZL28rocblas_dot_batched_4_kernelIiLi64ELi4ELb1EfDF16_PKDF16_EviT5_lT_lS2_lS3_liPT4_
	.p2align	8
	.type	_ZL28rocblas_dot_batched_4_kernelIiLi64ELi4ELb1EfDF16_PKDF16_EviT5_lT_lS2_lS3_liPT4_,@function
_ZL28rocblas_dot_batched_4_kernelIiLi64ELi4ELb1EfDF16_PKDF16_EviT5_lT_lS2_lS3_liPT4_: ; @_ZL28rocblas_dot_batched_4_kernelIiLi64ELi4ELb1EfDF16_PKDF16_EviT5_lT_lS2_lS3_liPT4_
; %bb.0:
	s_load_b32 s2, s[0:1], 0x48
	v_bfe_u32 v1, v0, 10, 10
	s_delay_alu instid0(VALU_DEP_1) | instskip(SKIP_1) | instid1(VALU_DEP_1)
	v_lshl_add_u32 v1, s15, 2, v1
	s_waitcnt lgkmcnt(0)
	v_cmp_gt_u32_e32 vcc_lo, s2, v1
	s_and_saveexec_b32 s2, vcc_lo
	s_cbranch_execz .LBB457_7
; %bb.1:
	s_clause 0x1
	s_load_b32 s12, s[0:1], 0x0
	s_load_b64 s[2:3], s[0:1], 0x50
	v_mov_b32_e32 v2, 0
	v_and_b32_e32 v0, 0x3ff, v0
	s_mov_b32 s13, exec_lo
	s_delay_alu instid0(VALU_DEP_2) | instskip(SKIP_1) | instid1(VALU_DEP_2)
	v_mov_b32_e32 v7, v2
	s_waitcnt lgkmcnt(0)
	v_cmpx_gt_i32_e64 s12, v0
	s_cbranch_execz .LBB457_5
; %bb.2:
	s_clause 0x5
	s_load_b128 s[4:7], s[0:1], 0x20
	s_load_b64 s[14:15], s[0:1], 0x40
	s_load_b32 s16, s[0:1], 0x18
	s_load_b32 s18, s[0:1], 0x38
	s_load_b128 s[8:11], s[0:1], 0x8
	s_load_b64 s[0:1], s[0:1], 0x30
	s_waitcnt lgkmcnt(0)
	v_mad_u64_u32 v[3:4], null, s4, v1, 0
	v_mad_u64_u32 v[5:6], null, s14, v1, 0
	v_mad_i64_i32 v[8:9], null, s16, v0, 0
	s_ashr_i32 s17, s16, 31
	s_ashr_i32 s19, s18, 31
	s_delay_alu instid0(VALU_DEP_2) | instskip(SKIP_1) | instid1(VALU_DEP_3)
	v_mad_u64_u32 v[10:11], null, s5, v1, v[4:5]
	v_mov_b32_e32 v7, 0
	v_lshlrev_b64 v[8:9], 1, v[8:9]
	s_lshl_b64 s[4:5], s[10:11], 1
	s_delay_alu instid0(SALU_CYCLE_1) | instskip(SKIP_1) | instid1(VALU_DEP_3)
	s_add_u32 s8, s8, s4
	s_addc_u32 s9, s9, s5
	v_mov_b32_e32 v4, v10
	v_mad_u64_u32 v[11:12], null, s15, v1, v[6:7]
	v_mad_i64_i32 v[12:13], null, s18, v0, 0
	s_delay_alu instid0(VALU_DEP_3) | instskip(SKIP_3) | instid1(VALU_DEP_3)
	v_lshlrev_b64 v[3:4], 1, v[3:4]
	s_lshl_b64 s[0:1], s[0:1], 1
	s_lshl_b64 s[4:5], s[16:17], 7
	s_add_u32 s0, s6, s0
	v_mov_b32_e32 v6, v11
	s_addc_u32 s1, s7, s1
	s_delay_alu instid0(VALU_DEP_3) | instskip(SKIP_1) | instid1(VALU_DEP_3)
	v_lshlrev_b64 v[10:11], 1, v[12:13]
	v_add_co_u32 v3, vcc_lo, v8, v3
	v_lshlrev_b64 v[5:6], 1, v[5:6]
	v_add_co_ci_u32_e32 v4, vcc_lo, v9, v4, vcc_lo
	v_mov_b32_e32 v8, v0
	s_lshl_b64 s[6:7], s[18:19], 7
	s_delay_alu instid0(VALU_DEP_3) | instskip(NEXT) | instid1(VALU_DEP_4)
	v_add_co_u32 v5, vcc_lo, v10, v5
	v_add_co_ci_u32_e32 v6, vcc_lo, v11, v6, vcc_lo
	v_add_co_u32 v3, vcc_lo, s8, v3
	v_add_co_ci_u32_e32 v4, vcc_lo, s9, v4, vcc_lo
	s_delay_alu instid0(VALU_DEP_4) | instskip(NEXT) | instid1(VALU_DEP_4)
	v_add_co_u32 v5, vcc_lo, s0, v5
	v_add_co_ci_u32_e32 v6, vcc_lo, s1, v6, vcc_lo
	s_mov_b32 s1, 0
	.p2align	6
.LBB457_3:                              ; =>This Inner Loop Header: Depth=1
	global_load_u16 v9, v[3:4], off
	global_load_u16 v10, v[5:6], off
	v_add_nc_u32_e32 v8, 64, v8
	v_add_co_u32 v3, vcc_lo, v3, s4
	v_add_co_ci_u32_e32 v4, vcc_lo, s5, v4, vcc_lo
	v_add_co_u32 v5, vcc_lo, v5, s6
	s_delay_alu instid0(VALU_DEP_4) | instskip(SKIP_1) | instid1(VALU_DEP_2)
	v_cmp_le_i32_e64 s0, s12, v8
	v_add_co_ci_u32_e32 v6, vcc_lo, s7, v6, vcc_lo
	s_or_b32 s1, s0, s1
	s_waitcnt vmcnt(0)
	v_fma_mix_f32 v7, v9, v10, v7 op_sel_hi:[1,1,0]
	s_and_not1_b32 exec_lo, exec_lo, s1
	s_cbranch_execnz .LBB457_3
; %bb.4:
	s_or_b32 exec_lo, exec_lo, s1
.LBB457_5:
	s_delay_alu instid0(SALU_CYCLE_1)
	s_or_b32 exec_lo, exec_lo, s13
	v_mbcnt_lo_u32_b32 v3, -1, 0
	s_barrier
	buffer_gl0_inv
	v_lshlrev_b32_e32 v4, 2, v3
	v_cmp_gt_u32_e32 vcc_lo, 16, v3
	ds_bpermute_b32 v4, v4, v7
	v_cndmask_b32_e64 v5, 0, 1, vcc_lo
	v_cmp_gt_u32_e32 vcc_lo, 24, v3
	s_delay_alu instid0(VALU_DEP_2) | instskip(SKIP_2) | instid1(VALU_DEP_2)
	v_lshlrev_b32_e32 v5, 4, v5
	v_cndmask_b32_e64 v6, 0, 1, vcc_lo
	v_cmp_gt_u32_e32 vcc_lo, 28, v3
	v_lshlrev_b32_e32 v6, 3, v6
	s_delay_alu instid0(VALU_DEP_1)
	v_add_lshl_u32 v6, v6, v3, 2
	s_waitcnt lgkmcnt(0)
	v_add_f32_e32 v4, v7, v4
	v_add_lshl_u32 v5, v5, v3, 2
	ds_bpermute_b32 v5, v5, v4
	s_waitcnt lgkmcnt(0)
	v_add_f32_e32 v4, v4, v5
	ds_bpermute_b32 v5, v6, v4
	v_cndmask_b32_e64 v6, 0, 1, vcc_lo
	v_cmp_gt_u32_e32 vcc_lo, 30, v3
	s_delay_alu instid0(VALU_DEP_2) | instskip(NEXT) | instid1(VALU_DEP_1)
	v_lshlrev_b32_e32 v6, 2, v6
	v_add_lshl_u32 v6, v6, v3, 2
	s_waitcnt lgkmcnt(0)
	v_add_f32_e32 v4, v4, v5
	ds_bpermute_b32 v5, v6, v4
	v_cndmask_b32_e64 v6, 0, 1, vcc_lo
	v_cmp_ne_u32_e32 vcc_lo, 31, v3
	s_delay_alu instid0(VALU_DEP_2) | instskip(NEXT) | instid1(VALU_DEP_1)
	v_lshlrev_b32_e32 v6, 1, v6
	v_add_lshl_u32 v6, v6, v3, 2
	s_waitcnt lgkmcnt(0)
	v_add_f32_e32 v4, v4, v5
	ds_bpermute_b32 v5, v6, v4
	v_add_co_ci_u32_e32 v6, vcc_lo, 0, v3, vcc_lo
	v_cmp_eq_u32_e32 vcc_lo, 0, v0
	s_waitcnt lgkmcnt(0)
	s_delay_alu instid0(VALU_DEP_2)
	v_dual_add_f32 v3, v4, v5 :: v_dual_lshlrev_b32 v4, 2, v6
	ds_bpermute_b32 v4, v4, v3
	s_and_b32 exec_lo, exec_lo, vcc_lo
	s_cbranch_execz .LBB457_7
; %bb.6:
	v_lshlrev_b64 v[0:1], 1, v[1:2]
	s_waitcnt lgkmcnt(0)
	v_add_f32_e32 v2, v3, v4
	s_delay_alu instid0(VALU_DEP_1) | instskip(NEXT) | instid1(VALU_DEP_3)
	v_cvt_f16_f32_e32 v2, v2
	v_add_co_u32 v0, vcc_lo, s2, v0
	s_delay_alu instid0(VALU_DEP_4)
	v_add_co_ci_u32_e32 v1, vcc_lo, s3, v1, vcc_lo
	global_store_b16 v[0:1], v2, off
.LBB457_7:
	s_nop 0
	s_sendmsg sendmsg(MSG_DEALLOC_VGPRS)
	s_endpgm
	.section	.rodata,"a",@progbits
	.p2align	6, 0x0
	.amdhsa_kernel _ZL28rocblas_dot_batched_4_kernelIiLi64ELi4ELb1EfDF16_PKDF16_EviT5_lT_lS2_lS3_liPT4_
		.amdhsa_group_segment_fixed_size 0
		.amdhsa_private_segment_fixed_size 0
		.amdhsa_kernarg_size 88
		.amdhsa_user_sgpr_count 15
		.amdhsa_user_sgpr_dispatch_ptr 0
		.amdhsa_user_sgpr_queue_ptr 0
		.amdhsa_user_sgpr_kernarg_segment_ptr 1
		.amdhsa_user_sgpr_dispatch_id 0
		.amdhsa_user_sgpr_private_segment_size 0
		.amdhsa_wavefront_size32 1
		.amdhsa_uses_dynamic_stack 0
		.amdhsa_enable_private_segment 0
		.amdhsa_system_sgpr_workgroup_id_x 1
		.amdhsa_system_sgpr_workgroup_id_y 0
		.amdhsa_system_sgpr_workgroup_id_z 0
		.amdhsa_system_sgpr_workgroup_info 0
		.amdhsa_system_vgpr_workitem_id 1
		.amdhsa_next_free_vgpr 14
		.amdhsa_next_free_sgpr 20
		.amdhsa_reserve_vcc 1
		.amdhsa_float_round_mode_32 0
		.amdhsa_float_round_mode_16_64 0
		.amdhsa_float_denorm_mode_32 3
		.amdhsa_float_denorm_mode_16_64 3
		.amdhsa_dx10_clamp 1
		.amdhsa_ieee_mode 1
		.amdhsa_fp16_overflow 0
		.amdhsa_workgroup_processor_mode 1
		.amdhsa_memory_ordered 1
		.amdhsa_forward_progress 0
		.amdhsa_shared_vgpr_count 0
		.amdhsa_exception_fp_ieee_invalid_op 0
		.amdhsa_exception_fp_denorm_src 0
		.amdhsa_exception_fp_ieee_div_zero 0
		.amdhsa_exception_fp_ieee_overflow 0
		.amdhsa_exception_fp_ieee_underflow 0
		.amdhsa_exception_fp_ieee_inexact 0
		.amdhsa_exception_int_div_zero 0
	.end_amdhsa_kernel
	.section	.text._ZL28rocblas_dot_batched_4_kernelIiLi64ELi4ELb1EfDF16_PKDF16_EviT5_lT_lS2_lS3_liPT4_,"axG",@progbits,_ZL28rocblas_dot_batched_4_kernelIiLi64ELi4ELb1EfDF16_PKDF16_EviT5_lT_lS2_lS3_liPT4_,comdat
.Lfunc_end457:
	.size	_ZL28rocblas_dot_batched_4_kernelIiLi64ELi4ELb1EfDF16_PKDF16_EviT5_lT_lS2_lS3_liPT4_, .Lfunc_end457-_ZL28rocblas_dot_batched_4_kernelIiLi64ELi4ELb1EfDF16_PKDF16_EviT5_lT_lS2_lS3_liPT4_
                                        ; -- End function
	.section	.AMDGPU.csdata,"",@progbits
; Kernel info:
; codeLenInByte = 776
; NumSgprs: 22
; NumVgprs: 14
; ScratchSize: 0
; MemoryBound: 0
; FloatMode: 240
; IeeeMode: 1
; LDSByteSize: 0 bytes/workgroup (compile time only)
; SGPRBlocks: 2
; VGPRBlocks: 1
; NumSGPRsForWavesPerEU: 22
; NumVGPRsForWavesPerEU: 14
; Occupancy: 16
; WaveLimiterHint : 0
; COMPUTE_PGM_RSRC2:SCRATCH_EN: 0
; COMPUTE_PGM_RSRC2:USER_SGPR: 15
; COMPUTE_PGM_RSRC2:TRAP_HANDLER: 0
; COMPUTE_PGM_RSRC2:TGID_X_EN: 1
; COMPUTE_PGM_RSRC2:TGID_Y_EN: 0
; COMPUTE_PGM_RSRC2:TGID_Z_EN: 0
; COMPUTE_PGM_RSRC2:TIDIG_COMP_CNT: 1
	.section	.text._ZL26rocblas_dot_kernel_inc1by2ILb1ELi1024ELi32ELb1EDF16_PKDF16_fEviT4_llS2_lliPT5_PT3_,"axG",@progbits,_ZL26rocblas_dot_kernel_inc1by2ILb1ELi1024ELi32ELb1EDF16_PKDF16_fEviT4_llS2_lliPT5_PT3_,comdat
	.globl	_ZL26rocblas_dot_kernel_inc1by2ILb1ELi1024ELi32ELb1EDF16_PKDF16_fEviT4_llS2_lliPT5_PT3_ ; -- Begin function _ZL26rocblas_dot_kernel_inc1by2ILb1ELi1024ELi32ELb1EDF16_PKDF16_fEviT4_llS2_lliPT5_PT3_
	.p2align	8
	.type	_ZL26rocblas_dot_kernel_inc1by2ILb1ELi1024ELi32ELb1EDF16_PKDF16_fEviT4_llS2_lliPT5_PT3_,@function
_ZL26rocblas_dot_kernel_inc1by2ILb1ELi1024ELi32ELb1EDF16_PKDF16_fEviT4_llS2_lliPT5_PT3_: ; @_ZL26rocblas_dot_kernel_inc1by2ILb1ELi1024ELi32ELb1EDF16_PKDF16_fEviT4_llS2_lliPT5_PT3_
; %bb.0:
	s_mov_b32 s2, s15
	s_clause 0x5
	s_load_b128 s[8:11], s[0:1], 0x10
	s_load_b128 s[4:7], s[0:1], 0x28
	s_load_b32 s17, s[0:1], 0x0
	s_load_b64 s[12:13], s[0:1], 0x48
	s_load_b64 s[14:15], s[0:1], 0x8
	;; [unrolled: 1-line block ×3, first 2 shown]
	v_dual_mov_b32 v5, 0 :: v_dual_lshlrev_b32 v6, 1, v0
	s_mov_b32 s3, 0
	s_waitcnt lgkmcnt(0)
	s_mul_i32 s11, s2, s11
	s_mul_hi_u32 s18, s2, s10
	s_mul_i32 s7, s2, s7
	s_mul_hi_u32 s19, s2, s6
	s_add_i32 s16, s17, -1
	s_add_i32 s11, s18, s11
	s_mul_i32 s10, s2, s10
	s_add_i32 s7, s19, s7
	s_mul_i32 s6, s2, s6
	s_mov_b32 s18, exec_lo
	v_cmpx_gt_i32_e64 s16, v6
	s_cbranch_execz .LBB458_4
; %bb.1:
	s_lshl_b64 s[22:23], s[4:5], 1
	s_lshl_b64 s[20:21], s[6:7], 1
	v_lshlrev_b32_e32 v3, 2, v0
	s_add_u32 s19, s0, s22
	s_addc_u32 s22, s1, s23
	s_add_u32 s19, s19, s20
	s_addc_u32 s20, s22, s21
	v_add_co_u32 v1, s19, s19, v3
	s_delay_alu instid0(VALU_DEP_1)
	v_add_co_ci_u32_e64 v2, null, s20, 0, s19
	s_lshl_b64 s[20:21], s[8:9], 1
	s_lshl_b64 s[22:23], s[10:11], 1
	s_add_u32 s19, s14, s20
	s_addc_u32 s20, s15, s21
	s_add_u32 s19, s19, s22
	s_addc_u32 s20, s20, s23
	v_add_co_u32 v3, s19, s19, v3
	v_mov_b32_e32 v5, 0
	v_add_co_ci_u32_e64 v4, null, s20, 0, s19
	s_mov_b32 s19, s3
	s_mov_b32 s20, s3
	.p2align	6
.LBB458_2:                              ; =>This Inner Loop Header: Depth=1
	global_load_b32 v7, v[1:2], off
	global_load_b32 v8, v[3:4], off
	v_add_co_u32 v1, vcc_lo, 0x1000, v1
	v_add_nc_u32_e32 v6, 0x800, v6
	v_add_co_ci_u32_e32 v2, vcc_lo, 0, v2, vcc_lo
	v_add_co_u32 v3, vcc_lo, 0x1000, v3
	v_add_co_ci_u32_e32 v4, vcc_lo, 0, v4, vcc_lo
	s_add_i32 s21, s20, 1
	s_cmp_gt_u32 s20, 30
	s_cselect_b32 s20, -1, 0
	s_waitcnt vmcnt(0)
	v_dot2acc_f32_f16 v5, v7, v8
	v_cmp_le_i32_e32 vcc_lo, s16, v6
	s_or_b32 s20, s20, vcc_lo
	s_delay_alu instid0(SALU_CYCLE_1) | instskip(NEXT) | instid1(SALU_CYCLE_1)
	s_and_b32 s20, exec_lo, s20
	s_or_b32 s19, s20, s19
	s_mov_b32 s20, s21
	s_and_not1_b32 exec_lo, exec_lo, s19
	s_cbranch_execnz .LBB458_2
; %bb.3:
	s_or_b32 exec_lo, exec_lo, s19
.LBB458_4:
	s_delay_alu instid0(SALU_CYCLE_1) | instskip(SKIP_3) | instid1(SALU_CYCLE_1)
	s_or_b32 exec_lo, exec_lo, s18
	v_cmp_eq_u32_e32 vcc_lo, s16, v6
	s_bitcmp1_b32 s17, 0
	s_cselect_b32 s17, -1, 0
	s_and_b32 s17, s17, vcc_lo
	s_delay_alu instid0(SALU_CYCLE_1)
	s_and_saveexec_b32 s18, s17
	s_cbranch_execz .LBB458_6
; %bb.5:
	s_lshl_b64 s[10:11], s[10:11], 1
	s_mov_b32 s17, 0
	s_add_u32 s10, s14, s10
	s_addc_u32 s11, s15, s11
	s_lshl_b64 s[8:9], s[8:9], 1
	v_mov_b32_e32 v1, 0
	s_add_u32 s8, s10, s8
	s_addc_u32 s9, s11, s9
	s_lshl_b64 s[6:7], s[6:7], 1
	s_delay_alu instid0(SALU_CYCLE_1) | instskip(SKIP_2) | instid1(SALU_CYCLE_1)
	s_add_u32 s6, s0, s6
	s_addc_u32 s7, s1, s7
	s_lshl_b64 s[0:1], s[4:5], 1
	s_add_u32 s4, s6, s0
	s_addc_u32 s5, s7, s1
	s_lshl_b64 s[0:1], s[16:17], 1
	s_delay_alu instid0(SALU_CYCLE_1)
	s_add_u32 s4, s4, s0
	s_addc_u32 s5, s5, s1
	s_add_u32 s0, s8, s0
	s_addc_u32 s1, s9, s1
	s_clause 0x1
	global_load_u16 v2, v1, s[4:5]
	global_load_u16 v1, v1, s[0:1]
	s_waitcnt vmcnt(0)
	v_fma_mix_f32 v5, v2, v1, v5 op_sel_hi:[1,1,0]
.LBB458_6:
	s_or_b32 exec_lo, exec_lo, s18
	v_and_b32_e32 v7, 31, v0
	v_cmp_gt_u32_e32 vcc_lo, 32, v0
	s_delay_alu instid0(VALU_DEP_2)
	v_lshlrev_b32_e32 v1, 2, v7
	s_and_saveexec_b32 s0, vcc_lo
	s_cbranch_execz .LBB458_8
; %bb.7:
	v_mov_b32_e32 v2, 0
	ds_store_b32 v1, v2
.LBB458_8:
	s_or_b32 exec_lo, exec_lo, s0
	v_mbcnt_lo_u32_b32 v6, -1, 0
	s_mov_b32 s1, exec_lo
	s_waitcnt lgkmcnt(0)
	s_barrier
	buffer_gl0_inv
	v_cmp_gt_u32_e64 s0, 16, v6
	s_delay_alu instid0(VALU_DEP_1) | instskip(SKIP_1) | instid1(VALU_DEP_2)
	v_cndmask_b32_e64 v2, 0, 1, s0
	v_cmp_gt_u32_e64 s0, 24, v6
	v_lshlrev_b32_e32 v2, 4, v2
	s_delay_alu instid0(VALU_DEP_2) | instskip(SKIP_1) | instid1(VALU_DEP_3)
	v_cndmask_b32_e64 v3, 0, 1, s0
	v_cmp_gt_u32_e64 s0, 28, v6
	v_add_lshl_u32 v2, v2, v6, 2
	ds_bpermute_b32 v4, v2, v5
	s_waitcnt lgkmcnt(0)
	v_add_f32_e32 v5, v5, v4
	v_lshlrev_b32_e32 v3, 3, v3
	v_cndmask_b32_e64 v4, 0, 1, s0
	v_cmp_gt_u32_e64 s0, 30, v6
	s_delay_alu instid0(VALU_DEP_3) | instskip(NEXT) | instid1(VALU_DEP_3)
	v_add_lshl_u32 v3, v3, v6, 2
	v_lshlrev_b32_e32 v4, 2, v4
	ds_bpermute_b32 v8, v3, v5
	v_add_lshl_u32 v4, v4, v6, 2
	s_waitcnt lgkmcnt(0)
	v_add_f32_e32 v8, v5, v8
	v_cndmask_b32_e64 v5, 0, 1, s0
	v_cmp_ne_u32_e64 s0, 31, v6
	ds_bpermute_b32 v9, v4, v8
	v_lshlrev_b32_e32 v5, 1, v5
	s_delay_alu instid0(VALU_DEP_1) | instskip(SKIP_1) | instid1(VALU_DEP_1)
	v_add_lshl_u32 v5, v5, v6, 2
	v_add_co_ci_u32_e64 v6, s0, 0, v6, s0
	v_lshlrev_b32_e32 v6, 2, v6
	s_waitcnt lgkmcnt(0)
	v_add_f32_e32 v8, v8, v9
	ds_bpermute_b32 v9, v5, v8
	s_waitcnt lgkmcnt(0)
	v_add_f32_e32 v8, v8, v9
	ds_bpermute_b32 v9, v6, v8
	v_cmpx_eq_u32_e32 0, v7
	s_cbranch_execz .LBB458_10
; %bb.9:
	v_lshrrev_b32_e32 v7, 3, v0
	s_waitcnt lgkmcnt(0)
	s_delay_alu instid0(VALU_DEP_1)
	v_dual_add_f32 v8, v8, v9 :: v_dual_and_b32 v7, 0x7c, v7
	ds_store_b32 v7, v8
.LBB458_10:
	s_or_b32 exec_lo, exec_lo, s1
	v_mov_b32_e32 v7, 0
	s_waitcnt lgkmcnt(0)
	s_barrier
	buffer_gl0_inv
	s_and_saveexec_b32 s0, vcc_lo
	s_cbranch_execz .LBB458_12
; %bb.11:
	ds_load_b32 v7, v1
.LBB458_12:
	s_or_b32 exec_lo, exec_lo, s0
	s_and_saveexec_b32 s0, vcc_lo
	s_cbranch_execz .LBB458_14
; %bb.13:
	s_waitcnt lgkmcnt(0)
	ds_bpermute_b32 v1, v2, v7
	s_waitcnt lgkmcnt(0)
	v_add_f32_e32 v1, v7, v1
	ds_bpermute_b32 v2, v3, v1
	s_waitcnt lgkmcnt(0)
	v_add_f32_e32 v1, v1, v2
	;; [unrolled: 3-line block ×5, first 2 shown]
.LBB458_14:
	s_or_b32 exec_lo, exec_lo, s0
	s_delay_alu instid0(SALU_CYCLE_1)
	s_mov_b32 s0, exec_lo
	v_cmpx_eq_u32_e32 0, v0
	s_cbranch_execz .LBB458_16
; %bb.15:
	s_waitcnt lgkmcnt(0)
	v_cvt_f16_f32_e32 v0, v7
	s_lshl_b64 s[0:1], s[2:3], 1
	v_mov_b32_e32 v1, 0
	s_add_u32 s0, s12, s0
	s_addc_u32 s1, s13, s1
	global_store_b16 v1, v0, s[0:1]
.LBB458_16:
	s_nop 0
	s_sendmsg sendmsg(MSG_DEALLOC_VGPRS)
	s_endpgm
	.section	.rodata,"a",@progbits
	.p2align	6, 0x0
	.amdhsa_kernel _ZL26rocblas_dot_kernel_inc1by2ILb1ELi1024ELi32ELb1EDF16_PKDF16_fEviT4_llS2_lliPT5_PT3_
		.amdhsa_group_segment_fixed_size 128
		.amdhsa_private_segment_fixed_size 0
		.amdhsa_kernarg_size 80
		.amdhsa_user_sgpr_count 14
		.amdhsa_user_sgpr_dispatch_ptr 0
		.amdhsa_user_sgpr_queue_ptr 0
		.amdhsa_user_sgpr_kernarg_segment_ptr 1
		.amdhsa_user_sgpr_dispatch_id 0
		.amdhsa_user_sgpr_private_segment_size 0
		.amdhsa_wavefront_size32 1
		.amdhsa_uses_dynamic_stack 0
		.amdhsa_enable_private_segment 0
		.amdhsa_system_sgpr_workgroup_id_x 1
		.amdhsa_system_sgpr_workgroup_id_y 0
		.amdhsa_system_sgpr_workgroup_id_z 1
		.amdhsa_system_sgpr_workgroup_info 0
		.amdhsa_system_vgpr_workitem_id 0
		.amdhsa_next_free_vgpr 10
		.amdhsa_next_free_sgpr 24
		.amdhsa_reserve_vcc 1
		.amdhsa_float_round_mode_32 0
		.amdhsa_float_round_mode_16_64 0
		.amdhsa_float_denorm_mode_32 3
		.amdhsa_float_denorm_mode_16_64 3
		.amdhsa_dx10_clamp 1
		.amdhsa_ieee_mode 1
		.amdhsa_fp16_overflow 0
		.amdhsa_workgroup_processor_mode 1
		.amdhsa_memory_ordered 1
		.amdhsa_forward_progress 0
		.amdhsa_shared_vgpr_count 0
		.amdhsa_exception_fp_ieee_invalid_op 0
		.amdhsa_exception_fp_denorm_src 0
		.amdhsa_exception_fp_ieee_div_zero 0
		.amdhsa_exception_fp_ieee_overflow 0
		.amdhsa_exception_fp_ieee_underflow 0
		.amdhsa_exception_fp_ieee_inexact 0
		.amdhsa_exception_int_div_zero 0
	.end_amdhsa_kernel
	.section	.text._ZL26rocblas_dot_kernel_inc1by2ILb1ELi1024ELi32ELb1EDF16_PKDF16_fEviT4_llS2_lliPT5_PT3_,"axG",@progbits,_ZL26rocblas_dot_kernel_inc1by2ILb1ELi1024ELi32ELb1EDF16_PKDF16_fEviT4_llS2_lliPT5_PT3_,comdat
.Lfunc_end458:
	.size	_ZL26rocblas_dot_kernel_inc1by2ILb1ELi1024ELi32ELb1EDF16_PKDF16_fEviT4_llS2_lliPT5_PT3_, .Lfunc_end458-_ZL26rocblas_dot_kernel_inc1by2ILb1ELi1024ELi32ELb1EDF16_PKDF16_fEviT4_llS2_lliPT5_PT3_
                                        ; -- End function
	.section	.AMDGPU.csdata,"",@progbits
; Kernel info:
; codeLenInByte = 1020
; NumSgprs: 26
; NumVgprs: 10
; ScratchSize: 0
; MemoryBound: 0
; FloatMode: 240
; IeeeMode: 1
; LDSByteSize: 128 bytes/workgroup (compile time only)
; SGPRBlocks: 3
; VGPRBlocks: 1
; NumSGPRsForWavesPerEU: 26
; NumVGPRsForWavesPerEU: 10
; Occupancy: 16
; WaveLimiterHint : 0
; COMPUTE_PGM_RSRC2:SCRATCH_EN: 0
; COMPUTE_PGM_RSRC2:USER_SGPR: 14
; COMPUTE_PGM_RSRC2:TRAP_HANDLER: 0
; COMPUTE_PGM_RSRC2:TGID_X_EN: 1
; COMPUTE_PGM_RSRC2:TGID_Y_EN: 0
; COMPUTE_PGM_RSRC2:TGID_Z_EN: 1
; COMPUTE_PGM_RSRC2:TIDIG_COMP_CNT: 0
	.section	.text._ZL18rocblas_dot_kernelIiLb1ELi1024ELi32ELb1EDF16_PKDF16_fEviT5_lT_lS2_lS3_liPT6_PT4_,"axG",@progbits,_ZL18rocblas_dot_kernelIiLb1ELi1024ELi32ELb1EDF16_PKDF16_fEviT5_lT_lS2_lS3_liPT6_PT4_,comdat
	.globl	_ZL18rocblas_dot_kernelIiLb1ELi1024ELi32ELb1EDF16_PKDF16_fEviT5_lT_lS2_lS3_liPT6_PT4_ ; -- Begin function _ZL18rocblas_dot_kernelIiLb1ELi1024ELi32ELb1EDF16_PKDF16_fEviT5_lT_lS2_lS3_liPT6_PT4_
	.p2align	8
	.type	_ZL18rocblas_dot_kernelIiLb1ELi1024ELi32ELb1EDF16_PKDF16_fEviT5_lT_lS2_lS3_liPT6_PT4_,@function
_ZL18rocblas_dot_kernelIiLb1ELi1024ELi32ELb1EDF16_PKDF16_fEviT5_lT_lS2_lS3_liPT6_PT4_: ; @_ZL18rocblas_dot_kernelIiLb1ELi1024ELi32ELb1EDF16_PKDF16_fEviT5_lT_lS2_lS3_liPT6_PT4_
; %bb.0:
	s_clause 0x1
	s_load_b32 s10, s[0:1], 0x0
	s_load_b64 s[2:3], s[0:1], 0x58
	v_mov_b32_e32 v5, 0
	s_mov_b32 s8, s15
	s_mov_b32 s9, 0
	s_mov_b32 s11, exec_lo
	s_waitcnt lgkmcnt(0)
	v_cmpx_gt_i32_e64 s10, v0
	s_cbranch_execz .LBB459_4
; %bb.1:
	s_clause 0x6
	s_load_b32 s20, s[0:1], 0x60
	s_load_b128 s[4:7], s[0:1], 0x20
	s_load_b32 s22, s[0:1], 0x18
	s_load_b128 s[12:15], s[0:1], 0x8
	s_load_b64 s[16:17], s[0:1], 0x40
	s_load_b32 s23, s[0:1], 0x38
	s_load_b64 s[18:19], s[0:1], 0x30
	v_mov_b32_e32 v5, 0
	s_waitcnt lgkmcnt(0)
	s_lshl_b32 s1, s20, 10
	s_mul_i32 s0, s5, s8
	v_mad_i64_i32 v[1:2], null, s22, v0, 0
	s_mul_hi_u32 s5, s4, s8
	s_mul_i32 s4, s4, s8
	v_mad_i64_i32 v[3:4], null, s23, v0, 0
	s_add_i32 s5, s5, s0
	s_lshl_b64 s[14:15], s[14:15], 1
	s_delay_alu instid0(VALU_DEP_2)
	v_lshlrev_b64 v[1:2], 1, v[1:2]
	s_lshl_b64 s[4:5], s[4:5], 1
	s_add_u32 s0, s12, s14
	s_addc_u32 s12, s13, s15
	s_mul_i32 s17, s17, s8
	s_mul_hi_u32 s24, s16, s8
	s_add_u32 s0, s0, s4
	s_mul_i32 s16, s16, s8
	s_mul_hi_i32 s21, s22, s1
	s_mul_i32 s20, s22, s1
	s_addc_u32 s12, s12, s5
	s_add_i32 s17, s24, s17
	v_add_co_u32 v1, vcc_lo, s0, v1
	s_lshl_b64 s[14:15], s[18:19], 1
	v_lshlrev_b64 v[3:4], 1, v[3:4]
	s_lshl_b64 s[4:5], s[20:21], 1
	v_add_co_ci_u32_e32 v2, vcc_lo, s12, v2, vcc_lo
	s_lshl_b64 s[12:13], s[16:17], 1
	s_add_u32 s0, s6, s14
	s_addc_u32 s6, s7, s15
	s_add_u32 s0, s0, s12
	s_addc_u32 s6, s6, s13
	v_add_co_u32 v3, vcc_lo, s0, v3
	v_or_b32_e32 v6, s1, v0
	v_add_co_ci_u32_e32 v4, vcc_lo, s6, v4, vcc_lo
	s_mul_hi_i32 s7, s23, s1
	s_mul_i32 s6, s23, s1
	s_mov_b32 s12, s9
	s_lshl_b64 s[6:7], s[6:7], 1
	s_mov_b32 s13, s9
	.p2align	6
.LBB459_2:                              ; =>This Inner Loop Header: Depth=1
	global_load_u16 v7, v[3:4], off
	global_load_u16 v8, v[1:2], off
	v_add_co_u32 v1, s0, v1, s4
	s_delay_alu instid0(VALU_DEP_1)
	v_add_co_ci_u32_e64 v2, s0, s5, v2, s0
	s_add_i32 s14, s13, 1
	v_cmp_le_i32_e32 vcc_lo, s10, v6
	v_add_co_u32 v3, s0, v3, s6
	s_cmp_gt_u32 s13, 30
	v_add_co_ci_u32_e64 v4, s0, s7, v4, s0
	s_cselect_b32 s0, -1, 0
	v_add_nc_u32_e32 v6, s1, v6
	s_or_b32 s0, s0, vcc_lo
	s_mov_b32 s13, s14
	s_and_b32 s0, exec_lo, s0
	s_delay_alu instid0(SALU_CYCLE_1)
	s_or_b32 s12, s0, s12
	s_waitcnt vmcnt(0)
	v_fma_mix_f32 v5, v7, v8, v5 op_sel_hi:[1,1,0]
	s_and_not1_b32 exec_lo, exec_lo, s12
	s_cbranch_execnz .LBB459_2
; %bb.3:
	s_or_b32 exec_lo, exec_lo, s12
.LBB459_4:
	s_delay_alu instid0(SALU_CYCLE_1) | instskip(SKIP_2) | instid1(VALU_DEP_2)
	s_or_b32 exec_lo, exec_lo, s11
	v_and_b32_e32 v7, 31, v0
	v_cmp_gt_u32_e32 vcc_lo, 32, v0
	v_lshlrev_b32_e32 v1, 2, v7
	s_and_saveexec_b32 s0, vcc_lo
	s_cbranch_execz .LBB459_6
; %bb.5:
	v_mov_b32_e32 v2, 0
	ds_store_b32 v1, v2
.LBB459_6:
	s_or_b32 exec_lo, exec_lo, s0
	v_mbcnt_lo_u32_b32 v6, -1, 0
	s_mov_b32 s1, exec_lo
	s_waitcnt lgkmcnt(0)
	s_barrier
	buffer_gl0_inv
	v_cmp_gt_u32_e64 s0, 16, v6
	s_delay_alu instid0(VALU_DEP_1) | instskip(SKIP_1) | instid1(VALU_DEP_2)
	v_cndmask_b32_e64 v2, 0, 1, s0
	v_cmp_gt_u32_e64 s0, 24, v6
	v_lshlrev_b32_e32 v2, 4, v2
	s_delay_alu instid0(VALU_DEP_2) | instskip(SKIP_1) | instid1(VALU_DEP_3)
	v_cndmask_b32_e64 v3, 0, 1, s0
	v_cmp_gt_u32_e64 s0, 28, v6
	v_add_lshl_u32 v2, v2, v6, 2
	ds_bpermute_b32 v4, v2, v5
	s_waitcnt lgkmcnt(0)
	v_add_f32_e32 v5, v5, v4
	v_lshlrev_b32_e32 v3, 3, v3
	v_cndmask_b32_e64 v4, 0, 1, s0
	v_cmp_gt_u32_e64 s0, 30, v6
	s_delay_alu instid0(VALU_DEP_3) | instskip(NEXT) | instid1(VALU_DEP_3)
	v_add_lshl_u32 v3, v3, v6, 2
	v_lshlrev_b32_e32 v4, 2, v4
	ds_bpermute_b32 v8, v3, v5
	v_add_lshl_u32 v4, v4, v6, 2
	s_waitcnt lgkmcnt(0)
	v_add_f32_e32 v8, v5, v8
	v_cndmask_b32_e64 v5, 0, 1, s0
	v_cmp_ne_u32_e64 s0, 31, v6
	ds_bpermute_b32 v9, v4, v8
	v_lshlrev_b32_e32 v5, 1, v5
	s_delay_alu instid0(VALU_DEP_1) | instskip(SKIP_1) | instid1(VALU_DEP_1)
	v_add_lshl_u32 v5, v5, v6, 2
	v_add_co_ci_u32_e64 v6, s0, 0, v6, s0
	v_lshlrev_b32_e32 v6, 2, v6
	s_waitcnt lgkmcnt(0)
	v_add_f32_e32 v8, v8, v9
	ds_bpermute_b32 v9, v5, v8
	s_waitcnt lgkmcnt(0)
	v_add_f32_e32 v8, v8, v9
	ds_bpermute_b32 v9, v6, v8
	v_cmpx_eq_u32_e32 0, v7
	s_cbranch_execz .LBB459_8
; %bb.7:
	v_lshrrev_b32_e32 v7, 3, v0
	s_waitcnt lgkmcnt(0)
	s_delay_alu instid0(VALU_DEP_1)
	v_dual_add_f32 v8, v8, v9 :: v_dual_and_b32 v7, 0x7c, v7
	ds_store_b32 v7, v8
.LBB459_8:
	s_or_b32 exec_lo, exec_lo, s1
	v_mov_b32_e32 v7, 0
	s_waitcnt lgkmcnt(0)
	s_barrier
	buffer_gl0_inv
	s_and_saveexec_b32 s0, vcc_lo
	s_cbranch_execz .LBB459_10
; %bb.9:
	ds_load_b32 v7, v1
.LBB459_10:
	s_or_b32 exec_lo, exec_lo, s0
	s_and_saveexec_b32 s0, vcc_lo
	s_cbranch_execz .LBB459_12
; %bb.11:
	s_waitcnt lgkmcnt(0)
	ds_bpermute_b32 v1, v2, v7
	s_waitcnt lgkmcnt(0)
	v_add_f32_e32 v1, v7, v1
	ds_bpermute_b32 v2, v3, v1
	s_waitcnt lgkmcnt(0)
	v_add_f32_e32 v1, v1, v2
	;; [unrolled: 3-line block ×5, first 2 shown]
.LBB459_12:
	s_or_b32 exec_lo, exec_lo, s0
	s_delay_alu instid0(SALU_CYCLE_1)
	s_mov_b32 s0, exec_lo
	v_cmpx_eq_u32_e32 0, v0
	s_cbranch_execz .LBB459_14
; %bb.13:
	s_waitcnt lgkmcnt(0)
	v_cvt_f16_f32_e32 v0, v7
	s_lshl_b64 s[0:1], s[8:9], 1
	v_mov_b32_e32 v1, 0
	s_add_u32 s0, s2, s0
	s_addc_u32 s1, s3, s1
	global_store_b16 v1, v0, s[0:1]
.LBB459_14:
	s_nop 0
	s_sendmsg sendmsg(MSG_DEALLOC_VGPRS)
	s_endpgm
	.section	.rodata,"a",@progbits
	.p2align	6, 0x0
	.amdhsa_kernel _ZL18rocblas_dot_kernelIiLb1ELi1024ELi32ELb1EDF16_PKDF16_fEviT5_lT_lS2_lS3_liPT6_PT4_
		.amdhsa_group_segment_fixed_size 128
		.amdhsa_private_segment_fixed_size 0
		.amdhsa_kernarg_size 352
		.amdhsa_user_sgpr_count 14
		.amdhsa_user_sgpr_dispatch_ptr 0
		.amdhsa_user_sgpr_queue_ptr 0
		.amdhsa_user_sgpr_kernarg_segment_ptr 1
		.amdhsa_user_sgpr_dispatch_id 0
		.amdhsa_user_sgpr_private_segment_size 0
		.amdhsa_wavefront_size32 1
		.amdhsa_uses_dynamic_stack 0
		.amdhsa_enable_private_segment 0
		.amdhsa_system_sgpr_workgroup_id_x 1
		.amdhsa_system_sgpr_workgroup_id_y 0
		.amdhsa_system_sgpr_workgroup_id_z 1
		.amdhsa_system_sgpr_workgroup_info 0
		.amdhsa_system_vgpr_workitem_id 0
		.amdhsa_next_free_vgpr 10
		.amdhsa_next_free_sgpr 25
		.amdhsa_reserve_vcc 1
		.amdhsa_float_round_mode_32 0
		.amdhsa_float_round_mode_16_64 0
		.amdhsa_float_denorm_mode_32 3
		.amdhsa_float_denorm_mode_16_64 3
		.amdhsa_dx10_clamp 1
		.amdhsa_ieee_mode 1
		.amdhsa_fp16_overflow 0
		.amdhsa_workgroup_processor_mode 1
		.amdhsa_memory_ordered 1
		.amdhsa_forward_progress 0
		.amdhsa_shared_vgpr_count 0
		.amdhsa_exception_fp_ieee_invalid_op 0
		.amdhsa_exception_fp_denorm_src 0
		.amdhsa_exception_fp_ieee_div_zero 0
		.amdhsa_exception_fp_ieee_overflow 0
		.amdhsa_exception_fp_ieee_underflow 0
		.amdhsa_exception_fp_ieee_inexact 0
		.amdhsa_exception_int_div_zero 0
	.end_amdhsa_kernel
	.section	.text._ZL18rocblas_dot_kernelIiLb1ELi1024ELi32ELb1EDF16_PKDF16_fEviT5_lT_lS2_lS3_liPT6_PT4_,"axG",@progbits,_ZL18rocblas_dot_kernelIiLb1ELi1024ELi32ELb1EDF16_PKDF16_fEviT5_lT_lS2_lS3_liPT6_PT4_,comdat
.Lfunc_end459:
	.size	_ZL18rocblas_dot_kernelIiLb1ELi1024ELi32ELb1EDF16_PKDF16_fEviT5_lT_lS2_lS3_liPT6_PT4_, .Lfunc_end459-_ZL18rocblas_dot_kernelIiLb1ELi1024ELi32ELb1EDF16_PKDF16_fEviT5_lT_lS2_lS3_liPT6_PT4_
                                        ; -- End function
	.section	.AMDGPU.csdata,"",@progbits
; Kernel info:
; codeLenInByte = 948
; NumSgprs: 27
; NumVgprs: 10
; ScratchSize: 0
; MemoryBound: 0
; FloatMode: 240
; IeeeMode: 1
; LDSByteSize: 128 bytes/workgroup (compile time only)
; SGPRBlocks: 3
; VGPRBlocks: 1
; NumSGPRsForWavesPerEU: 27
; NumVGPRsForWavesPerEU: 10
; Occupancy: 16
; WaveLimiterHint : 0
; COMPUTE_PGM_RSRC2:SCRATCH_EN: 0
; COMPUTE_PGM_RSRC2:USER_SGPR: 14
; COMPUTE_PGM_RSRC2:TRAP_HANDLER: 0
; COMPUTE_PGM_RSRC2:TGID_X_EN: 1
; COMPUTE_PGM_RSRC2:TGID_Y_EN: 0
; COMPUTE_PGM_RSRC2:TGID_Z_EN: 1
; COMPUTE_PGM_RSRC2:TIDIG_COMP_CNT: 0
	.section	.text._ZL24rocblas_dot_kernel_magsqIiLb1ELi1024ELi32ELb1EDF16_PKDF16_fEviT5_lT_liPT6_PT4_,"axG",@progbits,_ZL24rocblas_dot_kernel_magsqIiLb1ELi1024ELi32ELb1EDF16_PKDF16_fEviT5_lT_liPT6_PT4_,comdat
	.globl	_ZL24rocblas_dot_kernel_magsqIiLb1ELi1024ELi32ELb1EDF16_PKDF16_fEviT5_lT_liPT6_PT4_ ; -- Begin function _ZL24rocblas_dot_kernel_magsqIiLb1ELi1024ELi32ELb1EDF16_PKDF16_fEviT5_lT_liPT6_PT4_
	.p2align	8
	.type	_ZL24rocblas_dot_kernel_magsqIiLb1ELi1024ELi32ELb1EDF16_PKDF16_fEviT5_lT_liPT6_PT4_,@function
_ZL24rocblas_dot_kernel_magsqIiLb1ELi1024ELi32ELb1EDF16_PKDF16_fEviT5_lT_liPT6_PT4_: ; @_ZL24rocblas_dot_kernel_magsqIiLb1ELi1024ELi32ELb1EDF16_PKDF16_fEviT5_lT_liPT6_PT4_
; %bb.0:
	s_clause 0x1
	s_load_b32 s8, s[0:1], 0x0
	s_load_b64 s[2:3], s[0:1], 0x38
	v_mov_b32_e32 v3, 0
	s_mov_b32 s4, s15
	s_mov_b32 s5, 0
	s_mov_b32 s9, exec_lo
	s_waitcnt lgkmcnt(0)
	v_cmpx_gt_i32_e64 s8, v0
	s_cbranch_execz .LBB460_4
; %bb.1:
	s_clause 0x3
	s_load_b32 s10, s[0:1], 0x40
	s_load_b64 s[6:7], s[0:1], 0x20
	s_load_b32 s16, s[0:1], 0x18
	s_load_b128 s[12:15], s[0:1], 0x8
	v_mov_b32_e32 v3, 0
	s_waitcnt lgkmcnt(0)
	s_lshl_b32 s1, s10, 10
	s_mul_i32 s0, s7, s4
	v_mad_i64_i32 v[1:2], null, s16, v0, 0
	s_mul_hi_u32 s7, s6, s4
	s_mul_i32 s6, s6, s4
	s_add_i32 s7, s7, s0
	s_lshl_b64 s[10:11], s[14:15], 1
	s_lshl_b64 s[6:7], s[6:7], 1
	s_add_u32 s0, s12, s10
	s_delay_alu instid0(VALU_DEP_1)
	v_lshlrev_b64 v[1:2], 1, v[1:2]
	s_addc_u32 s10, s13, s11
	s_add_u32 s0, s0, s6
	s_addc_u32 s6, s10, s7
	v_or_b32_e32 v4, s1, v0
	s_mul_hi_i32 s15, s16, s1
	v_add_co_u32 v1, vcc_lo, s0, v1
	v_add_co_ci_u32_e32 v2, vcc_lo, s6, v2, vcc_lo
	s_mul_i32 s14, s16, s1
	s_mov_b32 s10, s5
	s_lshl_b64 s[6:7], s[14:15], 1
	s_mov_b32 s11, s5
	.p2align	6
.LBB460_2:                              ; =>This Inner Loop Header: Depth=1
	global_load_u16 v5, v[1:2], off
	s_add_i32 s12, s11, 1
	v_cmp_le_i32_e32 vcc_lo, s8, v4
	v_add_co_u32 v1, s0, v1, s6
	s_cmp_gt_u32 s11, 30
	v_add_co_ci_u32_e64 v2, s0, s7, v2, s0
	s_cselect_b32 s0, -1, 0
	v_add_nc_u32_e32 v4, s1, v4
	s_or_b32 s0, s0, vcc_lo
	s_mov_b32 s11, s12
	s_and_b32 s0, exec_lo, s0
	s_delay_alu instid0(SALU_CYCLE_1)
	s_or_b32 s10, s0, s10
	s_waitcnt vmcnt(0)
	v_fma_mix_f32 v3, v5, v5, v3 op_sel_hi:[1,1,0]
	s_and_not1_b32 exec_lo, exec_lo, s10
	s_cbranch_execnz .LBB460_2
; %bb.3:
	s_or_b32 exec_lo, exec_lo, s10
.LBB460_4:
	s_delay_alu instid0(SALU_CYCLE_1) | instskip(SKIP_2) | instid1(VALU_DEP_2)
	s_or_b32 exec_lo, exec_lo, s9
	v_and_b32_e32 v7, 31, v0
	v_cmp_gt_u32_e32 vcc_lo, 32, v0
	v_lshlrev_b32_e32 v1, 2, v7
	s_and_saveexec_b32 s0, vcc_lo
	s_cbranch_execz .LBB460_6
; %bb.5:
	v_mov_b32_e32 v2, 0
	ds_store_b32 v1, v2
.LBB460_6:
	s_or_b32 exec_lo, exec_lo, s0
	v_mbcnt_lo_u32_b32 v6, -1, 0
	s_mov_b32 s1, exec_lo
	s_waitcnt lgkmcnt(0)
	s_barrier
	buffer_gl0_inv
	v_cmp_gt_u32_e64 s0, 16, v6
	s_delay_alu instid0(VALU_DEP_1) | instskip(SKIP_1) | instid1(VALU_DEP_2)
	v_cndmask_b32_e64 v2, 0, 1, s0
	v_cmp_gt_u32_e64 s0, 24, v6
	v_lshlrev_b32_e32 v2, 4, v2
	s_delay_alu instid0(VALU_DEP_2) | instskip(SKIP_1) | instid1(VALU_DEP_3)
	v_cndmask_b32_e64 v4, 0, 1, s0
	v_cmp_gt_u32_e64 s0, 28, v6
	v_add_lshl_u32 v2, v2, v6, 2
	s_delay_alu instid0(VALU_DEP_3)
	v_lshlrev_b32_e32 v4, 3, v4
	ds_bpermute_b32 v5, v2, v3
	v_add_lshl_u32 v4, v4, v6, 2
	s_waitcnt lgkmcnt(0)
	v_add_f32_e32 v5, v3, v5
	v_cndmask_b32_e64 v3, 0, 1, s0
	v_cmp_gt_u32_e64 s0, 30, v6
	ds_bpermute_b32 v8, v4, v5
	s_waitcnt lgkmcnt(0)
	v_dual_add_f32 v8, v5, v8 :: v_dual_lshlrev_b32 v3, 2, v3
	s_delay_alu instid0(VALU_DEP_1) | instskip(SKIP_4) | instid1(VALU_DEP_1)
	v_add_lshl_u32 v3, v3, v6, 2
	v_cndmask_b32_e64 v5, 0, 1, s0
	v_cmp_ne_u32_e64 s0, 31, v6
	ds_bpermute_b32 v9, v3, v8
	v_lshlrev_b32_e32 v5, 1, v5
	v_add_lshl_u32 v5, v5, v6, 2
	v_add_co_ci_u32_e64 v6, s0, 0, v6, s0
	s_delay_alu instid0(VALU_DEP_1)
	v_lshlrev_b32_e32 v6, 2, v6
	s_waitcnt lgkmcnt(0)
	v_add_f32_e32 v8, v8, v9
	ds_bpermute_b32 v9, v5, v8
	s_waitcnt lgkmcnt(0)
	v_add_f32_e32 v8, v8, v9
	ds_bpermute_b32 v9, v6, v8
	v_cmpx_eq_u32_e32 0, v7
	s_cbranch_execz .LBB460_8
; %bb.7:
	v_lshrrev_b32_e32 v7, 3, v0
	s_waitcnt lgkmcnt(0)
	s_delay_alu instid0(VALU_DEP_1)
	v_dual_add_f32 v8, v8, v9 :: v_dual_and_b32 v7, 0x7c, v7
	ds_store_b32 v7, v8
.LBB460_8:
	s_or_b32 exec_lo, exec_lo, s1
	v_mov_b32_e32 v7, 0
	s_waitcnt lgkmcnt(0)
	s_barrier
	buffer_gl0_inv
	s_and_saveexec_b32 s0, vcc_lo
	s_cbranch_execz .LBB460_10
; %bb.9:
	ds_load_b32 v7, v1
.LBB460_10:
	s_or_b32 exec_lo, exec_lo, s0
	s_and_saveexec_b32 s0, vcc_lo
	s_cbranch_execz .LBB460_12
; %bb.11:
	s_waitcnt lgkmcnt(0)
	ds_bpermute_b32 v1, v2, v7
	s_waitcnt lgkmcnt(0)
	v_add_f32_e32 v1, v7, v1
	ds_bpermute_b32 v2, v4, v1
	s_waitcnt lgkmcnt(0)
	v_add_f32_e32 v1, v1, v2
	;; [unrolled: 3-line block ×5, first 2 shown]
.LBB460_12:
	s_or_b32 exec_lo, exec_lo, s0
	s_delay_alu instid0(SALU_CYCLE_1)
	s_mov_b32 s0, exec_lo
	v_cmpx_eq_u32_e32 0, v0
	s_cbranch_execz .LBB460_14
; %bb.13:
	s_waitcnt lgkmcnt(0)
	v_cvt_f16_f32_e32 v0, v7
	s_lshl_b64 s[0:1], s[4:5], 1
	v_mov_b32_e32 v1, 0
	s_add_u32 s0, s2, s0
	s_addc_u32 s1, s3, s1
	global_store_b16 v1, v0, s[0:1]
.LBB460_14:
	s_nop 0
	s_sendmsg sendmsg(MSG_DEALLOC_VGPRS)
	s_endpgm
	.section	.rodata,"a",@progbits
	.p2align	6, 0x0
	.amdhsa_kernel _ZL24rocblas_dot_kernel_magsqIiLb1ELi1024ELi32ELb1EDF16_PKDF16_fEviT5_lT_liPT6_PT4_
		.amdhsa_group_segment_fixed_size 128
		.amdhsa_private_segment_fixed_size 0
		.amdhsa_kernarg_size 320
		.amdhsa_user_sgpr_count 14
		.amdhsa_user_sgpr_dispatch_ptr 0
		.amdhsa_user_sgpr_queue_ptr 0
		.amdhsa_user_sgpr_kernarg_segment_ptr 1
		.amdhsa_user_sgpr_dispatch_id 0
		.amdhsa_user_sgpr_private_segment_size 0
		.amdhsa_wavefront_size32 1
		.amdhsa_uses_dynamic_stack 0
		.amdhsa_enable_private_segment 0
		.amdhsa_system_sgpr_workgroup_id_x 1
		.amdhsa_system_sgpr_workgroup_id_y 0
		.amdhsa_system_sgpr_workgroup_id_z 1
		.amdhsa_system_sgpr_workgroup_info 0
		.amdhsa_system_vgpr_workitem_id 0
		.amdhsa_next_free_vgpr 10
		.amdhsa_next_free_sgpr 17
		.amdhsa_reserve_vcc 1
		.amdhsa_float_round_mode_32 0
		.amdhsa_float_round_mode_16_64 0
		.amdhsa_float_denorm_mode_32 3
		.amdhsa_float_denorm_mode_16_64 3
		.amdhsa_dx10_clamp 1
		.amdhsa_ieee_mode 1
		.amdhsa_fp16_overflow 0
		.amdhsa_workgroup_processor_mode 1
		.amdhsa_memory_ordered 1
		.amdhsa_forward_progress 0
		.amdhsa_shared_vgpr_count 0
		.amdhsa_exception_fp_ieee_invalid_op 0
		.amdhsa_exception_fp_denorm_src 0
		.amdhsa_exception_fp_ieee_div_zero 0
		.amdhsa_exception_fp_ieee_overflow 0
		.amdhsa_exception_fp_ieee_underflow 0
		.amdhsa_exception_fp_ieee_inexact 0
		.amdhsa_exception_int_div_zero 0
	.end_amdhsa_kernel
	.section	.text._ZL24rocblas_dot_kernel_magsqIiLb1ELi1024ELi32ELb1EDF16_PKDF16_fEviT5_lT_liPT6_PT4_,"axG",@progbits,_ZL24rocblas_dot_kernel_magsqIiLb1ELi1024ELi32ELb1EDF16_PKDF16_fEviT5_lT_liPT6_PT4_,comdat
.Lfunc_end460:
	.size	_ZL24rocblas_dot_kernel_magsqIiLb1ELi1024ELi32ELb1EDF16_PKDF16_fEviT5_lT_liPT6_PT4_, .Lfunc_end460-_ZL24rocblas_dot_kernel_magsqIiLb1ELi1024ELi32ELb1EDF16_PKDF16_fEviT5_lT_liPT6_PT4_
                                        ; -- End function
	.section	.AMDGPU.csdata,"",@progbits
; Kernel info:
; codeLenInByte = 820
; NumSgprs: 19
; NumVgprs: 10
; ScratchSize: 0
; MemoryBound: 0
; FloatMode: 240
; IeeeMode: 1
; LDSByteSize: 128 bytes/workgroup (compile time only)
; SGPRBlocks: 2
; VGPRBlocks: 1
; NumSGPRsForWavesPerEU: 19
; NumVGPRsForWavesPerEU: 10
; Occupancy: 16
; WaveLimiterHint : 0
; COMPUTE_PGM_RSRC2:SCRATCH_EN: 0
; COMPUTE_PGM_RSRC2:USER_SGPR: 14
; COMPUTE_PGM_RSRC2:TRAP_HANDLER: 0
; COMPUTE_PGM_RSRC2:TGID_X_EN: 1
; COMPUTE_PGM_RSRC2:TGID_Y_EN: 0
; COMPUTE_PGM_RSRC2:TGID_Z_EN: 1
; COMPUTE_PGM_RSRC2:TIDIG_COMP_CNT: 0
	.section	.text._ZL23rocblas_dot_kernel_inc1ILb0ELi512ELi8ELb1EDF16_PKDF16_fEviT4_llS2_lliPT5_PT3_,"axG",@progbits,_ZL23rocblas_dot_kernel_inc1ILb0ELi512ELi8ELb1EDF16_PKDF16_fEviT4_llS2_lliPT5_PT3_,comdat
	.globl	_ZL23rocblas_dot_kernel_inc1ILb0ELi512ELi8ELb1EDF16_PKDF16_fEviT4_llS2_lliPT5_PT3_ ; -- Begin function _ZL23rocblas_dot_kernel_inc1ILb0ELi512ELi8ELb1EDF16_PKDF16_fEviT4_llS2_lliPT5_PT3_
	.p2align	8
	.type	_ZL23rocblas_dot_kernel_inc1ILb0ELi512ELi8ELb1EDF16_PKDF16_fEviT4_llS2_lliPT5_PT3_,@function
_ZL23rocblas_dot_kernel_inc1ILb0ELi512ELi8ELb1EDF16_PKDF16_fEviT4_llS2_lliPT5_PT3_: ; @_ZL23rocblas_dot_kernel_inc1ILb0ELi512ELi8ELb1EDF16_PKDF16_fEviT4_llS2_lliPT5_PT3_
; %bb.0:
	s_clause 0x2
	s_load_b32 s12, s[0:1], 0x50
	s_load_b32 s13, s[0:1], 0x0
	s_load_b128 s[4:7], s[0:1], 0x40
	v_lshl_or_b32 v1, s14, 9, v0
	v_mov_b32_e32 v4, 0
	s_mov_b32 s2, s15
	s_mov_b32 s3, 0
	s_mov_b32 s15, exec_lo
	s_waitcnt lgkmcnt(0)
	v_cmpx_gt_i32_e64 s13, v1
	s_cbranch_execz .LBB461_4
; %bb.1:
	s_clause 0x3
	s_load_b128 s[8:11], s[0:1], 0x10
	s_load_b128 s[20:23], s[0:1], 0x28
	s_load_b64 s[16:17], s[0:1], 0x8
	s_load_b64 s[18:19], s[0:1], 0x20
	v_ashrrev_i32_e32 v2, 31, v1
	s_delay_alu instid0(VALU_DEP_1)
	v_lshlrev_b64 v[2:3], 1, v[1:2]
	s_waitcnt lgkmcnt(0)
	s_mul_i32 s1, s2, s11
	s_mul_hi_u32 s11, s2, s10
	s_mul_i32 s0, s2, s10
	s_add_i32 s1, s11, s1
	s_mul_i32 s11, s2, s23
	s_lshl_b64 s[0:1], s[0:1], 1
	s_mul_hi_u32 s23, s2, s22
	s_add_u32 s0, s16, s0
	s_addc_u32 s16, s17, s1
	s_lshl_b64 s[8:9], s[8:9], 1
	s_mul_i32 s10, s2, s22
	s_add_u32 s1, s0, s8
	s_addc_u32 s16, s16, s9
	s_add_i32 s11, s23, s11
	s_delay_alu instid0(SALU_CYCLE_1) | instskip(NEXT) | instid1(SALU_CYCLE_1)
	s_lshl_b64 s[8:9], s[10:11], 1
	s_add_u32 s0, s18, s8
	s_addc_u32 s10, s19, s9
	s_lshl_b64 s[8:9], s[20:21], 1
	s_mov_b32 s19, s3
	s_add_u32 s17, s0, s8
	s_addc_u32 s18, s10, s9
	s_lshl_b32 s8, s12, 9
	s_delay_alu instid0(SALU_CYCLE_1) | instskip(SKIP_1) | instid1(SALU_CYCLE_1)
	v_dual_mov_b32 v4, 0 :: v_dual_add_nc_u32 v1, s8, v1
	s_ashr_i32 s9, s8, 31
	s_lshl_b64 s[10:11], s[8:9], 1
	s_mov_b32 s9, s3
	.p2align	6
.LBB461_2:                              ; =>This Inner Loop Header: Depth=1
	v_add_co_u32 v5, vcc_lo, s17, v2
	v_add_co_ci_u32_e32 v6, vcc_lo, s18, v3, vcc_lo
	v_add_co_u32 v7, vcc_lo, s1, v2
	v_add_co_ci_u32_e32 v8, vcc_lo, s16, v3, vcc_lo
	s_add_i32 s20, s19, 1
	global_load_u16 v5, v[5:6], off
	global_load_u16 v6, v[7:8], off
	v_cmp_le_i32_e32 vcc_lo, s13, v1
	v_add_co_u32 v2, s0, v2, s10
	s_cmp_gt_u32 s19, 6
	v_add_co_ci_u32_e64 v3, s0, s11, v3, s0
	s_cselect_b32 s0, -1, 0
	v_add_nc_u32_e32 v1, s8, v1
	s_or_b32 s0, s0, vcc_lo
	s_mov_b32 s19, s20
	s_and_b32 s0, exec_lo, s0
	s_delay_alu instid0(SALU_CYCLE_1)
	s_or_b32 s9, s0, s9
	s_waitcnt vmcnt(0)
	v_fma_mix_f32 v4, v5, v6, v4 op_sel_hi:[1,1,0]
	s_and_not1_b32 exec_lo, exec_lo, s9
	s_cbranch_execnz .LBB461_2
; %bb.3:
	s_or_b32 exec_lo, exec_lo, s9
.LBB461_4:
	s_delay_alu instid0(SALU_CYCLE_1) | instskip(SKIP_2) | instid1(VALU_DEP_2)
	s_or_b32 exec_lo, exec_lo, s15
	v_and_b32_e32 v2, 31, v0
	v_cmp_gt_u32_e32 vcc_lo, 32, v0
	v_lshlrev_b32_e32 v1, 2, v2
	s_and_saveexec_b32 s0, vcc_lo
	s_cbranch_execz .LBB461_6
; %bb.5:
	v_mov_b32_e32 v3, 0
	ds_store_b32 v1, v3
.LBB461_6:
	s_or_b32 exec_lo, exec_lo, s0
	v_mbcnt_lo_u32_b32 v6, -1, 0
	s_mov_b32 s1, exec_lo
	s_waitcnt lgkmcnt(0)
	s_barrier
	buffer_gl0_inv
	v_cmp_gt_u32_e64 s0, 16, v6
	s_delay_alu instid0(VALU_DEP_1) | instskip(SKIP_1) | instid1(VALU_DEP_2)
	v_cndmask_b32_e64 v3, 0, 1, s0
	v_cmp_gt_u32_e64 s0, 24, v6
	v_lshlrev_b32_e32 v3, 4, v3
	s_delay_alu instid0(VALU_DEP_1) | instskip(SKIP_3) | instid1(VALU_DEP_2)
	v_add_lshl_u32 v3, v3, v6, 2
	ds_bpermute_b32 v5, v3, v4
	v_cndmask_b32_e64 v3, 0, 1, s0
	v_cmp_gt_u32_e64 s0, 28, v6
	v_lshlrev_b32_e32 v3, 3, v3
	s_delay_alu instid0(VALU_DEP_1) | instskip(SKIP_4) | instid1(VALU_DEP_2)
	v_add_lshl_u32 v3, v3, v6, 2
	s_waitcnt lgkmcnt(0)
	v_add_f32_e32 v5, v4, v5
	v_cndmask_b32_e64 v4, 0, 1, s0
	v_cmp_gt_u32_e64 s0, 30, v6
	v_lshlrev_b32_e32 v4, 2, v4
	ds_bpermute_b32 v7, v3, v5
	v_add_lshl_u32 v4, v4, v6, 2
	s_waitcnt lgkmcnt(0)
	v_add_f32_e32 v7, v5, v7
	v_cndmask_b32_e64 v5, 0, 1, s0
	v_cmp_ne_u32_e64 s0, 31, v6
	s_delay_alu instid0(VALU_DEP_2) | instskip(NEXT) | instid1(VALU_DEP_1)
	v_lshlrev_b32_e32 v5, 1, v5
	v_add_lshl_u32 v5, v5, v6, 2
	s_delay_alu instid0(VALU_DEP_3) | instskip(NEXT) | instid1(VALU_DEP_1)
	v_add_co_ci_u32_e64 v6, s0, 0, v6, s0
	v_lshlrev_b32_e32 v6, 2, v6
	ds_bpermute_b32 v8, v4, v7
	s_waitcnt lgkmcnt(0)
	v_add_f32_e32 v7, v7, v8
	ds_bpermute_b32 v8, v5, v7
	s_waitcnt lgkmcnt(0)
	v_add_f32_e32 v7, v7, v8
	ds_bpermute_b32 v8, v6, v7
	v_cmpx_eq_u32_e32 0, v2
	s_cbranch_execz .LBB461_8
; %bb.7:
	v_lshrrev_b32_e32 v2, 3, v0
	s_waitcnt lgkmcnt(0)
	s_delay_alu instid0(VALU_DEP_1)
	v_dual_add_f32 v7, v7, v8 :: v_dual_and_b32 v2, 60, v2
	ds_store_b32 v2, v7
.LBB461_8:
	s_or_b32 exec_lo, exec_lo, s1
	v_mov_b32_e32 v2, 0
	s_mov_b32 s1, exec_lo
	s_waitcnt lgkmcnt(0)
	s_barrier
	buffer_gl0_inv
	v_cmpx_gt_u32_e32 16, v0
	s_cbranch_execz .LBB461_10
; %bb.9:
	ds_load_b32 v2, v1
.LBB461_10:
	s_or_b32 exec_lo, exec_lo, s1
	s_and_saveexec_b32 s0, vcc_lo
	s_cbranch_execz .LBB461_12
; %bb.11:
	s_waitcnt lgkmcnt(0)
	ds_bpermute_b32 v1, v3, v2
	s_waitcnt lgkmcnt(0)
	v_add_f32_e32 v1, v2, v1
	ds_bpermute_b32 v2, v4, v1
	s_waitcnt lgkmcnt(0)
	v_add_f32_e32 v1, v1, v2
	;; [unrolled: 3-line block ×4, first 2 shown]
.LBB461_12:
	s_or_b32 exec_lo, exec_lo, s0
	s_delay_alu instid0(SALU_CYCLE_1)
	s_mov_b32 s0, exec_lo
	v_cmpx_eq_u32_e32 0, v0
	s_cbranch_execz .LBB461_17
; %bb.13:
	s_cmp_lg_u32 s12, 1
	s_mov_b32 s15, -1
	s_cbranch_scc0 .LBB461_15
; %bb.14:
	s_mul_hi_u32 s1, s12, s2
	s_mul_i32 s0, s12, s2
	s_mov_b32 s15, 0
	s_lshl_b64 s[0:1], s[0:1], 2
	v_mov_b32_e32 v0, 0
	s_add_u32 s4, s4, s0
	s_addc_u32 s5, s5, s1
	s_lshl_b64 s[0:1], s[14:15], 2
	s_delay_alu instid0(SALU_CYCLE_1)
	s_add_u32 s0, s4, s0
	s_addc_u32 s1, s5, s1
	s_waitcnt lgkmcnt(0)
	global_store_b32 v0, v2, s[0:1]
.LBB461_15:
	s_and_not1_b32 vcc_lo, exec_lo, s15
	s_cbranch_vccnz .LBB461_17
; %bb.16:
	s_waitcnt lgkmcnt(0)
	v_cvt_f16_f32_e32 v0, v2
	s_lshl_b64 s[0:1], s[2:3], 1
	v_mov_b32_e32 v1, 0
	s_add_u32 s0, s6, s0
	s_addc_u32 s1, s7, s1
	global_store_b16 v1, v0, s[0:1]
.LBB461_17:
	s_nop 0
	s_sendmsg sendmsg(MSG_DEALLOC_VGPRS)
	s_endpgm
	.section	.rodata,"a",@progbits
	.p2align	6, 0x0
	.amdhsa_kernel _ZL23rocblas_dot_kernel_inc1ILb0ELi512ELi8ELb1EDF16_PKDF16_fEviT4_llS2_lliPT5_PT3_
		.amdhsa_group_segment_fixed_size 128
		.amdhsa_private_segment_fixed_size 0
		.amdhsa_kernarg_size 336
		.amdhsa_user_sgpr_count 14
		.amdhsa_user_sgpr_dispatch_ptr 0
		.amdhsa_user_sgpr_queue_ptr 0
		.amdhsa_user_sgpr_kernarg_segment_ptr 1
		.amdhsa_user_sgpr_dispatch_id 0
		.amdhsa_user_sgpr_private_segment_size 0
		.amdhsa_wavefront_size32 1
		.amdhsa_uses_dynamic_stack 0
		.amdhsa_enable_private_segment 0
		.amdhsa_system_sgpr_workgroup_id_x 1
		.amdhsa_system_sgpr_workgroup_id_y 0
		.amdhsa_system_sgpr_workgroup_id_z 1
		.amdhsa_system_sgpr_workgroup_info 0
		.amdhsa_system_vgpr_workitem_id 0
		.amdhsa_next_free_vgpr 9
		.amdhsa_next_free_sgpr 24
		.amdhsa_reserve_vcc 1
		.amdhsa_float_round_mode_32 0
		.amdhsa_float_round_mode_16_64 0
		.amdhsa_float_denorm_mode_32 3
		.amdhsa_float_denorm_mode_16_64 3
		.amdhsa_dx10_clamp 1
		.amdhsa_ieee_mode 1
		.amdhsa_fp16_overflow 0
		.amdhsa_workgroup_processor_mode 1
		.amdhsa_memory_ordered 1
		.amdhsa_forward_progress 0
		.amdhsa_shared_vgpr_count 0
		.amdhsa_exception_fp_ieee_invalid_op 0
		.amdhsa_exception_fp_denorm_src 0
		.amdhsa_exception_fp_ieee_div_zero 0
		.amdhsa_exception_fp_ieee_overflow 0
		.amdhsa_exception_fp_ieee_underflow 0
		.amdhsa_exception_fp_ieee_inexact 0
		.amdhsa_exception_int_div_zero 0
	.end_amdhsa_kernel
	.section	.text._ZL23rocblas_dot_kernel_inc1ILb0ELi512ELi8ELb1EDF16_PKDF16_fEviT4_llS2_lliPT5_PT3_,"axG",@progbits,_ZL23rocblas_dot_kernel_inc1ILb0ELi512ELi8ELb1EDF16_PKDF16_fEviT4_llS2_lliPT5_PT3_,comdat
.Lfunc_end461:
	.size	_ZL23rocblas_dot_kernel_inc1ILb0ELi512ELi8ELb1EDF16_PKDF16_fEviT4_llS2_lliPT5_PT3_, .Lfunc_end461-_ZL23rocblas_dot_kernel_inc1ILb0ELi512ELi8ELb1EDF16_PKDF16_fEviT4_llS2_lliPT5_PT3_
                                        ; -- End function
	.section	.AMDGPU.csdata,"",@progbits
; Kernel info:
; codeLenInByte = 956
; NumSgprs: 26
; NumVgprs: 9
; ScratchSize: 0
; MemoryBound: 0
; FloatMode: 240
; IeeeMode: 1
; LDSByteSize: 128 bytes/workgroup (compile time only)
; SGPRBlocks: 3
; VGPRBlocks: 1
; NumSGPRsForWavesPerEU: 26
; NumVGPRsForWavesPerEU: 9
; Occupancy: 16
; WaveLimiterHint : 0
; COMPUTE_PGM_RSRC2:SCRATCH_EN: 0
; COMPUTE_PGM_RSRC2:USER_SGPR: 14
; COMPUTE_PGM_RSRC2:TRAP_HANDLER: 0
; COMPUTE_PGM_RSRC2:TGID_X_EN: 1
; COMPUTE_PGM_RSRC2:TGID_Y_EN: 0
; COMPUTE_PGM_RSRC2:TGID_Z_EN: 1
; COMPUTE_PGM_RSRC2:TIDIG_COMP_CNT: 0
	.section	.text._ZL18rocblas_dot_kernelIiLb0ELi512ELi8ELb1EDF16_PKDF16_fEviT5_lT_lS2_lS3_liPT6_PT4_,"axG",@progbits,_ZL18rocblas_dot_kernelIiLb0ELi512ELi8ELb1EDF16_PKDF16_fEviT5_lT_lS2_lS3_liPT6_PT4_,comdat
	.globl	_ZL18rocblas_dot_kernelIiLb0ELi512ELi8ELb1EDF16_PKDF16_fEviT5_lT_lS2_lS3_liPT6_PT4_ ; -- Begin function _ZL18rocblas_dot_kernelIiLb0ELi512ELi8ELb1EDF16_PKDF16_fEviT5_lT_lS2_lS3_liPT6_PT4_
	.p2align	8
	.type	_ZL18rocblas_dot_kernelIiLb0ELi512ELi8ELb1EDF16_PKDF16_fEviT5_lT_lS2_lS3_liPT6_PT4_,@function
_ZL18rocblas_dot_kernelIiLb0ELi512ELi8ELb1EDF16_PKDF16_fEviT5_lT_lS2_lS3_liPT6_PT4_: ; @_ZL18rocblas_dot_kernelIiLb0ELi512ELi8ELb1EDF16_PKDF16_fEviT5_lT_lS2_lS3_liPT6_PT4_
; %bb.0:
	s_clause 0x2
	s_load_b32 s12, s[0:1], 0x60
	s_load_b32 s13, s[0:1], 0x0
	s_load_b128 s[4:7], s[0:1], 0x50
	v_lshl_or_b32 v1, s14, 9, v0
	v_mov_b32_e32 v6, 0
	s_mov_b32 s2, s15
	s_mov_b32 s3, 0
	s_mov_b32 s15, exec_lo
	s_waitcnt lgkmcnt(0)
	v_cmpx_gt_i32_e64 s13, v1
	s_cbranch_execz .LBB462_4
; %bb.1:
	s_clause 0x5
	s_load_b32 s17, s[0:1], 0x18
	s_load_b128 s[8:11], s[0:1], 0x20
	s_load_b128 s[20:23], s[0:1], 0x8
	s_load_b32 s26, s[0:1], 0x38
	s_load_b64 s[18:19], s[0:1], 0x40
	s_load_b64 s[0:1], s[0:1], 0x30
	s_lshl_b32 s16, s12, 9
	s_delay_alu instid0(SALU_CYCLE_1)
	v_add_nc_u32_e32 v5, s16, v1
	s_waitcnt lgkmcnt(0)
	v_mad_i64_i32 v[2:3], null, s17, v1, 0
	s_mul_i32 s9, s9, s2
	s_mul_hi_u32 s27, s8, s2
	v_mad_i64_i32 v[6:7], null, s26, v1, 0
	s_mul_i32 s8, s8, s2
	s_add_i32 s9, s27, s9
	s_lshl_b64 s[22:23], s[22:23], 1
	s_lshl_b64 s[8:9], s[8:9], 1
	s_add_u32 s20, s20, s22
	s_mul_hi_i32 s25, s17, s16
	s_mul_i32 s24, s17, s16
	s_mul_i32 s17, s19, s2
	s_mul_hi_u32 s19, s18, s2
	s_addc_u32 s21, s21, s23
	v_lshlrev_b64 v[1:2], 1, v[2:3]
	s_add_u32 s20, s20, s8
	s_mul_i32 s18, s18, s2
	s_addc_u32 s21, s21, s9
	s_add_i32 s19, s19, s17
	v_lshlrev_b64 v[3:4], 1, v[6:7]
	v_mov_b32_e32 v6, 0
	s_lshl_b64 s[0:1], s[0:1], 1
	s_lshl_b64 s[8:9], s[24:25], 1
	;; [unrolled: 1-line block ×3, first 2 shown]
	s_add_u32 s0, s10, s0
	v_add_co_u32 v1, vcc_lo, s20, v1
	s_addc_u32 s1, s11, s1
	s_add_u32 s0, s0, s18
	v_add_co_ci_u32_e32 v2, vcc_lo, s21, v2, vcc_lo
	s_addc_u32 s1, s1, s19
	v_add_co_u32 v3, vcc_lo, s0, v3
	v_add_co_ci_u32_e32 v4, vcc_lo, s1, v4, vcc_lo
	s_mul_hi_i32 s1, s26, s16
	s_mul_i32 s0, s26, s16
	s_mov_b32 s17, s3
	s_lshl_b64 s[10:11], s[0:1], 1
	s_mov_b32 s1, s3
	.p2align	6
.LBB462_2:                              ; =>This Inner Loop Header: Depth=1
	global_load_u16 v7, v[3:4], off
	global_load_u16 v8, v[1:2], off
	v_add_co_u32 v1, s0, v1, s8
	s_delay_alu instid0(VALU_DEP_1)
	v_add_co_ci_u32_e64 v2, s0, s9, v2, s0
	s_add_i32 s18, s17, 1
	v_cmp_le_i32_e32 vcc_lo, s13, v5
	v_add_co_u32 v3, s0, v3, s10
	s_cmp_gt_u32 s17, 6
	v_add_co_ci_u32_e64 v4, s0, s11, v4, s0
	s_cselect_b32 s0, -1, 0
	v_add_nc_u32_e32 v5, s16, v5
	s_or_b32 s0, s0, vcc_lo
	s_mov_b32 s17, s18
	s_and_b32 s0, exec_lo, s0
	s_delay_alu instid0(SALU_CYCLE_1)
	s_or_b32 s1, s0, s1
	s_waitcnt vmcnt(0)
	v_fma_mix_f32 v6, v7, v8, v6 op_sel_hi:[1,1,0]
	s_and_not1_b32 exec_lo, exec_lo, s1
	s_cbranch_execnz .LBB462_2
; %bb.3:
	s_or_b32 exec_lo, exec_lo, s1
.LBB462_4:
	s_delay_alu instid0(SALU_CYCLE_1) | instskip(SKIP_2) | instid1(VALU_DEP_2)
	s_or_b32 exec_lo, exec_lo, s15
	v_and_b32_e32 v2, 31, v0
	v_cmp_gt_u32_e32 vcc_lo, 32, v0
	v_lshlrev_b32_e32 v1, 2, v2
	s_and_saveexec_b32 s0, vcc_lo
	s_cbranch_execz .LBB462_6
; %bb.5:
	v_mov_b32_e32 v3, 0
	ds_store_b32 v1, v3
.LBB462_6:
	s_or_b32 exec_lo, exec_lo, s0
	v_mbcnt_lo_u32_b32 v7, -1, 0
	s_mov_b32 s1, exec_lo
	s_waitcnt lgkmcnt(0)
	s_barrier
	buffer_gl0_inv
	v_cmp_gt_u32_e64 s0, 16, v7
	s_delay_alu instid0(VALU_DEP_1) | instskip(SKIP_1) | instid1(VALU_DEP_2)
	v_cndmask_b32_e64 v3, 0, 1, s0
	v_cmp_gt_u32_e64 s0, 24, v7
	v_lshlrev_b32_e32 v3, 4, v3
	s_delay_alu instid0(VALU_DEP_1) | instskip(SKIP_3) | instid1(VALU_DEP_2)
	v_add_lshl_u32 v3, v3, v7, 2
	ds_bpermute_b32 v4, v3, v6
	v_cndmask_b32_e64 v3, 0, 1, s0
	v_cmp_gt_u32_e64 s0, 28, v7
	v_lshlrev_b32_e32 v3, 3, v3
	s_delay_alu instid0(VALU_DEP_1)
	v_add_lshl_u32 v3, v3, v7, 2
	s_waitcnt lgkmcnt(0)
	v_add_f32_e32 v5, v6, v4
	v_cndmask_b32_e64 v4, 0, 1, s0
	v_cmp_gt_u32_e64 s0, 30, v7
	ds_bpermute_b32 v6, v3, v5
	v_lshlrev_b32_e32 v4, 2, v4
	s_delay_alu instid0(VALU_DEP_1)
	v_add_lshl_u32 v4, v4, v7, 2
	s_waitcnt lgkmcnt(0)
	v_add_f32_e32 v6, v5, v6
	v_cndmask_b32_e64 v5, 0, 1, s0
	v_cmp_ne_u32_e64 s0, 31, v7
	ds_bpermute_b32 v8, v4, v6
	v_lshlrev_b32_e32 v5, 1, v5
	v_add_co_ci_u32_e64 v9, s0, 0, v7, s0
	s_delay_alu instid0(VALU_DEP_2)
	v_add_lshl_u32 v5, v5, v7, 2
	s_waitcnt lgkmcnt(0)
	v_add_f32_e32 v6, v6, v8
	ds_bpermute_b32 v8, v5, v6
	s_waitcnt lgkmcnt(0)
	v_dual_add_f32 v7, v6, v8 :: v_dual_lshlrev_b32 v6, 2, v9
	ds_bpermute_b32 v8, v6, v7
	v_cmpx_eq_u32_e32 0, v2
	s_cbranch_execz .LBB462_8
; %bb.7:
	v_lshrrev_b32_e32 v2, 3, v0
	s_waitcnt lgkmcnt(0)
	s_delay_alu instid0(VALU_DEP_1)
	v_dual_add_f32 v7, v7, v8 :: v_dual_and_b32 v2, 60, v2
	ds_store_b32 v2, v7
.LBB462_8:
	s_or_b32 exec_lo, exec_lo, s1
	v_mov_b32_e32 v2, 0
	s_mov_b32 s1, exec_lo
	s_waitcnt lgkmcnt(0)
	s_barrier
	buffer_gl0_inv
	v_cmpx_gt_u32_e32 16, v0
	s_cbranch_execz .LBB462_10
; %bb.9:
	ds_load_b32 v2, v1
.LBB462_10:
	s_or_b32 exec_lo, exec_lo, s1
	s_and_saveexec_b32 s0, vcc_lo
	s_cbranch_execz .LBB462_12
; %bb.11:
	s_waitcnt lgkmcnt(0)
	ds_bpermute_b32 v1, v3, v2
	s_waitcnt lgkmcnt(0)
	v_add_f32_e32 v1, v2, v1
	ds_bpermute_b32 v2, v4, v1
	s_waitcnt lgkmcnt(0)
	v_add_f32_e32 v1, v1, v2
	;; [unrolled: 3-line block ×4, first 2 shown]
.LBB462_12:
	s_or_b32 exec_lo, exec_lo, s0
	s_delay_alu instid0(SALU_CYCLE_1)
	s_mov_b32 s0, exec_lo
	v_cmpx_eq_u32_e32 0, v0
	s_cbranch_execz .LBB462_17
; %bb.13:
	s_cmp_lg_u32 s12, 1
	s_mov_b32 s15, -1
	s_cbranch_scc0 .LBB462_15
; %bb.14:
	s_mul_hi_u32 s1, s12, s2
	s_mul_i32 s0, s12, s2
	s_mov_b32 s15, 0
	s_lshl_b64 s[0:1], s[0:1], 2
	v_mov_b32_e32 v0, 0
	s_add_u32 s4, s4, s0
	s_addc_u32 s5, s5, s1
	s_lshl_b64 s[0:1], s[14:15], 2
	s_delay_alu instid0(SALU_CYCLE_1)
	s_add_u32 s0, s4, s0
	s_addc_u32 s1, s5, s1
	s_waitcnt lgkmcnt(0)
	global_store_b32 v0, v2, s[0:1]
.LBB462_15:
	s_and_not1_b32 vcc_lo, exec_lo, s15
	s_cbranch_vccnz .LBB462_17
; %bb.16:
	s_waitcnt lgkmcnt(0)
	v_cvt_f16_f32_e32 v0, v2
	s_lshl_b64 s[0:1], s[2:3], 1
	v_mov_b32_e32 v1, 0
	s_add_u32 s0, s6, s0
	s_addc_u32 s1, s7, s1
	global_store_b16 v1, v0, s[0:1]
.LBB462_17:
	s_nop 0
	s_sendmsg sendmsg(MSG_DEALLOC_VGPRS)
	s_endpgm
	.section	.rodata,"a",@progbits
	.p2align	6, 0x0
	.amdhsa_kernel _ZL18rocblas_dot_kernelIiLb0ELi512ELi8ELb1EDF16_PKDF16_fEviT5_lT_lS2_lS3_liPT6_PT4_
		.amdhsa_group_segment_fixed_size 128
		.amdhsa_private_segment_fixed_size 0
		.amdhsa_kernarg_size 352
		.amdhsa_user_sgpr_count 14
		.amdhsa_user_sgpr_dispatch_ptr 0
		.amdhsa_user_sgpr_queue_ptr 0
		.amdhsa_user_sgpr_kernarg_segment_ptr 1
		.amdhsa_user_sgpr_dispatch_id 0
		.amdhsa_user_sgpr_private_segment_size 0
		.amdhsa_wavefront_size32 1
		.amdhsa_uses_dynamic_stack 0
		.amdhsa_enable_private_segment 0
		.amdhsa_system_sgpr_workgroup_id_x 1
		.amdhsa_system_sgpr_workgroup_id_y 0
		.amdhsa_system_sgpr_workgroup_id_z 1
		.amdhsa_system_sgpr_workgroup_info 0
		.amdhsa_system_vgpr_workitem_id 0
		.amdhsa_next_free_vgpr 10
		.amdhsa_next_free_sgpr 28
		.amdhsa_reserve_vcc 1
		.amdhsa_float_round_mode_32 0
		.amdhsa_float_round_mode_16_64 0
		.amdhsa_float_denorm_mode_32 3
		.amdhsa_float_denorm_mode_16_64 3
		.amdhsa_dx10_clamp 1
		.amdhsa_ieee_mode 1
		.amdhsa_fp16_overflow 0
		.amdhsa_workgroup_processor_mode 1
		.amdhsa_memory_ordered 1
		.amdhsa_forward_progress 0
		.amdhsa_shared_vgpr_count 0
		.amdhsa_exception_fp_ieee_invalid_op 0
		.amdhsa_exception_fp_denorm_src 0
		.amdhsa_exception_fp_ieee_div_zero 0
		.amdhsa_exception_fp_ieee_overflow 0
		.amdhsa_exception_fp_ieee_underflow 0
		.amdhsa_exception_fp_ieee_inexact 0
		.amdhsa_exception_int_div_zero 0
	.end_amdhsa_kernel
	.section	.text._ZL18rocblas_dot_kernelIiLb0ELi512ELi8ELb1EDF16_PKDF16_fEviT5_lT_lS2_lS3_liPT6_PT4_,"axG",@progbits,_ZL18rocblas_dot_kernelIiLb0ELi512ELi8ELb1EDF16_PKDF16_fEviT5_lT_lS2_lS3_liPT6_PT4_,comdat
.Lfunc_end462:
	.size	_ZL18rocblas_dot_kernelIiLb0ELi512ELi8ELb1EDF16_PKDF16_fEviT5_lT_lS2_lS3_liPT6_PT4_, .Lfunc_end462-_ZL18rocblas_dot_kernelIiLb0ELi512ELi8ELb1EDF16_PKDF16_fEviT5_lT_lS2_lS3_liPT6_PT4_
                                        ; -- End function
	.section	.AMDGPU.csdata,"",@progbits
; Kernel info:
; codeLenInByte = 1020
; NumSgprs: 30
; NumVgprs: 10
; ScratchSize: 0
; MemoryBound: 0
; FloatMode: 240
; IeeeMode: 1
; LDSByteSize: 128 bytes/workgroup (compile time only)
; SGPRBlocks: 3
; VGPRBlocks: 1
; NumSGPRsForWavesPerEU: 30
; NumVGPRsForWavesPerEU: 10
; Occupancy: 16
; WaveLimiterHint : 0
; COMPUTE_PGM_RSRC2:SCRATCH_EN: 0
; COMPUTE_PGM_RSRC2:USER_SGPR: 14
; COMPUTE_PGM_RSRC2:TRAP_HANDLER: 0
; COMPUTE_PGM_RSRC2:TGID_X_EN: 1
; COMPUTE_PGM_RSRC2:TGID_Y_EN: 0
; COMPUTE_PGM_RSRC2:TGID_Z_EN: 1
; COMPUTE_PGM_RSRC2:TIDIG_COMP_CNT: 0
	.section	.text._ZL24rocblas_dot_kernel_magsqIiLb0ELi512ELi8ELb1EDF16_PKDF16_fEviT5_lT_liPT6_PT4_,"axG",@progbits,_ZL24rocblas_dot_kernel_magsqIiLb0ELi512ELi8ELb1EDF16_PKDF16_fEviT5_lT_liPT6_PT4_,comdat
	.globl	_ZL24rocblas_dot_kernel_magsqIiLb0ELi512ELi8ELb1EDF16_PKDF16_fEviT5_lT_liPT6_PT4_ ; -- Begin function _ZL24rocblas_dot_kernel_magsqIiLb0ELi512ELi8ELb1EDF16_PKDF16_fEviT5_lT_liPT6_PT4_
	.p2align	8
	.type	_ZL24rocblas_dot_kernel_magsqIiLb0ELi512ELi8ELb1EDF16_PKDF16_fEviT5_lT_liPT6_PT4_,@function
_ZL24rocblas_dot_kernel_magsqIiLb0ELi512ELi8ELb1EDF16_PKDF16_fEviT5_lT_liPT6_PT4_: ; @_ZL24rocblas_dot_kernel_magsqIiLb0ELi512ELi8ELb1EDF16_PKDF16_fEviT5_lT_liPT6_PT4_
; %bb.0:
	s_clause 0x2
	s_load_b32 s11, s[0:1], 0x0
	s_load_b128 s[4:7], s[0:1], 0x30
	s_load_b32 s10, s[0:1], 0x40
	v_lshl_or_b32 v1, s14, 9, v0
	v_mov_b32_e32 v3, 0
	s_mov_b32 s2, s15
	s_mov_b32 s3, 0
	s_mov_b32 s12, exec_lo
	s_waitcnt lgkmcnt(0)
	v_cmpx_gt_i32_e64 s11, v1
	s_cbranch_execz .LBB463_4
; %bb.1:
	s_clause 0x2
	s_load_b32 s13, s[0:1], 0x18
	s_load_b64 s[8:9], s[0:1], 0x20
	s_load_b128 s[16:19], s[0:1], 0x8
	s_lshl_b32 s1, s10, 9
	s_mov_b32 s15, s3
	v_add_nc_u32_e32 v4, s1, v1
	s_waitcnt lgkmcnt(0)
	v_mad_i64_i32 v[2:3], null, s13, v1, 0
	s_mul_i32 s0, s9, s2
	s_mul_hi_u32 s9, s8, s2
	s_mul_i32 s8, s8, s2
	s_add_i32 s9, s9, s0
	s_lshl_b64 s[18:19], s[18:19], 1
	s_lshl_b64 s[8:9], s[8:9], 1
	s_delay_alu instid0(VALU_DEP_1)
	v_lshlrev_b64 v[1:2], 1, v[2:3]
	v_mov_b32_e32 v3, 0
	s_add_u32 s0, s16, s18
	s_mul_hi_i32 s21, s13, s1
	s_mul_i32 s20, s13, s1
	s_addc_u32 s13, s17, s19
	s_add_u32 s0, s0, s8
	s_addc_u32 s8, s13, s9
	v_add_co_u32 v1, vcc_lo, s0, v1
	v_add_co_ci_u32_e32 v2, vcc_lo, s8, v2, vcc_lo
	s_lshl_b64 s[8:9], s[20:21], 1
	s_mov_b32 s13, s3
	.p2align	6
.LBB463_2:                              ; =>This Inner Loop Header: Depth=1
	global_load_u16 v5, v[1:2], off
	s_add_i32 s16, s15, 1
	v_cmp_le_i32_e32 vcc_lo, s11, v4
	v_add_co_u32 v1, s0, v1, s8
	s_cmp_gt_u32 s15, 6
	v_add_co_ci_u32_e64 v2, s0, s9, v2, s0
	s_cselect_b32 s0, -1, 0
	v_add_nc_u32_e32 v4, s1, v4
	s_or_b32 s0, s0, vcc_lo
	s_mov_b32 s15, s16
	s_and_b32 s0, exec_lo, s0
	s_delay_alu instid0(SALU_CYCLE_1)
	s_or_b32 s13, s0, s13
	s_waitcnt vmcnt(0)
	v_fma_mix_f32 v3, v5, v5, v3 op_sel_hi:[1,1,0]
	s_and_not1_b32 exec_lo, exec_lo, s13
	s_cbranch_execnz .LBB463_2
; %bb.3:
	s_or_b32 exec_lo, exec_lo, s13
.LBB463_4:
	s_delay_alu instid0(SALU_CYCLE_1) | instskip(SKIP_2) | instid1(VALU_DEP_2)
	s_or_b32 exec_lo, exec_lo, s12
	v_and_b32_e32 v2, 31, v0
	v_cmp_gt_u32_e32 vcc_lo, 32, v0
	v_lshlrev_b32_e32 v1, 2, v2
	s_and_saveexec_b32 s0, vcc_lo
	s_cbranch_execz .LBB463_6
; %bb.5:
	v_mov_b32_e32 v4, 0
	ds_store_b32 v1, v4
.LBB463_6:
	s_or_b32 exec_lo, exec_lo, s0
	v_mbcnt_lo_u32_b32 v6, -1, 0
	s_mov_b32 s1, exec_lo
	s_waitcnt lgkmcnt(0)
	s_barrier
	buffer_gl0_inv
	v_cmp_gt_u32_e64 s0, 16, v6
	s_delay_alu instid0(VALU_DEP_1) | instskip(SKIP_1) | instid1(VALU_DEP_2)
	v_cndmask_b32_e64 v4, 0, 1, s0
	v_cmp_gt_u32_e64 s0, 24, v6
	v_lshlrev_b32_e32 v4, 4, v4
	s_delay_alu instid0(VALU_DEP_1) | instskip(SKIP_4) | instid1(VALU_DEP_2)
	v_add_lshl_u32 v4, v4, v6, 2
	ds_bpermute_b32 v5, v4, v3
	v_cndmask_b32_e64 v4, 0, 1, s0
	v_cmp_gt_u32_e64 s0, 28, v6
	s_waitcnt lgkmcnt(0)
	v_dual_add_f32 v5, v3, v5 :: v_dual_lshlrev_b32 v4, 3, v4
	s_delay_alu instid0(VALU_DEP_2) | instskip(SKIP_1) | instid1(VALU_DEP_3)
	v_cndmask_b32_e64 v3, 0, 1, s0
	v_cmp_gt_u32_e64 s0, 30, v6
	v_add_lshl_u32 v4, v4, v6, 2
	s_delay_alu instid0(VALU_DEP_3)
	v_lshlrev_b32_e32 v3, 2, v3
	ds_bpermute_b32 v7, v4, v5
	v_add_lshl_u32 v3, v3, v6, 2
	s_waitcnt lgkmcnt(0)
	v_add_f32_e32 v7, v5, v7
	v_cndmask_b32_e64 v5, 0, 1, s0
	v_cmp_ne_u32_e64 s0, 31, v6
	ds_bpermute_b32 v8, v3, v7
	v_lshlrev_b32_e32 v5, 1, v5
	s_delay_alu instid0(VALU_DEP_1) | instskip(SKIP_2) | instid1(VALU_DEP_1)
	v_add_lshl_u32 v5, v5, v6, 2
	v_add_co_ci_u32_e64 v6, s0, 0, v6, s0
	s_waitcnt lgkmcnt(0)
	v_dual_add_f32 v7, v7, v8 :: v_dual_lshlrev_b32 v6, 2, v6
	ds_bpermute_b32 v8, v5, v7
	s_waitcnt lgkmcnt(0)
	v_add_f32_e32 v7, v7, v8
	ds_bpermute_b32 v8, v6, v7
	v_cmpx_eq_u32_e32 0, v2
	s_cbranch_execz .LBB463_8
; %bb.7:
	v_lshrrev_b32_e32 v2, 3, v0
	s_waitcnt lgkmcnt(0)
	s_delay_alu instid0(VALU_DEP_1)
	v_dual_add_f32 v7, v7, v8 :: v_dual_and_b32 v2, 60, v2
	ds_store_b32 v2, v7
.LBB463_8:
	s_or_b32 exec_lo, exec_lo, s1
	v_mov_b32_e32 v2, 0
	s_mov_b32 s1, exec_lo
	s_waitcnt lgkmcnt(0)
	s_barrier
	buffer_gl0_inv
	v_cmpx_gt_u32_e32 16, v0
	s_cbranch_execz .LBB463_10
; %bb.9:
	ds_load_b32 v2, v1
.LBB463_10:
	s_or_b32 exec_lo, exec_lo, s1
	s_and_saveexec_b32 s0, vcc_lo
	s_cbranch_execz .LBB463_12
; %bb.11:
	s_waitcnt lgkmcnt(0)
	ds_bpermute_b32 v1, v4, v2
	s_waitcnt lgkmcnt(0)
	v_add_f32_e32 v1, v2, v1
	ds_bpermute_b32 v2, v3, v1
	s_waitcnt lgkmcnt(0)
	v_add_f32_e32 v1, v1, v2
	;; [unrolled: 3-line block ×4, first 2 shown]
.LBB463_12:
	s_or_b32 exec_lo, exec_lo, s0
	s_delay_alu instid0(SALU_CYCLE_1)
	s_mov_b32 s0, exec_lo
	v_cmpx_eq_u32_e32 0, v0
	s_cbranch_execz .LBB463_17
; %bb.13:
	s_cmp_lg_u32 s10, 1
	s_mov_b32 s15, -1
	s_cbranch_scc0 .LBB463_15
; %bb.14:
	s_mul_hi_u32 s1, s10, s2
	s_mul_i32 s0, s10, s2
	s_mov_b32 s15, 0
	s_lshl_b64 s[0:1], s[0:1], 2
	v_mov_b32_e32 v0, 0
	s_add_u32 s4, s4, s0
	s_addc_u32 s5, s5, s1
	s_lshl_b64 s[0:1], s[14:15], 2
	s_delay_alu instid0(SALU_CYCLE_1)
	s_add_u32 s0, s4, s0
	s_addc_u32 s1, s5, s1
	s_waitcnt lgkmcnt(0)
	global_store_b32 v0, v2, s[0:1]
.LBB463_15:
	s_and_not1_b32 vcc_lo, exec_lo, s15
	s_cbranch_vccnz .LBB463_17
; %bb.16:
	s_waitcnt lgkmcnt(0)
	v_cvt_f16_f32_e32 v0, v2
	s_lshl_b64 s[0:1], s[2:3], 1
	v_mov_b32_e32 v1, 0
	s_add_u32 s0, s6, s0
	s_addc_u32 s1, s7, s1
	global_store_b16 v1, v0, s[0:1]
.LBB463_17:
	s_nop 0
	s_sendmsg sendmsg(MSG_DEALLOC_VGPRS)
	s_endpgm
	.section	.rodata,"a",@progbits
	.p2align	6, 0x0
	.amdhsa_kernel _ZL24rocblas_dot_kernel_magsqIiLb0ELi512ELi8ELb1EDF16_PKDF16_fEviT5_lT_liPT6_PT4_
		.amdhsa_group_segment_fixed_size 128
		.amdhsa_private_segment_fixed_size 0
		.amdhsa_kernarg_size 320
		.amdhsa_user_sgpr_count 14
		.amdhsa_user_sgpr_dispatch_ptr 0
		.amdhsa_user_sgpr_queue_ptr 0
		.amdhsa_user_sgpr_kernarg_segment_ptr 1
		.amdhsa_user_sgpr_dispatch_id 0
		.amdhsa_user_sgpr_private_segment_size 0
		.amdhsa_wavefront_size32 1
		.amdhsa_uses_dynamic_stack 0
		.amdhsa_enable_private_segment 0
		.amdhsa_system_sgpr_workgroup_id_x 1
		.amdhsa_system_sgpr_workgroup_id_y 0
		.amdhsa_system_sgpr_workgroup_id_z 1
		.amdhsa_system_sgpr_workgroup_info 0
		.amdhsa_system_vgpr_workitem_id 0
		.amdhsa_next_free_vgpr 9
		.amdhsa_next_free_sgpr 22
		.amdhsa_reserve_vcc 1
		.amdhsa_float_round_mode_32 0
		.amdhsa_float_round_mode_16_64 0
		.amdhsa_float_denorm_mode_32 3
		.amdhsa_float_denorm_mode_16_64 3
		.amdhsa_dx10_clamp 1
		.amdhsa_ieee_mode 1
		.amdhsa_fp16_overflow 0
		.amdhsa_workgroup_processor_mode 1
		.amdhsa_memory_ordered 1
		.amdhsa_forward_progress 0
		.amdhsa_shared_vgpr_count 0
		.amdhsa_exception_fp_ieee_invalid_op 0
		.amdhsa_exception_fp_denorm_src 0
		.amdhsa_exception_fp_ieee_div_zero 0
		.amdhsa_exception_fp_ieee_overflow 0
		.amdhsa_exception_fp_ieee_underflow 0
		.amdhsa_exception_fp_ieee_inexact 0
		.amdhsa_exception_int_div_zero 0
	.end_amdhsa_kernel
	.section	.text._ZL24rocblas_dot_kernel_magsqIiLb0ELi512ELi8ELb1EDF16_PKDF16_fEviT5_lT_liPT6_PT4_,"axG",@progbits,_ZL24rocblas_dot_kernel_magsqIiLb0ELi512ELi8ELb1EDF16_PKDF16_fEviT5_lT_liPT6_PT4_,comdat
.Lfunc_end463:
	.size	_ZL24rocblas_dot_kernel_magsqIiLb0ELi512ELi8ELb1EDF16_PKDF16_fEviT5_lT_liPT6_PT4_, .Lfunc_end463-_ZL24rocblas_dot_kernel_magsqIiLb0ELi512ELi8ELb1EDF16_PKDF16_fEviT5_lT_liPT6_PT4_
                                        ; -- End function
	.section	.AMDGPU.csdata,"",@progbits
; Kernel info:
; codeLenInByte = 888
; NumSgprs: 24
; NumVgprs: 9
; ScratchSize: 0
; MemoryBound: 0
; FloatMode: 240
; IeeeMode: 1
; LDSByteSize: 128 bytes/workgroup (compile time only)
; SGPRBlocks: 2
; VGPRBlocks: 1
; NumSGPRsForWavesPerEU: 24
; NumVGPRsForWavesPerEU: 9
; Occupancy: 16
; WaveLimiterHint : 0
; COMPUTE_PGM_RSRC2:SCRATCH_EN: 0
; COMPUTE_PGM_RSRC2:USER_SGPR: 14
; COMPUTE_PGM_RSRC2:TRAP_HANDLER: 0
; COMPUTE_PGM_RSRC2:TGID_X_EN: 1
; COMPUTE_PGM_RSRC2:TGID_Y_EN: 0
; COMPUTE_PGM_RSRC2:TGID_Z_EN: 1
; COMPUTE_PGM_RSRC2:TIDIG_COMP_CNT: 0
	.section	.text._ZL28rocblas_dot_batched_4_kernelIiLi32ELi4ELb1EffPKDF16_EviT5_lT_lS2_lS3_liPT4_,"axG",@progbits,_ZL28rocblas_dot_batched_4_kernelIiLi32ELi4ELb1EffPKDF16_EviT5_lT_lS2_lS3_liPT4_,comdat
	.globl	_ZL28rocblas_dot_batched_4_kernelIiLi32ELi4ELb1EffPKDF16_EviT5_lT_lS2_lS3_liPT4_ ; -- Begin function _ZL28rocblas_dot_batched_4_kernelIiLi32ELi4ELb1EffPKDF16_EviT5_lT_lS2_lS3_liPT4_
	.p2align	8
	.type	_ZL28rocblas_dot_batched_4_kernelIiLi32ELi4ELb1EffPKDF16_EviT5_lT_lS2_lS3_liPT4_,@function
_ZL28rocblas_dot_batched_4_kernelIiLi32ELi4ELb1EffPKDF16_EviT5_lT_lS2_lS3_liPT4_: ; @_ZL28rocblas_dot_batched_4_kernelIiLi32ELi4ELb1EffPKDF16_EviT5_lT_lS2_lS3_liPT4_
; %bb.0:
	s_load_b32 s2, s[0:1], 0x48
	v_bfe_u32 v1, v0, 10, 10
	s_delay_alu instid0(VALU_DEP_1) | instskip(SKIP_1) | instid1(VALU_DEP_1)
	v_lshl_add_u32 v1, s15, 2, v1
	s_waitcnt lgkmcnt(0)
	v_cmp_gt_u32_e32 vcc_lo, s2, v1
	s_and_saveexec_b32 s2, vcc_lo
	s_cbranch_execz .LBB464_7
; %bb.1:
	s_clause 0x1
	s_load_b32 s12, s[0:1], 0x0
	s_load_b64 s[2:3], s[0:1], 0x50
	v_mov_b32_e32 v2, 0
	v_and_b32_e32 v0, 0x3ff, v0
	s_mov_b32 s13, exec_lo
	s_delay_alu instid0(VALU_DEP_2) | instskip(SKIP_1) | instid1(VALU_DEP_2)
	v_mov_b32_e32 v7, v2
	s_waitcnt lgkmcnt(0)
	v_cmpx_gt_i32_e64 s12, v0
	s_cbranch_execz .LBB464_5
; %bb.2:
	s_clause 0x5
	s_load_b128 s[4:7], s[0:1], 0x20
	s_load_b64 s[14:15], s[0:1], 0x40
	s_load_b32 s16, s[0:1], 0x18
	s_load_b32 s18, s[0:1], 0x38
	s_load_b128 s[8:11], s[0:1], 0x8
	s_load_b64 s[0:1], s[0:1], 0x30
	s_waitcnt lgkmcnt(0)
	v_mad_u64_u32 v[3:4], null, s4, v1, 0
	v_mad_u64_u32 v[5:6], null, s14, v1, 0
	v_mad_i64_i32 v[8:9], null, s16, v0, 0
	s_ashr_i32 s17, s16, 31
	s_ashr_i32 s19, s18, 31
	s_delay_alu instid0(VALU_DEP_2) | instskip(SKIP_1) | instid1(VALU_DEP_3)
	v_mad_u64_u32 v[10:11], null, s5, v1, v[4:5]
	v_mov_b32_e32 v7, 0
	v_lshlrev_b64 v[8:9], 1, v[8:9]
	s_lshl_b64 s[4:5], s[10:11], 1
	s_delay_alu instid0(SALU_CYCLE_1) | instskip(SKIP_1) | instid1(VALU_DEP_3)
	s_add_u32 s8, s8, s4
	s_addc_u32 s9, s9, s5
	v_mov_b32_e32 v4, v10
	v_mad_u64_u32 v[11:12], null, s15, v1, v[6:7]
	v_mad_i64_i32 v[12:13], null, s18, v0, 0
	s_delay_alu instid0(VALU_DEP_3) | instskip(SKIP_3) | instid1(VALU_DEP_3)
	v_lshlrev_b64 v[3:4], 1, v[3:4]
	s_lshl_b64 s[0:1], s[0:1], 1
	s_lshl_b64 s[4:5], s[16:17], 6
	s_add_u32 s0, s6, s0
	v_mov_b32_e32 v6, v11
	s_addc_u32 s1, s7, s1
	s_delay_alu instid0(VALU_DEP_3) | instskip(SKIP_1) | instid1(VALU_DEP_3)
	v_lshlrev_b64 v[10:11], 1, v[12:13]
	v_add_co_u32 v3, vcc_lo, v8, v3
	v_lshlrev_b64 v[5:6], 1, v[5:6]
	v_add_co_ci_u32_e32 v4, vcc_lo, v9, v4, vcc_lo
	v_mov_b32_e32 v8, v0
	s_lshl_b64 s[6:7], s[18:19], 6
	s_delay_alu instid0(VALU_DEP_3) | instskip(NEXT) | instid1(VALU_DEP_4)
	v_add_co_u32 v5, vcc_lo, v10, v5
	v_add_co_ci_u32_e32 v6, vcc_lo, v11, v6, vcc_lo
	v_add_co_u32 v3, vcc_lo, s8, v3
	v_add_co_ci_u32_e32 v4, vcc_lo, s9, v4, vcc_lo
	s_delay_alu instid0(VALU_DEP_4) | instskip(NEXT) | instid1(VALU_DEP_4)
	v_add_co_u32 v5, vcc_lo, s0, v5
	v_add_co_ci_u32_e32 v6, vcc_lo, s1, v6, vcc_lo
	s_mov_b32 s1, 0
	.p2align	6
.LBB464_3:                              ; =>This Inner Loop Header: Depth=1
	global_load_u16 v9, v[3:4], off
	global_load_u16 v10, v[5:6], off
	v_add_nc_u32_e32 v8, 32, v8
	v_add_co_u32 v3, vcc_lo, v3, s4
	v_add_co_ci_u32_e32 v4, vcc_lo, s5, v4, vcc_lo
	v_add_co_u32 v5, vcc_lo, v5, s6
	s_delay_alu instid0(VALU_DEP_4) | instskip(SKIP_1) | instid1(VALU_DEP_2)
	v_cmp_le_i32_e64 s0, s12, v8
	v_add_co_ci_u32_e32 v6, vcc_lo, s7, v6, vcc_lo
	s_or_b32 s1, s0, s1
	s_waitcnt vmcnt(0)
	v_fma_mix_f32 v7, v9, v10, v7 op_sel_hi:[1,1,0]
	s_and_not1_b32 exec_lo, exec_lo, s1
	s_cbranch_execnz .LBB464_3
; %bb.4:
	s_or_b32 exec_lo, exec_lo, s1
.LBB464_5:
	s_delay_alu instid0(SALU_CYCLE_1)
	s_or_b32 exec_lo, exec_lo, s13
	v_mbcnt_lo_u32_b32 v3, -1, 0
	s_barrier
	buffer_gl0_inv
	v_cmp_gt_u32_e32 vcc_lo, 16, v3
	v_cndmask_b32_e64 v4, 0, 1, vcc_lo
	v_cmp_gt_u32_e32 vcc_lo, 24, v3
	s_delay_alu instid0(VALU_DEP_2) | instskip(SKIP_2) | instid1(VALU_DEP_3)
	v_lshlrev_b32_e32 v4, 4, v4
	v_cndmask_b32_e64 v5, 0, 1, vcc_lo
	v_cmp_gt_u32_e32 vcc_lo, 28, v3
	v_add_lshl_u32 v4, v4, v3, 2
	v_cndmask_b32_e64 v6, 0, 1, vcc_lo
	v_cmp_gt_u32_e32 vcc_lo, 30, v3
	ds_bpermute_b32 v4, v4, v7
	v_lshlrev_b32_e32 v5, 3, v5
	v_lshlrev_b32_e32 v6, 2, v6
	s_delay_alu instid0(VALU_DEP_1)
	v_add_lshl_u32 v6, v6, v3, 2
	s_waitcnt lgkmcnt(0)
	v_add_f32_e32 v4, v7, v4
	v_add_lshl_u32 v5, v5, v3, 2
	ds_bpermute_b32 v5, v5, v4
	s_waitcnt lgkmcnt(0)
	v_add_f32_e32 v4, v4, v5
	ds_bpermute_b32 v5, v6, v4
	v_cndmask_b32_e64 v6, 0, 1, vcc_lo
	v_cmp_ne_u32_e32 vcc_lo, 31, v3
	s_delay_alu instid0(VALU_DEP_2) | instskip(NEXT) | instid1(VALU_DEP_1)
	v_lshlrev_b32_e32 v6, 1, v6
	v_add_lshl_u32 v6, v6, v3, 2
	s_waitcnt lgkmcnt(0)
	v_add_f32_e32 v4, v4, v5
	ds_bpermute_b32 v5, v6, v4
	v_add_co_ci_u32_e32 v6, vcc_lo, 0, v3, vcc_lo
	v_cmp_eq_u32_e32 vcc_lo, 0, v0
	s_waitcnt lgkmcnt(0)
	s_delay_alu instid0(VALU_DEP_2)
	v_dual_add_f32 v3, v4, v5 :: v_dual_lshlrev_b32 v4, 2, v6
	ds_bpermute_b32 v4, v4, v3
	s_and_b32 exec_lo, exec_lo, vcc_lo
	s_cbranch_execz .LBB464_7
; %bb.6:
	v_lshlrev_b64 v[0:1], 2, v[1:2]
	s_waitcnt lgkmcnt(0)
	v_add_f32_e32 v2, v3, v4
	s_delay_alu instid0(VALU_DEP_2) | instskip(NEXT) | instid1(VALU_DEP_3)
	v_add_co_u32 v0, vcc_lo, s2, v0
	v_add_co_ci_u32_e32 v1, vcc_lo, s3, v1, vcc_lo
	global_store_b32 v[0:1], v2, off
.LBB464_7:
	s_nop 0
	s_sendmsg sendmsg(MSG_DEALLOC_VGPRS)
	s_endpgm
	.section	.rodata,"a",@progbits
	.p2align	6, 0x0
	.amdhsa_kernel _ZL28rocblas_dot_batched_4_kernelIiLi32ELi4ELb1EffPKDF16_EviT5_lT_lS2_lS3_liPT4_
		.amdhsa_group_segment_fixed_size 0
		.amdhsa_private_segment_fixed_size 0
		.amdhsa_kernarg_size 88
		.amdhsa_user_sgpr_count 15
		.amdhsa_user_sgpr_dispatch_ptr 0
		.amdhsa_user_sgpr_queue_ptr 0
		.amdhsa_user_sgpr_kernarg_segment_ptr 1
		.amdhsa_user_sgpr_dispatch_id 0
		.amdhsa_user_sgpr_private_segment_size 0
		.amdhsa_wavefront_size32 1
		.amdhsa_uses_dynamic_stack 0
		.amdhsa_enable_private_segment 0
		.amdhsa_system_sgpr_workgroup_id_x 1
		.amdhsa_system_sgpr_workgroup_id_y 0
		.amdhsa_system_sgpr_workgroup_id_z 0
		.amdhsa_system_sgpr_workgroup_info 0
		.amdhsa_system_vgpr_workitem_id 1
		.amdhsa_next_free_vgpr 14
		.amdhsa_next_free_sgpr 20
		.amdhsa_reserve_vcc 1
		.amdhsa_float_round_mode_32 0
		.amdhsa_float_round_mode_16_64 0
		.amdhsa_float_denorm_mode_32 3
		.amdhsa_float_denorm_mode_16_64 3
		.amdhsa_dx10_clamp 1
		.amdhsa_ieee_mode 1
		.amdhsa_fp16_overflow 0
		.amdhsa_workgroup_processor_mode 1
		.amdhsa_memory_ordered 1
		.amdhsa_forward_progress 0
		.amdhsa_shared_vgpr_count 0
		.amdhsa_exception_fp_ieee_invalid_op 0
		.amdhsa_exception_fp_denorm_src 0
		.amdhsa_exception_fp_ieee_div_zero 0
		.amdhsa_exception_fp_ieee_overflow 0
		.amdhsa_exception_fp_ieee_underflow 0
		.amdhsa_exception_fp_ieee_inexact 0
		.amdhsa_exception_int_div_zero 0
	.end_amdhsa_kernel
	.section	.text._ZL28rocblas_dot_batched_4_kernelIiLi32ELi4ELb1EffPKDF16_EviT5_lT_lS2_lS3_liPT4_,"axG",@progbits,_ZL28rocblas_dot_batched_4_kernelIiLi32ELi4ELb1EffPKDF16_EviT5_lT_lS2_lS3_liPT4_,comdat
.Lfunc_end464:
	.size	_ZL28rocblas_dot_batched_4_kernelIiLi32ELi4ELb1EffPKDF16_EviT5_lT_lS2_lS3_liPT4_, .Lfunc_end464-_ZL28rocblas_dot_batched_4_kernelIiLi32ELi4ELb1EffPKDF16_EviT5_lT_lS2_lS3_liPT4_
                                        ; -- End function
	.section	.AMDGPU.csdata,"",@progbits
; Kernel info:
; codeLenInByte = 744
; NumSgprs: 22
; NumVgprs: 14
; ScratchSize: 0
; MemoryBound: 0
; FloatMode: 240
; IeeeMode: 1
; LDSByteSize: 0 bytes/workgroup (compile time only)
; SGPRBlocks: 2
; VGPRBlocks: 1
; NumSGPRsForWavesPerEU: 22
; NumVGPRsForWavesPerEU: 14
; Occupancy: 16
; WaveLimiterHint : 0
; COMPUTE_PGM_RSRC2:SCRATCH_EN: 0
; COMPUTE_PGM_RSRC2:USER_SGPR: 15
; COMPUTE_PGM_RSRC2:TRAP_HANDLER: 0
; COMPUTE_PGM_RSRC2:TGID_X_EN: 1
; COMPUTE_PGM_RSRC2:TGID_Y_EN: 0
; COMPUTE_PGM_RSRC2:TGID_Z_EN: 0
; COMPUTE_PGM_RSRC2:TIDIG_COMP_CNT: 1
	.section	.text._ZL28rocblas_dot_batched_4_kernelIiLi64ELi4ELb1EffPKDF16_EviT5_lT_lS2_lS3_liPT4_,"axG",@progbits,_ZL28rocblas_dot_batched_4_kernelIiLi64ELi4ELb1EffPKDF16_EviT5_lT_lS2_lS3_liPT4_,comdat
	.globl	_ZL28rocblas_dot_batched_4_kernelIiLi64ELi4ELb1EffPKDF16_EviT5_lT_lS2_lS3_liPT4_ ; -- Begin function _ZL28rocblas_dot_batched_4_kernelIiLi64ELi4ELb1EffPKDF16_EviT5_lT_lS2_lS3_liPT4_
	.p2align	8
	.type	_ZL28rocblas_dot_batched_4_kernelIiLi64ELi4ELb1EffPKDF16_EviT5_lT_lS2_lS3_liPT4_,@function
_ZL28rocblas_dot_batched_4_kernelIiLi64ELi4ELb1EffPKDF16_EviT5_lT_lS2_lS3_liPT4_: ; @_ZL28rocblas_dot_batched_4_kernelIiLi64ELi4ELb1EffPKDF16_EviT5_lT_lS2_lS3_liPT4_
; %bb.0:
	s_load_b32 s2, s[0:1], 0x48
	v_bfe_u32 v1, v0, 10, 10
	s_delay_alu instid0(VALU_DEP_1) | instskip(SKIP_1) | instid1(VALU_DEP_1)
	v_lshl_add_u32 v1, s15, 2, v1
	s_waitcnt lgkmcnt(0)
	v_cmp_gt_u32_e32 vcc_lo, s2, v1
	s_and_saveexec_b32 s2, vcc_lo
	s_cbranch_execz .LBB465_7
; %bb.1:
	s_clause 0x1
	s_load_b32 s12, s[0:1], 0x0
	s_load_b64 s[2:3], s[0:1], 0x50
	v_mov_b32_e32 v2, 0
	v_and_b32_e32 v0, 0x3ff, v0
	s_mov_b32 s13, exec_lo
	s_delay_alu instid0(VALU_DEP_2) | instskip(SKIP_1) | instid1(VALU_DEP_2)
	v_mov_b32_e32 v7, v2
	s_waitcnt lgkmcnt(0)
	v_cmpx_gt_i32_e64 s12, v0
	s_cbranch_execz .LBB465_5
; %bb.2:
	s_clause 0x5
	s_load_b128 s[4:7], s[0:1], 0x20
	s_load_b64 s[14:15], s[0:1], 0x40
	s_load_b32 s16, s[0:1], 0x18
	s_load_b32 s18, s[0:1], 0x38
	s_load_b128 s[8:11], s[0:1], 0x8
	s_load_b64 s[0:1], s[0:1], 0x30
	s_waitcnt lgkmcnt(0)
	v_mad_u64_u32 v[3:4], null, s4, v1, 0
	v_mad_u64_u32 v[5:6], null, s14, v1, 0
	v_mad_i64_i32 v[8:9], null, s16, v0, 0
	s_ashr_i32 s17, s16, 31
	s_ashr_i32 s19, s18, 31
	s_delay_alu instid0(VALU_DEP_2) | instskip(SKIP_1) | instid1(VALU_DEP_3)
	v_mad_u64_u32 v[10:11], null, s5, v1, v[4:5]
	v_mov_b32_e32 v7, 0
	v_lshlrev_b64 v[8:9], 1, v[8:9]
	s_lshl_b64 s[4:5], s[10:11], 1
	s_delay_alu instid0(SALU_CYCLE_1) | instskip(SKIP_1) | instid1(VALU_DEP_3)
	s_add_u32 s8, s8, s4
	s_addc_u32 s9, s9, s5
	v_mov_b32_e32 v4, v10
	v_mad_u64_u32 v[11:12], null, s15, v1, v[6:7]
	v_mad_i64_i32 v[12:13], null, s18, v0, 0
	s_delay_alu instid0(VALU_DEP_3) | instskip(SKIP_3) | instid1(VALU_DEP_3)
	v_lshlrev_b64 v[3:4], 1, v[3:4]
	s_lshl_b64 s[0:1], s[0:1], 1
	s_lshl_b64 s[4:5], s[16:17], 7
	s_add_u32 s0, s6, s0
	v_mov_b32_e32 v6, v11
	s_addc_u32 s1, s7, s1
	s_delay_alu instid0(VALU_DEP_3) | instskip(SKIP_1) | instid1(VALU_DEP_3)
	v_lshlrev_b64 v[10:11], 1, v[12:13]
	v_add_co_u32 v3, vcc_lo, v8, v3
	v_lshlrev_b64 v[5:6], 1, v[5:6]
	v_add_co_ci_u32_e32 v4, vcc_lo, v9, v4, vcc_lo
	v_mov_b32_e32 v8, v0
	s_lshl_b64 s[6:7], s[18:19], 7
	s_delay_alu instid0(VALU_DEP_3) | instskip(NEXT) | instid1(VALU_DEP_4)
	v_add_co_u32 v5, vcc_lo, v10, v5
	v_add_co_ci_u32_e32 v6, vcc_lo, v11, v6, vcc_lo
	v_add_co_u32 v3, vcc_lo, s8, v3
	v_add_co_ci_u32_e32 v4, vcc_lo, s9, v4, vcc_lo
	s_delay_alu instid0(VALU_DEP_4) | instskip(NEXT) | instid1(VALU_DEP_4)
	v_add_co_u32 v5, vcc_lo, s0, v5
	v_add_co_ci_u32_e32 v6, vcc_lo, s1, v6, vcc_lo
	s_mov_b32 s1, 0
	.p2align	6
.LBB465_3:                              ; =>This Inner Loop Header: Depth=1
	global_load_u16 v9, v[3:4], off
	global_load_u16 v10, v[5:6], off
	v_add_nc_u32_e32 v8, 64, v8
	v_add_co_u32 v3, vcc_lo, v3, s4
	v_add_co_ci_u32_e32 v4, vcc_lo, s5, v4, vcc_lo
	v_add_co_u32 v5, vcc_lo, v5, s6
	s_delay_alu instid0(VALU_DEP_4) | instskip(SKIP_1) | instid1(VALU_DEP_2)
	v_cmp_le_i32_e64 s0, s12, v8
	v_add_co_ci_u32_e32 v6, vcc_lo, s7, v6, vcc_lo
	s_or_b32 s1, s0, s1
	s_waitcnt vmcnt(0)
	v_fma_mix_f32 v7, v9, v10, v7 op_sel_hi:[1,1,0]
	s_and_not1_b32 exec_lo, exec_lo, s1
	s_cbranch_execnz .LBB465_3
; %bb.4:
	s_or_b32 exec_lo, exec_lo, s1
.LBB465_5:
	s_delay_alu instid0(SALU_CYCLE_1)
	s_or_b32 exec_lo, exec_lo, s13
	v_mbcnt_lo_u32_b32 v3, -1, 0
	s_barrier
	buffer_gl0_inv
	v_lshlrev_b32_e32 v4, 2, v3
	v_cmp_gt_u32_e32 vcc_lo, 16, v3
	ds_bpermute_b32 v4, v4, v7
	v_cndmask_b32_e64 v5, 0, 1, vcc_lo
	v_cmp_gt_u32_e32 vcc_lo, 24, v3
	s_delay_alu instid0(VALU_DEP_2) | instskip(SKIP_2) | instid1(VALU_DEP_2)
	v_lshlrev_b32_e32 v5, 4, v5
	v_cndmask_b32_e64 v6, 0, 1, vcc_lo
	v_cmp_gt_u32_e32 vcc_lo, 28, v3
	v_lshlrev_b32_e32 v6, 3, v6
	s_delay_alu instid0(VALU_DEP_1)
	v_add_lshl_u32 v6, v6, v3, 2
	s_waitcnt lgkmcnt(0)
	v_add_f32_e32 v4, v7, v4
	v_add_lshl_u32 v5, v5, v3, 2
	ds_bpermute_b32 v5, v5, v4
	s_waitcnt lgkmcnt(0)
	v_add_f32_e32 v4, v4, v5
	ds_bpermute_b32 v5, v6, v4
	v_cndmask_b32_e64 v6, 0, 1, vcc_lo
	v_cmp_gt_u32_e32 vcc_lo, 30, v3
	s_delay_alu instid0(VALU_DEP_2) | instskip(NEXT) | instid1(VALU_DEP_1)
	v_lshlrev_b32_e32 v6, 2, v6
	v_add_lshl_u32 v6, v6, v3, 2
	s_waitcnt lgkmcnt(0)
	v_add_f32_e32 v4, v4, v5
	ds_bpermute_b32 v5, v6, v4
	v_cndmask_b32_e64 v6, 0, 1, vcc_lo
	v_cmp_ne_u32_e32 vcc_lo, 31, v3
	s_delay_alu instid0(VALU_DEP_2) | instskip(NEXT) | instid1(VALU_DEP_1)
	v_lshlrev_b32_e32 v6, 1, v6
	v_add_lshl_u32 v6, v6, v3, 2
	s_waitcnt lgkmcnt(0)
	v_add_f32_e32 v4, v4, v5
	ds_bpermute_b32 v5, v6, v4
	v_add_co_ci_u32_e32 v6, vcc_lo, 0, v3, vcc_lo
	v_cmp_eq_u32_e32 vcc_lo, 0, v0
	s_waitcnt lgkmcnt(0)
	s_delay_alu instid0(VALU_DEP_2)
	v_dual_add_f32 v3, v4, v5 :: v_dual_lshlrev_b32 v4, 2, v6
	ds_bpermute_b32 v4, v4, v3
	s_and_b32 exec_lo, exec_lo, vcc_lo
	s_cbranch_execz .LBB465_7
; %bb.6:
	v_lshlrev_b64 v[0:1], 2, v[1:2]
	s_waitcnt lgkmcnt(0)
	v_add_f32_e32 v2, v3, v4
	s_delay_alu instid0(VALU_DEP_2) | instskip(NEXT) | instid1(VALU_DEP_3)
	v_add_co_u32 v0, vcc_lo, s2, v0
	v_add_co_ci_u32_e32 v1, vcc_lo, s3, v1, vcc_lo
	global_store_b32 v[0:1], v2, off
.LBB465_7:
	s_nop 0
	s_sendmsg sendmsg(MSG_DEALLOC_VGPRS)
	s_endpgm
	.section	.rodata,"a",@progbits
	.p2align	6, 0x0
	.amdhsa_kernel _ZL28rocblas_dot_batched_4_kernelIiLi64ELi4ELb1EffPKDF16_EviT5_lT_lS2_lS3_liPT4_
		.amdhsa_group_segment_fixed_size 0
		.amdhsa_private_segment_fixed_size 0
		.amdhsa_kernarg_size 88
		.amdhsa_user_sgpr_count 15
		.amdhsa_user_sgpr_dispatch_ptr 0
		.amdhsa_user_sgpr_queue_ptr 0
		.amdhsa_user_sgpr_kernarg_segment_ptr 1
		.amdhsa_user_sgpr_dispatch_id 0
		.amdhsa_user_sgpr_private_segment_size 0
		.amdhsa_wavefront_size32 1
		.amdhsa_uses_dynamic_stack 0
		.amdhsa_enable_private_segment 0
		.amdhsa_system_sgpr_workgroup_id_x 1
		.amdhsa_system_sgpr_workgroup_id_y 0
		.amdhsa_system_sgpr_workgroup_id_z 0
		.amdhsa_system_sgpr_workgroup_info 0
		.amdhsa_system_vgpr_workitem_id 1
		.amdhsa_next_free_vgpr 14
		.amdhsa_next_free_sgpr 20
		.amdhsa_reserve_vcc 1
		.amdhsa_float_round_mode_32 0
		.amdhsa_float_round_mode_16_64 0
		.amdhsa_float_denorm_mode_32 3
		.amdhsa_float_denorm_mode_16_64 3
		.amdhsa_dx10_clamp 1
		.amdhsa_ieee_mode 1
		.amdhsa_fp16_overflow 0
		.amdhsa_workgroup_processor_mode 1
		.amdhsa_memory_ordered 1
		.amdhsa_forward_progress 0
		.amdhsa_shared_vgpr_count 0
		.amdhsa_exception_fp_ieee_invalid_op 0
		.amdhsa_exception_fp_denorm_src 0
		.amdhsa_exception_fp_ieee_div_zero 0
		.amdhsa_exception_fp_ieee_overflow 0
		.amdhsa_exception_fp_ieee_underflow 0
		.amdhsa_exception_fp_ieee_inexact 0
		.amdhsa_exception_int_div_zero 0
	.end_amdhsa_kernel
	.section	.text._ZL28rocblas_dot_batched_4_kernelIiLi64ELi4ELb1EffPKDF16_EviT5_lT_lS2_lS3_liPT4_,"axG",@progbits,_ZL28rocblas_dot_batched_4_kernelIiLi64ELi4ELb1EffPKDF16_EviT5_lT_lS2_lS3_liPT4_,comdat
.Lfunc_end465:
	.size	_ZL28rocblas_dot_batched_4_kernelIiLi64ELi4ELb1EffPKDF16_EviT5_lT_lS2_lS3_liPT4_, .Lfunc_end465-_ZL28rocblas_dot_batched_4_kernelIiLi64ELi4ELb1EffPKDF16_EviT5_lT_lS2_lS3_liPT4_
                                        ; -- End function
	.section	.AMDGPU.csdata,"",@progbits
; Kernel info:
; codeLenInByte = 768
; NumSgprs: 22
; NumVgprs: 14
; ScratchSize: 0
; MemoryBound: 0
; FloatMode: 240
; IeeeMode: 1
; LDSByteSize: 0 bytes/workgroup (compile time only)
; SGPRBlocks: 2
; VGPRBlocks: 1
; NumSGPRsForWavesPerEU: 22
; NumVGPRsForWavesPerEU: 14
; Occupancy: 16
; WaveLimiterHint : 0
; COMPUTE_PGM_RSRC2:SCRATCH_EN: 0
; COMPUTE_PGM_RSRC2:USER_SGPR: 15
; COMPUTE_PGM_RSRC2:TRAP_HANDLER: 0
; COMPUTE_PGM_RSRC2:TGID_X_EN: 1
; COMPUTE_PGM_RSRC2:TGID_Y_EN: 0
; COMPUTE_PGM_RSRC2:TGID_Z_EN: 0
; COMPUTE_PGM_RSRC2:TIDIG_COMP_CNT: 1
	.section	.text._ZL18rocblas_dot_kernelIiLb1ELi1024ELi32ELb1EfPKDF16_fEviT5_lT_lS2_lS3_liPT6_PT4_,"axG",@progbits,_ZL18rocblas_dot_kernelIiLb1ELi1024ELi32ELb1EfPKDF16_fEviT5_lT_lS2_lS3_liPT6_PT4_,comdat
	.globl	_ZL18rocblas_dot_kernelIiLb1ELi1024ELi32ELb1EfPKDF16_fEviT5_lT_lS2_lS3_liPT6_PT4_ ; -- Begin function _ZL18rocblas_dot_kernelIiLb1ELi1024ELi32ELb1EfPKDF16_fEviT5_lT_lS2_lS3_liPT6_PT4_
	.p2align	8
	.type	_ZL18rocblas_dot_kernelIiLb1ELi1024ELi32ELb1EfPKDF16_fEviT5_lT_lS2_lS3_liPT6_PT4_,@function
_ZL18rocblas_dot_kernelIiLb1ELi1024ELi32ELb1EfPKDF16_fEviT5_lT_lS2_lS3_liPT6_PT4_: ; @_ZL18rocblas_dot_kernelIiLb1ELi1024ELi32ELb1EfPKDF16_fEviT5_lT_lS2_lS3_liPT6_PT4_
; %bb.0:
	s_clause 0x1
	s_load_b32 s10, s[0:1], 0x0
	s_load_b64 s[2:3], s[0:1], 0x58
	v_mov_b32_e32 v5, 0
	s_mov_b32 s8, s15
	s_mov_b32 s9, 0
	s_mov_b32 s11, exec_lo
	s_waitcnt lgkmcnt(0)
	v_cmpx_gt_i32_e64 s10, v0
	s_cbranch_execz .LBB466_4
; %bb.1:
	s_clause 0x6
	s_load_b32 s20, s[0:1], 0x60
	s_load_b128 s[4:7], s[0:1], 0x20
	s_load_b32 s22, s[0:1], 0x18
	s_load_b128 s[12:15], s[0:1], 0x8
	s_load_b64 s[16:17], s[0:1], 0x40
	s_load_b32 s23, s[0:1], 0x38
	s_load_b64 s[18:19], s[0:1], 0x30
	v_mov_b32_e32 v5, 0
	s_waitcnt lgkmcnt(0)
	s_lshl_b32 s1, s20, 10
	s_mul_i32 s0, s5, s8
	v_mad_i64_i32 v[1:2], null, s22, v0, 0
	s_mul_hi_u32 s5, s4, s8
	s_mul_i32 s4, s4, s8
	v_mad_i64_i32 v[3:4], null, s23, v0, 0
	s_add_i32 s5, s5, s0
	s_lshl_b64 s[14:15], s[14:15], 1
	s_delay_alu instid0(VALU_DEP_2)
	v_lshlrev_b64 v[1:2], 1, v[1:2]
	s_lshl_b64 s[4:5], s[4:5], 1
	s_add_u32 s0, s12, s14
	s_addc_u32 s12, s13, s15
	s_mul_i32 s17, s17, s8
	s_mul_hi_u32 s24, s16, s8
	s_add_u32 s0, s0, s4
	s_mul_i32 s16, s16, s8
	s_mul_hi_i32 s21, s22, s1
	s_mul_i32 s20, s22, s1
	s_addc_u32 s12, s12, s5
	s_add_i32 s17, s24, s17
	v_add_co_u32 v1, vcc_lo, s0, v1
	s_lshl_b64 s[14:15], s[18:19], 1
	v_lshlrev_b64 v[3:4], 1, v[3:4]
	s_lshl_b64 s[4:5], s[20:21], 1
	v_add_co_ci_u32_e32 v2, vcc_lo, s12, v2, vcc_lo
	s_lshl_b64 s[12:13], s[16:17], 1
	s_add_u32 s0, s6, s14
	s_addc_u32 s6, s7, s15
	s_add_u32 s0, s0, s12
	s_addc_u32 s6, s6, s13
	v_add_co_u32 v3, vcc_lo, s0, v3
	v_or_b32_e32 v6, s1, v0
	v_add_co_ci_u32_e32 v4, vcc_lo, s6, v4, vcc_lo
	s_mul_hi_i32 s7, s23, s1
	s_mul_i32 s6, s23, s1
	s_mov_b32 s12, s9
	s_lshl_b64 s[6:7], s[6:7], 1
	s_mov_b32 s13, s9
	.p2align	6
.LBB466_2:                              ; =>This Inner Loop Header: Depth=1
	global_load_u16 v7, v[3:4], off
	global_load_u16 v8, v[1:2], off
	v_add_co_u32 v1, s0, v1, s4
	s_delay_alu instid0(VALU_DEP_1)
	v_add_co_ci_u32_e64 v2, s0, s5, v2, s0
	s_add_i32 s14, s13, 1
	v_cmp_le_i32_e32 vcc_lo, s10, v6
	v_add_co_u32 v3, s0, v3, s6
	s_cmp_gt_u32 s13, 30
	v_add_co_ci_u32_e64 v4, s0, s7, v4, s0
	s_cselect_b32 s0, -1, 0
	v_add_nc_u32_e32 v6, s1, v6
	s_or_b32 s0, s0, vcc_lo
	s_mov_b32 s13, s14
	s_and_b32 s0, exec_lo, s0
	s_delay_alu instid0(SALU_CYCLE_1)
	s_or_b32 s12, s0, s12
	s_waitcnt vmcnt(0)
	v_fma_mix_f32 v5, v7, v8, v5 op_sel_hi:[1,1,0]
	s_and_not1_b32 exec_lo, exec_lo, s12
	s_cbranch_execnz .LBB466_2
; %bb.3:
	s_or_b32 exec_lo, exec_lo, s12
.LBB466_4:
	s_delay_alu instid0(SALU_CYCLE_1) | instskip(SKIP_2) | instid1(VALU_DEP_2)
	s_or_b32 exec_lo, exec_lo, s11
	v_and_b32_e32 v7, 31, v0
	v_cmp_gt_u32_e32 vcc_lo, 32, v0
	v_lshlrev_b32_e32 v1, 2, v7
	s_and_saveexec_b32 s0, vcc_lo
	s_cbranch_execz .LBB466_6
; %bb.5:
	v_mov_b32_e32 v2, 0
	ds_store_b32 v1, v2
.LBB466_6:
	s_or_b32 exec_lo, exec_lo, s0
	v_mbcnt_lo_u32_b32 v6, -1, 0
	s_mov_b32 s1, exec_lo
	s_waitcnt lgkmcnt(0)
	s_barrier
	buffer_gl0_inv
	v_cmp_gt_u32_e64 s0, 16, v6
	s_delay_alu instid0(VALU_DEP_1) | instskip(SKIP_1) | instid1(VALU_DEP_2)
	v_cndmask_b32_e64 v2, 0, 1, s0
	v_cmp_gt_u32_e64 s0, 24, v6
	v_lshlrev_b32_e32 v2, 4, v2
	s_delay_alu instid0(VALU_DEP_2) | instskip(SKIP_1) | instid1(VALU_DEP_3)
	v_cndmask_b32_e64 v3, 0, 1, s0
	v_cmp_gt_u32_e64 s0, 28, v6
	v_add_lshl_u32 v2, v2, v6, 2
	ds_bpermute_b32 v4, v2, v5
	s_waitcnt lgkmcnt(0)
	v_add_f32_e32 v5, v5, v4
	v_lshlrev_b32_e32 v3, 3, v3
	v_cndmask_b32_e64 v4, 0, 1, s0
	v_cmp_gt_u32_e64 s0, 30, v6
	s_delay_alu instid0(VALU_DEP_3) | instskip(NEXT) | instid1(VALU_DEP_3)
	v_add_lshl_u32 v3, v3, v6, 2
	v_lshlrev_b32_e32 v4, 2, v4
	ds_bpermute_b32 v8, v3, v5
	v_add_lshl_u32 v4, v4, v6, 2
	s_waitcnt lgkmcnt(0)
	v_add_f32_e32 v8, v5, v8
	v_cndmask_b32_e64 v5, 0, 1, s0
	v_cmp_ne_u32_e64 s0, 31, v6
	ds_bpermute_b32 v9, v4, v8
	v_lshlrev_b32_e32 v5, 1, v5
	s_delay_alu instid0(VALU_DEP_1) | instskip(SKIP_1) | instid1(VALU_DEP_1)
	v_add_lshl_u32 v5, v5, v6, 2
	v_add_co_ci_u32_e64 v6, s0, 0, v6, s0
	v_lshlrev_b32_e32 v6, 2, v6
	s_waitcnt lgkmcnt(0)
	v_add_f32_e32 v8, v8, v9
	ds_bpermute_b32 v9, v5, v8
	s_waitcnt lgkmcnt(0)
	v_add_f32_e32 v8, v8, v9
	ds_bpermute_b32 v9, v6, v8
	v_cmpx_eq_u32_e32 0, v7
	s_cbranch_execz .LBB466_8
; %bb.7:
	v_lshrrev_b32_e32 v7, 3, v0
	s_waitcnt lgkmcnt(0)
	s_delay_alu instid0(VALU_DEP_1)
	v_dual_add_f32 v8, v8, v9 :: v_dual_and_b32 v7, 0x7c, v7
	ds_store_b32 v7, v8
.LBB466_8:
	s_or_b32 exec_lo, exec_lo, s1
	v_mov_b32_e32 v7, 0
	s_waitcnt lgkmcnt(0)
	s_barrier
	buffer_gl0_inv
	s_and_saveexec_b32 s0, vcc_lo
	s_cbranch_execz .LBB466_10
; %bb.9:
	ds_load_b32 v7, v1
.LBB466_10:
	s_or_b32 exec_lo, exec_lo, s0
	s_and_saveexec_b32 s0, vcc_lo
	s_cbranch_execz .LBB466_12
; %bb.11:
	s_waitcnt lgkmcnt(0)
	ds_bpermute_b32 v1, v2, v7
	s_waitcnt lgkmcnt(0)
	v_add_f32_e32 v1, v7, v1
	ds_bpermute_b32 v2, v3, v1
	s_waitcnt lgkmcnt(0)
	v_add_f32_e32 v1, v1, v2
	;; [unrolled: 3-line block ×5, first 2 shown]
.LBB466_12:
	s_or_b32 exec_lo, exec_lo, s0
	s_delay_alu instid0(SALU_CYCLE_1)
	s_mov_b32 s0, exec_lo
	v_cmpx_eq_u32_e32 0, v0
	s_cbranch_execz .LBB466_14
; %bb.13:
	s_lshl_b64 s[0:1], s[8:9], 2
	v_mov_b32_e32 v0, 0
	s_add_u32 s0, s2, s0
	s_addc_u32 s1, s3, s1
	s_waitcnt lgkmcnt(0)
	global_store_b32 v0, v7, s[0:1]
.LBB466_14:
	s_nop 0
	s_sendmsg sendmsg(MSG_DEALLOC_VGPRS)
	s_endpgm
	.section	.rodata,"a",@progbits
	.p2align	6, 0x0
	.amdhsa_kernel _ZL18rocblas_dot_kernelIiLb1ELi1024ELi32ELb1EfPKDF16_fEviT5_lT_lS2_lS3_liPT6_PT4_
		.amdhsa_group_segment_fixed_size 128
		.amdhsa_private_segment_fixed_size 0
		.amdhsa_kernarg_size 352
		.amdhsa_user_sgpr_count 14
		.amdhsa_user_sgpr_dispatch_ptr 0
		.amdhsa_user_sgpr_queue_ptr 0
		.amdhsa_user_sgpr_kernarg_segment_ptr 1
		.amdhsa_user_sgpr_dispatch_id 0
		.amdhsa_user_sgpr_private_segment_size 0
		.amdhsa_wavefront_size32 1
		.amdhsa_uses_dynamic_stack 0
		.amdhsa_enable_private_segment 0
		.amdhsa_system_sgpr_workgroup_id_x 1
		.amdhsa_system_sgpr_workgroup_id_y 0
		.amdhsa_system_sgpr_workgroup_id_z 1
		.amdhsa_system_sgpr_workgroup_info 0
		.amdhsa_system_vgpr_workitem_id 0
		.amdhsa_next_free_vgpr 10
		.amdhsa_next_free_sgpr 25
		.amdhsa_reserve_vcc 1
		.amdhsa_float_round_mode_32 0
		.amdhsa_float_round_mode_16_64 0
		.amdhsa_float_denorm_mode_32 3
		.amdhsa_float_denorm_mode_16_64 3
		.amdhsa_dx10_clamp 1
		.amdhsa_ieee_mode 1
		.amdhsa_fp16_overflow 0
		.amdhsa_workgroup_processor_mode 1
		.amdhsa_memory_ordered 1
		.amdhsa_forward_progress 0
		.amdhsa_shared_vgpr_count 0
		.amdhsa_exception_fp_ieee_invalid_op 0
		.amdhsa_exception_fp_denorm_src 0
		.amdhsa_exception_fp_ieee_div_zero 0
		.amdhsa_exception_fp_ieee_overflow 0
		.amdhsa_exception_fp_ieee_underflow 0
		.amdhsa_exception_fp_ieee_inexact 0
		.amdhsa_exception_int_div_zero 0
	.end_amdhsa_kernel
	.section	.text._ZL18rocblas_dot_kernelIiLb1ELi1024ELi32ELb1EfPKDF16_fEviT5_lT_lS2_lS3_liPT6_PT4_,"axG",@progbits,_ZL18rocblas_dot_kernelIiLb1ELi1024ELi32ELb1EfPKDF16_fEviT5_lT_lS2_lS3_liPT6_PT4_,comdat
.Lfunc_end466:
	.size	_ZL18rocblas_dot_kernelIiLb1ELi1024ELi32ELb1EfPKDF16_fEviT5_lT_lS2_lS3_liPT6_PT4_, .Lfunc_end466-_ZL18rocblas_dot_kernelIiLb1ELi1024ELi32ELb1EfPKDF16_fEviT5_lT_lS2_lS3_liPT6_PT4_
                                        ; -- End function
	.section	.AMDGPU.csdata,"",@progbits
; Kernel info:
; codeLenInByte = 944
; NumSgprs: 27
; NumVgprs: 10
; ScratchSize: 0
; MemoryBound: 0
; FloatMode: 240
; IeeeMode: 1
; LDSByteSize: 128 bytes/workgroup (compile time only)
; SGPRBlocks: 3
; VGPRBlocks: 1
; NumSGPRsForWavesPerEU: 27
; NumVGPRsForWavesPerEU: 10
; Occupancy: 16
; WaveLimiterHint : 0
; COMPUTE_PGM_RSRC2:SCRATCH_EN: 0
; COMPUTE_PGM_RSRC2:USER_SGPR: 14
; COMPUTE_PGM_RSRC2:TRAP_HANDLER: 0
; COMPUTE_PGM_RSRC2:TGID_X_EN: 1
; COMPUTE_PGM_RSRC2:TGID_Y_EN: 0
; COMPUTE_PGM_RSRC2:TGID_Z_EN: 1
; COMPUTE_PGM_RSRC2:TIDIG_COMP_CNT: 0
	.section	.text._ZL24rocblas_dot_kernel_magsqIiLb1ELi1024ELi32ELb1EfPKDF16_fEviT5_lT_liPT6_PT4_,"axG",@progbits,_ZL24rocblas_dot_kernel_magsqIiLb1ELi1024ELi32ELb1EfPKDF16_fEviT5_lT_liPT6_PT4_,comdat
	.globl	_ZL24rocblas_dot_kernel_magsqIiLb1ELi1024ELi32ELb1EfPKDF16_fEviT5_lT_liPT6_PT4_ ; -- Begin function _ZL24rocblas_dot_kernel_magsqIiLb1ELi1024ELi32ELb1EfPKDF16_fEviT5_lT_liPT6_PT4_
	.p2align	8
	.type	_ZL24rocblas_dot_kernel_magsqIiLb1ELi1024ELi32ELb1EfPKDF16_fEviT5_lT_liPT6_PT4_,@function
_ZL24rocblas_dot_kernel_magsqIiLb1ELi1024ELi32ELb1EfPKDF16_fEviT5_lT_liPT6_PT4_: ; @_ZL24rocblas_dot_kernel_magsqIiLb1ELi1024ELi32ELb1EfPKDF16_fEviT5_lT_liPT6_PT4_
; %bb.0:
	s_clause 0x1
	s_load_b32 s8, s[0:1], 0x0
	s_load_b64 s[2:3], s[0:1], 0x38
	v_mov_b32_e32 v3, 0
	s_mov_b32 s4, s15
	s_mov_b32 s5, 0
	s_mov_b32 s9, exec_lo
	s_waitcnt lgkmcnt(0)
	v_cmpx_gt_i32_e64 s8, v0
	s_cbranch_execz .LBB467_4
; %bb.1:
	s_clause 0x3
	s_load_b32 s10, s[0:1], 0x40
	s_load_b64 s[6:7], s[0:1], 0x20
	s_load_b32 s16, s[0:1], 0x18
	s_load_b128 s[12:15], s[0:1], 0x8
	v_mov_b32_e32 v3, 0
	s_waitcnt lgkmcnt(0)
	s_lshl_b32 s1, s10, 10
	s_mul_i32 s0, s7, s4
	v_mad_i64_i32 v[1:2], null, s16, v0, 0
	s_mul_hi_u32 s7, s6, s4
	s_mul_i32 s6, s6, s4
	s_add_i32 s7, s7, s0
	s_lshl_b64 s[10:11], s[14:15], 1
	s_lshl_b64 s[6:7], s[6:7], 1
	s_add_u32 s0, s12, s10
	s_delay_alu instid0(VALU_DEP_1)
	v_lshlrev_b64 v[1:2], 1, v[1:2]
	s_addc_u32 s10, s13, s11
	s_add_u32 s0, s0, s6
	s_addc_u32 s6, s10, s7
	v_or_b32_e32 v4, s1, v0
	s_mul_hi_i32 s15, s16, s1
	v_add_co_u32 v1, vcc_lo, s0, v1
	v_add_co_ci_u32_e32 v2, vcc_lo, s6, v2, vcc_lo
	s_mul_i32 s14, s16, s1
	s_mov_b32 s10, s5
	s_lshl_b64 s[6:7], s[14:15], 1
	s_mov_b32 s11, s5
	.p2align	6
.LBB467_2:                              ; =>This Inner Loop Header: Depth=1
	global_load_u16 v5, v[1:2], off
	s_add_i32 s12, s11, 1
	v_cmp_le_i32_e32 vcc_lo, s8, v4
	v_add_co_u32 v1, s0, v1, s6
	s_cmp_gt_u32 s11, 30
	v_add_co_ci_u32_e64 v2, s0, s7, v2, s0
	s_cselect_b32 s0, -1, 0
	v_add_nc_u32_e32 v4, s1, v4
	s_or_b32 s0, s0, vcc_lo
	s_mov_b32 s11, s12
	s_and_b32 s0, exec_lo, s0
	s_delay_alu instid0(SALU_CYCLE_1)
	s_or_b32 s10, s0, s10
	s_waitcnt vmcnt(0)
	v_fma_mix_f32 v3, v5, v5, v3 op_sel_hi:[1,1,0]
	s_and_not1_b32 exec_lo, exec_lo, s10
	s_cbranch_execnz .LBB467_2
; %bb.3:
	s_or_b32 exec_lo, exec_lo, s10
.LBB467_4:
	s_delay_alu instid0(SALU_CYCLE_1) | instskip(SKIP_2) | instid1(VALU_DEP_2)
	s_or_b32 exec_lo, exec_lo, s9
	v_and_b32_e32 v7, 31, v0
	v_cmp_gt_u32_e32 vcc_lo, 32, v0
	v_lshlrev_b32_e32 v1, 2, v7
	s_and_saveexec_b32 s0, vcc_lo
	s_cbranch_execz .LBB467_6
; %bb.5:
	v_mov_b32_e32 v2, 0
	ds_store_b32 v1, v2
.LBB467_6:
	s_or_b32 exec_lo, exec_lo, s0
	v_mbcnt_lo_u32_b32 v6, -1, 0
	s_mov_b32 s1, exec_lo
	s_waitcnt lgkmcnt(0)
	s_barrier
	buffer_gl0_inv
	v_cmp_gt_u32_e64 s0, 16, v6
	s_delay_alu instid0(VALU_DEP_1) | instskip(SKIP_1) | instid1(VALU_DEP_2)
	v_cndmask_b32_e64 v2, 0, 1, s0
	v_cmp_gt_u32_e64 s0, 24, v6
	v_lshlrev_b32_e32 v2, 4, v2
	s_delay_alu instid0(VALU_DEP_2) | instskip(SKIP_1) | instid1(VALU_DEP_3)
	v_cndmask_b32_e64 v4, 0, 1, s0
	v_cmp_gt_u32_e64 s0, 28, v6
	v_add_lshl_u32 v2, v2, v6, 2
	s_delay_alu instid0(VALU_DEP_3)
	v_lshlrev_b32_e32 v4, 3, v4
	ds_bpermute_b32 v5, v2, v3
	v_add_lshl_u32 v4, v4, v6, 2
	s_waitcnt lgkmcnt(0)
	v_add_f32_e32 v5, v3, v5
	v_cndmask_b32_e64 v3, 0, 1, s0
	v_cmp_gt_u32_e64 s0, 30, v6
	ds_bpermute_b32 v8, v4, v5
	s_waitcnt lgkmcnt(0)
	v_dual_add_f32 v8, v5, v8 :: v_dual_lshlrev_b32 v3, 2, v3
	s_delay_alu instid0(VALU_DEP_1) | instskip(SKIP_4) | instid1(VALU_DEP_1)
	v_add_lshl_u32 v3, v3, v6, 2
	v_cndmask_b32_e64 v5, 0, 1, s0
	v_cmp_ne_u32_e64 s0, 31, v6
	ds_bpermute_b32 v9, v3, v8
	v_lshlrev_b32_e32 v5, 1, v5
	v_add_lshl_u32 v5, v5, v6, 2
	v_add_co_ci_u32_e64 v6, s0, 0, v6, s0
	s_delay_alu instid0(VALU_DEP_1)
	v_lshlrev_b32_e32 v6, 2, v6
	s_waitcnt lgkmcnt(0)
	v_add_f32_e32 v8, v8, v9
	ds_bpermute_b32 v9, v5, v8
	s_waitcnt lgkmcnt(0)
	v_add_f32_e32 v8, v8, v9
	ds_bpermute_b32 v9, v6, v8
	v_cmpx_eq_u32_e32 0, v7
	s_cbranch_execz .LBB467_8
; %bb.7:
	v_lshrrev_b32_e32 v7, 3, v0
	s_waitcnt lgkmcnt(0)
	s_delay_alu instid0(VALU_DEP_1)
	v_dual_add_f32 v8, v8, v9 :: v_dual_and_b32 v7, 0x7c, v7
	ds_store_b32 v7, v8
.LBB467_8:
	s_or_b32 exec_lo, exec_lo, s1
	v_mov_b32_e32 v7, 0
	s_waitcnt lgkmcnt(0)
	s_barrier
	buffer_gl0_inv
	s_and_saveexec_b32 s0, vcc_lo
	s_cbranch_execz .LBB467_10
; %bb.9:
	ds_load_b32 v7, v1
.LBB467_10:
	s_or_b32 exec_lo, exec_lo, s0
	s_and_saveexec_b32 s0, vcc_lo
	s_cbranch_execz .LBB467_12
; %bb.11:
	s_waitcnt lgkmcnt(0)
	ds_bpermute_b32 v1, v2, v7
	s_waitcnt lgkmcnt(0)
	v_add_f32_e32 v1, v7, v1
	ds_bpermute_b32 v2, v4, v1
	s_waitcnt lgkmcnt(0)
	v_add_f32_e32 v1, v1, v2
	ds_bpermute_b32 v2, v3, v1
	s_waitcnt lgkmcnt(0)
	v_add_f32_e32 v1, v1, v2
	ds_bpermute_b32 v2, v5, v1
	s_waitcnt lgkmcnt(0)
	v_add_f32_e32 v1, v1, v2
	ds_bpermute_b32 v2, v6, v1
	s_waitcnt lgkmcnt(0)
	v_add_f32_e32 v7, v1, v2
.LBB467_12:
	s_or_b32 exec_lo, exec_lo, s0
	s_delay_alu instid0(SALU_CYCLE_1)
	s_mov_b32 s0, exec_lo
	v_cmpx_eq_u32_e32 0, v0
	s_cbranch_execz .LBB467_14
; %bb.13:
	s_lshl_b64 s[0:1], s[4:5], 2
	v_mov_b32_e32 v0, 0
	s_add_u32 s0, s2, s0
	s_addc_u32 s1, s3, s1
	s_waitcnt lgkmcnt(0)
	global_store_b32 v0, v7, s[0:1]
.LBB467_14:
	s_nop 0
	s_sendmsg sendmsg(MSG_DEALLOC_VGPRS)
	s_endpgm
	.section	.rodata,"a",@progbits
	.p2align	6, 0x0
	.amdhsa_kernel _ZL24rocblas_dot_kernel_magsqIiLb1ELi1024ELi32ELb1EfPKDF16_fEviT5_lT_liPT6_PT4_
		.amdhsa_group_segment_fixed_size 128
		.amdhsa_private_segment_fixed_size 0
		.amdhsa_kernarg_size 320
		.amdhsa_user_sgpr_count 14
		.amdhsa_user_sgpr_dispatch_ptr 0
		.amdhsa_user_sgpr_queue_ptr 0
		.amdhsa_user_sgpr_kernarg_segment_ptr 1
		.amdhsa_user_sgpr_dispatch_id 0
		.amdhsa_user_sgpr_private_segment_size 0
		.amdhsa_wavefront_size32 1
		.amdhsa_uses_dynamic_stack 0
		.amdhsa_enable_private_segment 0
		.amdhsa_system_sgpr_workgroup_id_x 1
		.amdhsa_system_sgpr_workgroup_id_y 0
		.amdhsa_system_sgpr_workgroup_id_z 1
		.amdhsa_system_sgpr_workgroup_info 0
		.amdhsa_system_vgpr_workitem_id 0
		.amdhsa_next_free_vgpr 10
		.amdhsa_next_free_sgpr 17
		.amdhsa_reserve_vcc 1
		.amdhsa_float_round_mode_32 0
		.amdhsa_float_round_mode_16_64 0
		.amdhsa_float_denorm_mode_32 3
		.amdhsa_float_denorm_mode_16_64 3
		.amdhsa_dx10_clamp 1
		.amdhsa_ieee_mode 1
		.amdhsa_fp16_overflow 0
		.amdhsa_workgroup_processor_mode 1
		.amdhsa_memory_ordered 1
		.amdhsa_forward_progress 0
		.amdhsa_shared_vgpr_count 0
		.amdhsa_exception_fp_ieee_invalid_op 0
		.amdhsa_exception_fp_denorm_src 0
		.amdhsa_exception_fp_ieee_div_zero 0
		.amdhsa_exception_fp_ieee_overflow 0
		.amdhsa_exception_fp_ieee_underflow 0
		.amdhsa_exception_fp_ieee_inexact 0
		.amdhsa_exception_int_div_zero 0
	.end_amdhsa_kernel
	.section	.text._ZL24rocblas_dot_kernel_magsqIiLb1ELi1024ELi32ELb1EfPKDF16_fEviT5_lT_liPT6_PT4_,"axG",@progbits,_ZL24rocblas_dot_kernel_magsqIiLb1ELi1024ELi32ELb1EfPKDF16_fEviT5_lT_liPT6_PT4_,comdat
.Lfunc_end467:
	.size	_ZL24rocblas_dot_kernel_magsqIiLb1ELi1024ELi32ELb1EfPKDF16_fEviT5_lT_liPT6_PT4_, .Lfunc_end467-_ZL24rocblas_dot_kernel_magsqIiLb1ELi1024ELi32ELb1EfPKDF16_fEviT5_lT_liPT6_PT4_
                                        ; -- End function
	.section	.AMDGPU.csdata,"",@progbits
; Kernel info:
; codeLenInByte = 816
; NumSgprs: 19
; NumVgprs: 10
; ScratchSize: 0
; MemoryBound: 0
; FloatMode: 240
; IeeeMode: 1
; LDSByteSize: 128 bytes/workgroup (compile time only)
; SGPRBlocks: 2
; VGPRBlocks: 1
; NumSGPRsForWavesPerEU: 19
; NumVGPRsForWavesPerEU: 10
; Occupancy: 16
; WaveLimiterHint : 0
; COMPUTE_PGM_RSRC2:SCRATCH_EN: 0
; COMPUTE_PGM_RSRC2:USER_SGPR: 14
; COMPUTE_PGM_RSRC2:TRAP_HANDLER: 0
; COMPUTE_PGM_RSRC2:TGID_X_EN: 1
; COMPUTE_PGM_RSRC2:TGID_Y_EN: 0
; COMPUTE_PGM_RSRC2:TGID_Z_EN: 1
; COMPUTE_PGM_RSRC2:TIDIG_COMP_CNT: 0
	.section	.text._ZL18rocblas_dot_kernelIiLb0ELi512ELi4ELb1EfPKDF16_fEviT5_lT_lS2_lS3_liPT6_PT4_,"axG",@progbits,_ZL18rocblas_dot_kernelIiLb0ELi512ELi4ELb1EfPKDF16_fEviT5_lT_lS2_lS3_liPT6_PT4_,comdat
	.globl	_ZL18rocblas_dot_kernelIiLb0ELi512ELi4ELb1EfPKDF16_fEviT5_lT_lS2_lS3_liPT6_PT4_ ; -- Begin function _ZL18rocblas_dot_kernelIiLb0ELi512ELi4ELb1EfPKDF16_fEviT5_lT_lS2_lS3_liPT6_PT4_
	.p2align	8
	.type	_ZL18rocblas_dot_kernelIiLb0ELi512ELi4ELb1EfPKDF16_fEviT5_lT_lS2_lS3_liPT6_PT4_,@function
_ZL18rocblas_dot_kernelIiLb0ELi512ELi4ELb1EfPKDF16_fEviT5_lT_lS2_lS3_liPT6_PT4_: ; @_ZL18rocblas_dot_kernelIiLb0ELi512ELi4ELb1EfPKDF16_fEviT5_lT_lS2_lS3_liPT6_PT4_
; %bb.0:
	s_clause 0x2
	s_load_b32 s12, s[0:1], 0x60
	s_load_b32 s13, s[0:1], 0x0
	s_load_b128 s[4:7], s[0:1], 0x50
	v_lshl_or_b32 v1, s14, 9, v0
	v_mov_b32_e32 v6, 0
	s_mov_b32 s2, s15
	s_mov_b32 s3, 0
	s_mov_b32 s15, exec_lo
	s_waitcnt lgkmcnt(0)
	v_cmpx_gt_i32_e64 s13, v1
	s_cbranch_execz .LBB468_4
; %bb.1:
	s_clause 0x5
	s_load_b32 s17, s[0:1], 0x18
	s_load_b128 s[8:11], s[0:1], 0x20
	s_load_b128 s[20:23], s[0:1], 0x8
	s_load_b32 s26, s[0:1], 0x38
	s_load_b64 s[18:19], s[0:1], 0x40
	s_load_b64 s[0:1], s[0:1], 0x30
	s_lshl_b32 s16, s12, 9
	s_delay_alu instid0(SALU_CYCLE_1)
	v_add_nc_u32_e32 v5, s16, v1
	s_waitcnt lgkmcnt(0)
	v_mad_i64_i32 v[2:3], null, s17, v1, 0
	s_mul_i32 s9, s9, s2
	s_mul_hi_u32 s27, s8, s2
	v_mad_i64_i32 v[6:7], null, s26, v1, 0
	s_mul_i32 s8, s8, s2
	s_add_i32 s9, s27, s9
	s_lshl_b64 s[22:23], s[22:23], 1
	s_lshl_b64 s[8:9], s[8:9], 1
	s_add_u32 s20, s20, s22
	s_mul_hi_i32 s25, s17, s16
	s_mul_i32 s24, s17, s16
	s_mul_i32 s17, s19, s2
	s_mul_hi_u32 s19, s18, s2
	s_addc_u32 s21, s21, s23
	v_lshlrev_b64 v[1:2], 1, v[2:3]
	s_add_u32 s20, s20, s8
	s_mul_i32 s18, s18, s2
	s_addc_u32 s21, s21, s9
	s_add_i32 s19, s19, s17
	v_lshlrev_b64 v[3:4], 1, v[6:7]
	v_mov_b32_e32 v6, 0
	s_lshl_b64 s[0:1], s[0:1], 1
	s_lshl_b64 s[8:9], s[24:25], 1
	;; [unrolled: 1-line block ×3, first 2 shown]
	s_add_u32 s0, s10, s0
	v_add_co_u32 v1, vcc_lo, s20, v1
	s_addc_u32 s1, s11, s1
	s_add_u32 s0, s0, s18
	v_add_co_ci_u32_e32 v2, vcc_lo, s21, v2, vcc_lo
	s_addc_u32 s1, s1, s19
	v_add_co_u32 v3, vcc_lo, s0, v3
	v_add_co_ci_u32_e32 v4, vcc_lo, s1, v4, vcc_lo
	s_mul_hi_i32 s1, s26, s16
	s_mul_i32 s0, s26, s16
	s_mov_b32 s17, s3
	s_lshl_b64 s[10:11], s[0:1], 1
	s_mov_b32 s1, s3
	.p2align	6
.LBB468_2:                              ; =>This Inner Loop Header: Depth=1
	global_load_u16 v7, v[3:4], off
	global_load_u16 v8, v[1:2], off
	v_add_co_u32 v1, s0, v1, s8
	s_delay_alu instid0(VALU_DEP_1)
	v_add_co_ci_u32_e64 v2, s0, s9, v2, s0
	s_add_i32 s18, s17, 1
	v_cmp_le_i32_e32 vcc_lo, s13, v5
	v_add_co_u32 v3, s0, v3, s10
	s_cmp_gt_u32 s17, 2
	v_add_co_ci_u32_e64 v4, s0, s11, v4, s0
	s_cselect_b32 s0, -1, 0
	v_add_nc_u32_e32 v5, s16, v5
	s_or_b32 s0, s0, vcc_lo
	s_mov_b32 s17, s18
	s_and_b32 s0, exec_lo, s0
	s_delay_alu instid0(SALU_CYCLE_1)
	s_or_b32 s1, s0, s1
	s_waitcnt vmcnt(0)
	v_fma_mix_f32 v6, v7, v8, v6 op_sel_hi:[1,1,0]
	s_and_not1_b32 exec_lo, exec_lo, s1
	s_cbranch_execnz .LBB468_2
; %bb.3:
	s_or_b32 exec_lo, exec_lo, s1
.LBB468_4:
	s_delay_alu instid0(SALU_CYCLE_1) | instskip(SKIP_2) | instid1(VALU_DEP_2)
	s_or_b32 exec_lo, exec_lo, s15
	v_and_b32_e32 v2, 31, v0
	v_cmp_gt_u32_e32 vcc_lo, 32, v0
	v_lshlrev_b32_e32 v1, 2, v2
	s_and_saveexec_b32 s0, vcc_lo
	s_cbranch_execz .LBB468_6
; %bb.5:
	v_mov_b32_e32 v3, 0
	ds_store_b32 v1, v3
.LBB468_6:
	s_or_b32 exec_lo, exec_lo, s0
	v_mbcnt_lo_u32_b32 v7, -1, 0
	s_mov_b32 s1, exec_lo
	s_waitcnt lgkmcnt(0)
	s_barrier
	buffer_gl0_inv
	v_cmp_gt_u32_e64 s0, 16, v7
	s_delay_alu instid0(VALU_DEP_1) | instskip(SKIP_1) | instid1(VALU_DEP_2)
	v_cndmask_b32_e64 v3, 0, 1, s0
	v_cmp_gt_u32_e64 s0, 24, v7
	v_lshlrev_b32_e32 v3, 4, v3
	s_delay_alu instid0(VALU_DEP_1) | instskip(SKIP_3) | instid1(VALU_DEP_2)
	v_add_lshl_u32 v3, v3, v7, 2
	ds_bpermute_b32 v4, v3, v6
	v_cndmask_b32_e64 v3, 0, 1, s0
	v_cmp_gt_u32_e64 s0, 28, v7
	v_lshlrev_b32_e32 v3, 3, v3
	s_delay_alu instid0(VALU_DEP_1)
	v_add_lshl_u32 v3, v3, v7, 2
	s_waitcnt lgkmcnt(0)
	v_add_f32_e32 v5, v6, v4
	v_cndmask_b32_e64 v4, 0, 1, s0
	v_cmp_gt_u32_e64 s0, 30, v7
	ds_bpermute_b32 v6, v3, v5
	v_lshlrev_b32_e32 v4, 2, v4
	s_delay_alu instid0(VALU_DEP_1)
	v_add_lshl_u32 v4, v4, v7, 2
	s_waitcnt lgkmcnt(0)
	v_add_f32_e32 v6, v5, v6
	v_cndmask_b32_e64 v5, 0, 1, s0
	v_cmp_ne_u32_e64 s0, 31, v7
	ds_bpermute_b32 v8, v4, v6
	v_lshlrev_b32_e32 v5, 1, v5
	v_add_co_ci_u32_e64 v9, s0, 0, v7, s0
	s_delay_alu instid0(VALU_DEP_2)
	v_add_lshl_u32 v5, v5, v7, 2
	s_waitcnt lgkmcnt(0)
	v_add_f32_e32 v6, v6, v8
	ds_bpermute_b32 v8, v5, v6
	s_waitcnt lgkmcnt(0)
	v_dual_add_f32 v7, v6, v8 :: v_dual_lshlrev_b32 v6, 2, v9
	ds_bpermute_b32 v8, v6, v7
	v_cmpx_eq_u32_e32 0, v2
	s_cbranch_execz .LBB468_8
; %bb.7:
	v_lshrrev_b32_e32 v2, 3, v0
	s_waitcnt lgkmcnt(0)
	s_delay_alu instid0(VALU_DEP_1)
	v_dual_add_f32 v7, v7, v8 :: v_dual_and_b32 v2, 60, v2
	ds_store_b32 v2, v7
.LBB468_8:
	s_or_b32 exec_lo, exec_lo, s1
	v_mov_b32_e32 v2, 0
	s_mov_b32 s1, exec_lo
	s_waitcnt lgkmcnt(0)
	s_barrier
	buffer_gl0_inv
	v_cmpx_gt_u32_e32 16, v0
	s_cbranch_execz .LBB468_10
; %bb.9:
	ds_load_b32 v2, v1
.LBB468_10:
	s_or_b32 exec_lo, exec_lo, s1
	s_and_saveexec_b32 s0, vcc_lo
	s_cbranch_execz .LBB468_12
; %bb.11:
	s_waitcnt lgkmcnt(0)
	ds_bpermute_b32 v1, v3, v2
	s_waitcnt lgkmcnt(0)
	v_add_f32_e32 v1, v2, v1
	ds_bpermute_b32 v2, v4, v1
	s_waitcnt lgkmcnt(0)
	v_add_f32_e32 v1, v1, v2
	;; [unrolled: 3-line block ×4, first 2 shown]
.LBB468_12:
	s_or_b32 exec_lo, exec_lo, s0
	s_delay_alu instid0(SALU_CYCLE_1)
	s_mov_b32 s0, exec_lo
	v_cmpx_eq_u32_e32 0, v0
	s_cbranch_execz .LBB468_18
; %bb.13:
	s_cmp_lg_u32 s12, 1
	s_cbranch_scc0 .LBB468_15
; %bb.14:
	s_mul_hi_u32 s1, s12, s2
	s_mul_i32 s0, s12, s2
	s_mov_b32 s15, 0
	s_lshl_b64 s[0:1], s[0:1], 2
	s_delay_alu instid0(SALU_CYCLE_1) | instskip(SKIP_2) | instid1(SALU_CYCLE_1)
	s_add_u32 s4, s4, s0
	s_addc_u32 s5, s5, s1
	s_lshl_b64 s[0:1], s[14:15], 2
	s_add_u32 s0, s4, s0
	s_addc_u32 s1, s5, s1
	s_cbranch_execz .LBB468_16
	s_branch .LBB468_17
.LBB468_15:
                                        ; implicit-def: $sgpr0_sgpr1
.LBB468_16:
	s_lshl_b64 s[0:1], s[2:3], 2
	s_delay_alu instid0(SALU_CYCLE_1)
	s_add_u32 s0, s6, s0
	s_addc_u32 s1, s7, s1
.LBB468_17:
	v_mov_b32_e32 v0, 0
	s_waitcnt lgkmcnt(0)
	global_store_b32 v0, v2, s[0:1]
.LBB468_18:
	s_nop 0
	s_sendmsg sendmsg(MSG_DEALLOC_VGPRS)
	s_endpgm
	.section	.rodata,"a",@progbits
	.p2align	6, 0x0
	.amdhsa_kernel _ZL18rocblas_dot_kernelIiLb0ELi512ELi4ELb1EfPKDF16_fEviT5_lT_lS2_lS3_liPT6_PT4_
		.amdhsa_group_segment_fixed_size 128
		.amdhsa_private_segment_fixed_size 0
		.amdhsa_kernarg_size 352
		.amdhsa_user_sgpr_count 14
		.amdhsa_user_sgpr_dispatch_ptr 0
		.amdhsa_user_sgpr_queue_ptr 0
		.amdhsa_user_sgpr_kernarg_segment_ptr 1
		.amdhsa_user_sgpr_dispatch_id 0
		.amdhsa_user_sgpr_private_segment_size 0
		.amdhsa_wavefront_size32 1
		.amdhsa_uses_dynamic_stack 0
		.amdhsa_enable_private_segment 0
		.amdhsa_system_sgpr_workgroup_id_x 1
		.amdhsa_system_sgpr_workgroup_id_y 0
		.amdhsa_system_sgpr_workgroup_id_z 1
		.amdhsa_system_sgpr_workgroup_info 0
		.amdhsa_system_vgpr_workitem_id 0
		.amdhsa_next_free_vgpr 10
		.amdhsa_next_free_sgpr 28
		.amdhsa_reserve_vcc 1
		.amdhsa_float_round_mode_32 0
		.amdhsa_float_round_mode_16_64 0
		.amdhsa_float_denorm_mode_32 3
		.amdhsa_float_denorm_mode_16_64 3
		.amdhsa_dx10_clamp 1
		.amdhsa_ieee_mode 1
		.amdhsa_fp16_overflow 0
		.amdhsa_workgroup_processor_mode 1
		.amdhsa_memory_ordered 1
		.amdhsa_forward_progress 0
		.amdhsa_shared_vgpr_count 0
		.amdhsa_exception_fp_ieee_invalid_op 0
		.amdhsa_exception_fp_denorm_src 0
		.amdhsa_exception_fp_ieee_div_zero 0
		.amdhsa_exception_fp_ieee_overflow 0
		.amdhsa_exception_fp_ieee_underflow 0
		.amdhsa_exception_fp_ieee_inexact 0
		.amdhsa_exception_int_div_zero 0
	.end_amdhsa_kernel
	.section	.text._ZL18rocblas_dot_kernelIiLb0ELi512ELi4ELb1EfPKDF16_fEviT5_lT_lS2_lS3_liPT6_PT4_,"axG",@progbits,_ZL18rocblas_dot_kernelIiLb0ELi512ELi4ELb1EfPKDF16_fEviT5_lT_lS2_lS3_liPT6_PT4_,comdat
.Lfunc_end468:
	.size	_ZL18rocblas_dot_kernelIiLb0ELi512ELi4ELb1EfPKDF16_fEviT5_lT_lS2_lS3_liPT6_PT4_, .Lfunc_end468-_ZL18rocblas_dot_kernelIiLb0ELi512ELi4ELb1EfPKDF16_fEviT5_lT_lS2_lS3_liPT6_PT4_
                                        ; -- End function
	.section	.AMDGPU.csdata,"",@progbits
; Kernel info:
; codeLenInByte = 1000
; NumSgprs: 30
; NumVgprs: 10
; ScratchSize: 0
; MemoryBound: 0
; FloatMode: 240
; IeeeMode: 1
; LDSByteSize: 128 bytes/workgroup (compile time only)
; SGPRBlocks: 3
; VGPRBlocks: 1
; NumSGPRsForWavesPerEU: 30
; NumVGPRsForWavesPerEU: 10
; Occupancy: 16
; WaveLimiterHint : 0
; COMPUTE_PGM_RSRC2:SCRATCH_EN: 0
; COMPUTE_PGM_RSRC2:USER_SGPR: 14
; COMPUTE_PGM_RSRC2:TRAP_HANDLER: 0
; COMPUTE_PGM_RSRC2:TGID_X_EN: 1
; COMPUTE_PGM_RSRC2:TGID_Y_EN: 0
; COMPUTE_PGM_RSRC2:TGID_Z_EN: 1
; COMPUTE_PGM_RSRC2:TIDIG_COMP_CNT: 0
	.section	.text._ZL24rocblas_dot_kernel_magsqIiLb0ELi512ELi4ELb1EfPKDF16_fEviT5_lT_liPT6_PT4_,"axG",@progbits,_ZL24rocblas_dot_kernel_magsqIiLb0ELi512ELi4ELb1EfPKDF16_fEviT5_lT_liPT6_PT4_,comdat
	.globl	_ZL24rocblas_dot_kernel_magsqIiLb0ELi512ELi4ELb1EfPKDF16_fEviT5_lT_liPT6_PT4_ ; -- Begin function _ZL24rocblas_dot_kernel_magsqIiLb0ELi512ELi4ELb1EfPKDF16_fEviT5_lT_liPT6_PT4_
	.p2align	8
	.type	_ZL24rocblas_dot_kernel_magsqIiLb0ELi512ELi4ELb1EfPKDF16_fEviT5_lT_liPT6_PT4_,@function
_ZL24rocblas_dot_kernel_magsqIiLb0ELi512ELi4ELb1EfPKDF16_fEviT5_lT_liPT6_PT4_: ; @_ZL24rocblas_dot_kernel_magsqIiLb0ELi512ELi4ELb1EfPKDF16_fEviT5_lT_liPT6_PT4_
; %bb.0:
	s_clause 0x2
	s_load_b32 s11, s[0:1], 0x0
	s_load_b128 s[4:7], s[0:1], 0x30
	s_load_b32 s10, s[0:1], 0x40
	v_lshl_or_b32 v1, s14, 9, v0
	v_mov_b32_e32 v3, 0
	s_mov_b32 s2, s15
	s_mov_b32 s3, 0
	s_mov_b32 s12, exec_lo
	s_waitcnt lgkmcnt(0)
	v_cmpx_gt_i32_e64 s11, v1
	s_cbranch_execz .LBB469_4
; %bb.1:
	s_clause 0x2
	s_load_b32 s13, s[0:1], 0x18
	s_load_b64 s[8:9], s[0:1], 0x20
	s_load_b128 s[16:19], s[0:1], 0x8
	s_lshl_b32 s1, s10, 9
	s_mov_b32 s15, s3
	v_add_nc_u32_e32 v4, s1, v1
	s_waitcnt lgkmcnt(0)
	v_mad_i64_i32 v[2:3], null, s13, v1, 0
	s_mul_i32 s0, s9, s2
	s_mul_hi_u32 s9, s8, s2
	s_mul_i32 s8, s8, s2
	s_add_i32 s9, s9, s0
	s_lshl_b64 s[18:19], s[18:19], 1
	s_lshl_b64 s[8:9], s[8:9], 1
	s_delay_alu instid0(VALU_DEP_1)
	v_lshlrev_b64 v[1:2], 1, v[2:3]
	v_mov_b32_e32 v3, 0
	s_add_u32 s0, s16, s18
	s_mul_hi_i32 s21, s13, s1
	s_mul_i32 s20, s13, s1
	s_addc_u32 s13, s17, s19
	s_add_u32 s0, s0, s8
	s_addc_u32 s8, s13, s9
	v_add_co_u32 v1, vcc_lo, s0, v1
	v_add_co_ci_u32_e32 v2, vcc_lo, s8, v2, vcc_lo
	s_lshl_b64 s[8:9], s[20:21], 1
	s_mov_b32 s13, s3
	.p2align	6
.LBB469_2:                              ; =>This Inner Loop Header: Depth=1
	global_load_u16 v5, v[1:2], off
	s_add_i32 s16, s15, 1
	v_cmp_le_i32_e32 vcc_lo, s11, v4
	v_add_co_u32 v1, s0, v1, s8
	s_cmp_gt_u32 s15, 2
	v_add_co_ci_u32_e64 v2, s0, s9, v2, s0
	s_cselect_b32 s0, -1, 0
	v_add_nc_u32_e32 v4, s1, v4
	s_or_b32 s0, s0, vcc_lo
	s_mov_b32 s15, s16
	s_and_b32 s0, exec_lo, s0
	s_delay_alu instid0(SALU_CYCLE_1)
	s_or_b32 s13, s0, s13
	s_waitcnt vmcnt(0)
	v_fma_mix_f32 v3, v5, v5, v3 op_sel_hi:[1,1,0]
	s_and_not1_b32 exec_lo, exec_lo, s13
	s_cbranch_execnz .LBB469_2
; %bb.3:
	s_or_b32 exec_lo, exec_lo, s13
.LBB469_4:
	s_delay_alu instid0(SALU_CYCLE_1) | instskip(SKIP_2) | instid1(VALU_DEP_2)
	s_or_b32 exec_lo, exec_lo, s12
	v_and_b32_e32 v2, 31, v0
	v_cmp_gt_u32_e32 vcc_lo, 32, v0
	v_lshlrev_b32_e32 v1, 2, v2
	s_and_saveexec_b32 s0, vcc_lo
	s_cbranch_execz .LBB469_6
; %bb.5:
	v_mov_b32_e32 v4, 0
	ds_store_b32 v1, v4
.LBB469_6:
	s_or_b32 exec_lo, exec_lo, s0
	v_mbcnt_lo_u32_b32 v6, -1, 0
	s_mov_b32 s1, exec_lo
	s_waitcnt lgkmcnt(0)
	s_barrier
	buffer_gl0_inv
	v_cmp_gt_u32_e64 s0, 16, v6
	s_delay_alu instid0(VALU_DEP_1) | instskip(SKIP_1) | instid1(VALU_DEP_2)
	v_cndmask_b32_e64 v4, 0, 1, s0
	v_cmp_gt_u32_e64 s0, 24, v6
	v_lshlrev_b32_e32 v4, 4, v4
	s_delay_alu instid0(VALU_DEP_1) | instskip(SKIP_4) | instid1(VALU_DEP_2)
	v_add_lshl_u32 v4, v4, v6, 2
	ds_bpermute_b32 v5, v4, v3
	v_cndmask_b32_e64 v4, 0, 1, s0
	v_cmp_gt_u32_e64 s0, 28, v6
	s_waitcnt lgkmcnt(0)
	v_dual_add_f32 v5, v3, v5 :: v_dual_lshlrev_b32 v4, 3, v4
	s_delay_alu instid0(VALU_DEP_2) | instskip(SKIP_1) | instid1(VALU_DEP_3)
	v_cndmask_b32_e64 v3, 0, 1, s0
	v_cmp_gt_u32_e64 s0, 30, v6
	v_add_lshl_u32 v4, v4, v6, 2
	s_delay_alu instid0(VALU_DEP_3)
	v_lshlrev_b32_e32 v3, 2, v3
	ds_bpermute_b32 v7, v4, v5
	v_add_lshl_u32 v3, v3, v6, 2
	s_waitcnt lgkmcnt(0)
	v_add_f32_e32 v7, v5, v7
	v_cndmask_b32_e64 v5, 0, 1, s0
	v_cmp_ne_u32_e64 s0, 31, v6
	ds_bpermute_b32 v8, v3, v7
	v_lshlrev_b32_e32 v5, 1, v5
	s_delay_alu instid0(VALU_DEP_1) | instskip(SKIP_2) | instid1(VALU_DEP_1)
	v_add_lshl_u32 v5, v5, v6, 2
	v_add_co_ci_u32_e64 v6, s0, 0, v6, s0
	s_waitcnt lgkmcnt(0)
	v_dual_add_f32 v7, v7, v8 :: v_dual_lshlrev_b32 v6, 2, v6
	ds_bpermute_b32 v8, v5, v7
	s_waitcnt lgkmcnt(0)
	v_add_f32_e32 v7, v7, v8
	ds_bpermute_b32 v8, v6, v7
	v_cmpx_eq_u32_e32 0, v2
	s_cbranch_execz .LBB469_8
; %bb.7:
	v_lshrrev_b32_e32 v2, 3, v0
	s_waitcnt lgkmcnt(0)
	s_delay_alu instid0(VALU_DEP_1)
	v_dual_add_f32 v7, v7, v8 :: v_dual_and_b32 v2, 60, v2
	ds_store_b32 v2, v7
.LBB469_8:
	s_or_b32 exec_lo, exec_lo, s1
	v_mov_b32_e32 v2, 0
	s_mov_b32 s1, exec_lo
	s_waitcnt lgkmcnt(0)
	s_barrier
	buffer_gl0_inv
	v_cmpx_gt_u32_e32 16, v0
	s_cbranch_execz .LBB469_10
; %bb.9:
	ds_load_b32 v2, v1
.LBB469_10:
	s_or_b32 exec_lo, exec_lo, s1
	s_and_saveexec_b32 s0, vcc_lo
	s_cbranch_execz .LBB469_12
; %bb.11:
	s_waitcnt lgkmcnt(0)
	ds_bpermute_b32 v1, v4, v2
	s_waitcnt lgkmcnt(0)
	v_add_f32_e32 v1, v2, v1
	ds_bpermute_b32 v2, v3, v1
	s_waitcnt lgkmcnt(0)
	v_add_f32_e32 v1, v1, v2
	;; [unrolled: 3-line block ×4, first 2 shown]
.LBB469_12:
	s_or_b32 exec_lo, exec_lo, s0
	s_delay_alu instid0(SALU_CYCLE_1)
	s_mov_b32 s0, exec_lo
	v_cmpx_eq_u32_e32 0, v0
	s_cbranch_execz .LBB469_18
; %bb.13:
	s_cmp_lg_u32 s10, 1
	s_cbranch_scc0 .LBB469_15
; %bb.14:
	s_mul_hi_u32 s1, s10, s2
	s_mul_i32 s0, s10, s2
	s_mov_b32 s15, 0
	s_lshl_b64 s[0:1], s[0:1], 2
	s_delay_alu instid0(SALU_CYCLE_1) | instskip(SKIP_2) | instid1(SALU_CYCLE_1)
	s_add_u32 s4, s4, s0
	s_addc_u32 s5, s5, s1
	s_lshl_b64 s[0:1], s[14:15], 2
	s_add_u32 s0, s4, s0
	s_addc_u32 s1, s5, s1
	s_cbranch_execz .LBB469_16
	s_branch .LBB469_17
.LBB469_15:
                                        ; implicit-def: $sgpr0_sgpr1
.LBB469_16:
	s_lshl_b64 s[0:1], s[2:3], 2
	s_delay_alu instid0(SALU_CYCLE_1)
	s_add_u32 s0, s6, s0
	s_addc_u32 s1, s7, s1
.LBB469_17:
	v_mov_b32_e32 v0, 0
	s_waitcnt lgkmcnt(0)
	global_store_b32 v0, v2, s[0:1]
.LBB469_18:
	s_nop 0
	s_sendmsg sendmsg(MSG_DEALLOC_VGPRS)
	s_endpgm
	.section	.rodata,"a",@progbits
	.p2align	6, 0x0
	.amdhsa_kernel _ZL24rocblas_dot_kernel_magsqIiLb0ELi512ELi4ELb1EfPKDF16_fEviT5_lT_liPT6_PT4_
		.amdhsa_group_segment_fixed_size 128
		.amdhsa_private_segment_fixed_size 0
		.amdhsa_kernarg_size 320
		.amdhsa_user_sgpr_count 14
		.amdhsa_user_sgpr_dispatch_ptr 0
		.amdhsa_user_sgpr_queue_ptr 0
		.amdhsa_user_sgpr_kernarg_segment_ptr 1
		.amdhsa_user_sgpr_dispatch_id 0
		.amdhsa_user_sgpr_private_segment_size 0
		.amdhsa_wavefront_size32 1
		.amdhsa_uses_dynamic_stack 0
		.amdhsa_enable_private_segment 0
		.amdhsa_system_sgpr_workgroup_id_x 1
		.amdhsa_system_sgpr_workgroup_id_y 0
		.amdhsa_system_sgpr_workgroup_id_z 1
		.amdhsa_system_sgpr_workgroup_info 0
		.amdhsa_system_vgpr_workitem_id 0
		.amdhsa_next_free_vgpr 9
		.amdhsa_next_free_sgpr 22
		.amdhsa_reserve_vcc 1
		.amdhsa_float_round_mode_32 0
		.amdhsa_float_round_mode_16_64 0
		.amdhsa_float_denorm_mode_32 3
		.amdhsa_float_denorm_mode_16_64 3
		.amdhsa_dx10_clamp 1
		.amdhsa_ieee_mode 1
		.amdhsa_fp16_overflow 0
		.amdhsa_workgroup_processor_mode 1
		.amdhsa_memory_ordered 1
		.amdhsa_forward_progress 0
		.amdhsa_shared_vgpr_count 0
		.amdhsa_exception_fp_ieee_invalid_op 0
		.amdhsa_exception_fp_denorm_src 0
		.amdhsa_exception_fp_ieee_div_zero 0
		.amdhsa_exception_fp_ieee_overflow 0
		.amdhsa_exception_fp_ieee_underflow 0
		.amdhsa_exception_fp_ieee_inexact 0
		.amdhsa_exception_int_div_zero 0
	.end_amdhsa_kernel
	.section	.text._ZL24rocblas_dot_kernel_magsqIiLb0ELi512ELi4ELb1EfPKDF16_fEviT5_lT_liPT6_PT4_,"axG",@progbits,_ZL24rocblas_dot_kernel_magsqIiLb0ELi512ELi4ELb1EfPKDF16_fEviT5_lT_liPT6_PT4_,comdat
.Lfunc_end469:
	.size	_ZL24rocblas_dot_kernel_magsqIiLb0ELi512ELi4ELb1EfPKDF16_fEviT5_lT_liPT6_PT4_, .Lfunc_end469-_ZL24rocblas_dot_kernel_magsqIiLb0ELi512ELi4ELb1EfPKDF16_fEviT5_lT_liPT6_PT4_
                                        ; -- End function
	.section	.AMDGPU.csdata,"",@progbits
; Kernel info:
; codeLenInByte = 868
; NumSgprs: 24
; NumVgprs: 9
; ScratchSize: 0
; MemoryBound: 0
; FloatMode: 240
; IeeeMode: 1
; LDSByteSize: 128 bytes/workgroup (compile time only)
; SGPRBlocks: 2
; VGPRBlocks: 1
; NumSGPRsForWavesPerEU: 24
; NumVGPRsForWavesPerEU: 9
; Occupancy: 16
; WaveLimiterHint : 0
; COMPUTE_PGM_RSRC2:SCRATCH_EN: 0
; COMPUTE_PGM_RSRC2:USER_SGPR: 14
; COMPUTE_PGM_RSRC2:TRAP_HANDLER: 0
; COMPUTE_PGM_RSRC2:TGID_X_EN: 1
; COMPUTE_PGM_RSRC2:TGID_Y_EN: 0
; COMPUTE_PGM_RSRC2:TGID_Z_EN: 1
; COMPUTE_PGM_RSRC2:TIDIG_COMP_CNT: 0
	.section	.text._ZL28rocblas_dot_batched_4_kernelIlLi32ELi4ELb1EfDF16_PKDF16_EviT5_lT_lS2_lS3_liPT4_,"axG",@progbits,_ZL28rocblas_dot_batched_4_kernelIlLi32ELi4ELb1EfDF16_PKDF16_EviT5_lT_lS2_lS3_liPT4_,comdat
	.globl	_ZL28rocblas_dot_batched_4_kernelIlLi32ELi4ELb1EfDF16_PKDF16_EviT5_lT_lS2_lS3_liPT4_ ; -- Begin function _ZL28rocblas_dot_batched_4_kernelIlLi32ELi4ELb1EfDF16_PKDF16_EviT5_lT_lS2_lS3_liPT4_
	.p2align	8
	.type	_ZL28rocblas_dot_batched_4_kernelIlLi32ELi4ELb1EfDF16_PKDF16_EviT5_lT_lS2_lS3_liPT4_,@function
_ZL28rocblas_dot_batched_4_kernelIlLi32ELi4ELb1EfDF16_PKDF16_EviT5_lT_lS2_lS3_liPT4_: ; @_ZL28rocblas_dot_batched_4_kernelIlLi32ELi4ELb1EfDF16_PKDF16_EviT5_lT_lS2_lS3_liPT4_
; %bb.0:
	s_load_b32 s2, s[0:1], 0x48
	v_bfe_u32 v1, v0, 10, 10
	s_delay_alu instid0(VALU_DEP_1) | instskip(SKIP_1) | instid1(VALU_DEP_1)
	v_lshl_add_u32 v1, s15, 2, v1
	s_waitcnt lgkmcnt(0)
	v_cmp_gt_u32_e32 vcc_lo, s2, v1
	s_and_saveexec_b32 s2, vcc_lo
	s_cbranch_execz .LBB470_7
; %bb.1:
	s_clause 0x1
	s_load_b32 s16, s[0:1], 0x0
	s_load_b64 s[2:3], s[0:1], 0x50
	v_mov_b32_e32 v2, 0
	v_and_b32_e32 v0, 0x3ff, v0
	s_mov_b32 s17, exec_lo
	s_delay_alu instid0(VALU_DEP_2) | instskip(SKIP_1) | instid1(VALU_DEP_2)
	v_mov_b32_e32 v7, v2
	s_waitcnt lgkmcnt(0)
	v_cmpx_gt_i32_e64 s16, v0
	s_cbranch_execz .LBB470_5
; %bb.2:
	s_clause 0x3
	s_load_b128 s[12:15], s[0:1], 0x10
	s_load_b256 s[4:11], s[0:1], 0x20
	s_load_b64 s[18:19], s[0:1], 0x40
	s_load_b64 s[0:1], s[0:1], 0x8
	s_waitcnt lgkmcnt(0)
	v_mad_u64_u32 v[3:4], null, s14, v0, 0
	v_mad_u64_u32 v[5:6], null, s4, v1, 0
	v_mad_u64_u32 v[8:9], null, s10, v0, 0
	v_mad_u64_u32 v[10:11], null, s18, v1, 0
	s_lshl_b64 s[12:13], s[12:13], 1
	s_delay_alu instid0(VALU_DEP_3) | instskip(SKIP_4) | instid1(VALU_DEP_2)
	v_mad_u64_u32 v[12:13], null, s15, v0, v[4:5]
	v_mov_b32_e32 v7, 0
	s_add_u32 s12, s0, s12
	s_addc_u32 s13, s1, s13
	s_lshl_b64 s[0:1], s[8:9], 1
	v_mov_b32_e32 v4, v12
	v_mad_u64_u32 v[13:14], null, s5, v1, v[6:7]
	v_mad_u64_u32 v[14:15], null, s11, v0, v[9:10]
	;; [unrolled: 1-line block ×3, first 2 shown]
	s_delay_alu instid0(VALU_DEP_4) | instskip(SKIP_1) | instid1(VALU_DEP_4)
	v_lshlrev_b64 v[3:4], 1, v[3:4]
	s_lshl_b64 s[4:5], s[14:15], 6
	v_mov_b32_e32 v6, v13
	s_add_u32 s0, s6, s0
	s_delay_alu instid0(VALU_DEP_4) | instskip(SKIP_1) | instid1(VALU_DEP_4)
	v_mov_b32_e32 v9, v14
	s_addc_u32 s1, s7, s1
	v_mov_b32_e32 v11, v15
	v_lshlrev_b64 v[5:6], 1, v[5:6]
	s_lshl_b64 s[6:7], s[10:11], 6
	v_lshlrev_b64 v[8:9], 1, v[8:9]
	s_delay_alu instid0(VALU_DEP_3) | instskip(NEXT) | instid1(VALU_DEP_3)
	v_lshlrev_b64 v[10:11], 1, v[10:11]
	v_add_co_u32 v3, vcc_lo, v3, v5
	s_delay_alu instid0(VALU_DEP_4) | instskip(NEXT) | instid1(VALU_DEP_3)
	v_add_co_ci_u32_e32 v4, vcc_lo, v4, v6, vcc_lo
	v_add_co_u32 v5, vcc_lo, v8, v10
	v_mov_b32_e32 v8, v0
	v_add_co_ci_u32_e32 v6, vcc_lo, v9, v11, vcc_lo
	v_add_co_u32 v3, vcc_lo, s12, v3
	v_add_co_ci_u32_e32 v4, vcc_lo, s13, v4, vcc_lo
	v_add_co_u32 v5, vcc_lo, s0, v5
	s_delay_alu instid0(VALU_DEP_4)
	v_add_co_ci_u32_e32 v6, vcc_lo, s1, v6, vcc_lo
	s_mov_b32 s1, 0
	.p2align	6
.LBB470_3:                              ; =>This Inner Loop Header: Depth=1
	global_load_u16 v9, v[3:4], off
	global_load_u16 v10, v[5:6], off
	v_add_nc_u32_e32 v8, 32, v8
	v_add_co_u32 v3, vcc_lo, v3, s4
	v_add_co_ci_u32_e32 v4, vcc_lo, s5, v4, vcc_lo
	v_add_co_u32 v5, vcc_lo, v5, s6
	s_delay_alu instid0(VALU_DEP_4) | instskip(SKIP_1) | instid1(VALU_DEP_2)
	v_cmp_le_i32_e64 s0, s16, v8
	v_add_co_ci_u32_e32 v6, vcc_lo, s7, v6, vcc_lo
	s_or_b32 s1, s0, s1
	s_waitcnt vmcnt(0)
	v_fma_mix_f32 v7, v9, v10, v7 op_sel_hi:[1,1,0]
	s_and_not1_b32 exec_lo, exec_lo, s1
	s_cbranch_execnz .LBB470_3
; %bb.4:
	s_or_b32 exec_lo, exec_lo, s1
.LBB470_5:
	s_delay_alu instid0(SALU_CYCLE_1)
	s_or_b32 exec_lo, exec_lo, s17
	v_mbcnt_lo_u32_b32 v3, -1, 0
	s_barrier
	buffer_gl0_inv
	v_cmp_gt_u32_e32 vcc_lo, 16, v3
	v_cndmask_b32_e64 v4, 0, 1, vcc_lo
	v_cmp_gt_u32_e32 vcc_lo, 24, v3
	s_delay_alu instid0(VALU_DEP_2) | instskip(SKIP_2) | instid1(VALU_DEP_3)
	v_lshlrev_b32_e32 v4, 4, v4
	v_cndmask_b32_e64 v5, 0, 1, vcc_lo
	v_cmp_gt_u32_e32 vcc_lo, 28, v3
	v_add_lshl_u32 v4, v4, v3, 2
	v_cndmask_b32_e64 v6, 0, 1, vcc_lo
	v_cmp_gt_u32_e32 vcc_lo, 30, v3
	ds_bpermute_b32 v4, v4, v7
	v_lshlrev_b32_e32 v5, 3, v5
	v_lshlrev_b32_e32 v6, 2, v6
	s_delay_alu instid0(VALU_DEP_1)
	v_add_lshl_u32 v6, v6, v3, 2
	s_waitcnt lgkmcnt(0)
	v_add_f32_e32 v4, v7, v4
	v_add_lshl_u32 v5, v5, v3, 2
	ds_bpermute_b32 v5, v5, v4
	s_waitcnt lgkmcnt(0)
	v_add_f32_e32 v4, v4, v5
	ds_bpermute_b32 v5, v6, v4
	v_cndmask_b32_e64 v6, 0, 1, vcc_lo
	v_cmp_ne_u32_e32 vcc_lo, 31, v3
	s_delay_alu instid0(VALU_DEP_2) | instskip(NEXT) | instid1(VALU_DEP_1)
	v_lshlrev_b32_e32 v6, 1, v6
	v_add_lshl_u32 v6, v6, v3, 2
	s_waitcnt lgkmcnt(0)
	v_add_f32_e32 v4, v4, v5
	ds_bpermute_b32 v5, v6, v4
	v_add_co_ci_u32_e32 v6, vcc_lo, 0, v3, vcc_lo
	v_cmp_eq_u32_e32 vcc_lo, 0, v0
	s_waitcnt lgkmcnt(0)
	s_delay_alu instid0(VALU_DEP_2)
	v_dual_add_f32 v3, v4, v5 :: v_dual_lshlrev_b32 v4, 2, v6
	ds_bpermute_b32 v4, v4, v3
	s_and_b32 exec_lo, exec_lo, vcc_lo
	s_cbranch_execz .LBB470_7
; %bb.6:
	v_lshlrev_b64 v[0:1], 1, v[1:2]
	s_waitcnt lgkmcnt(0)
	v_add_f32_e32 v2, v3, v4
	s_delay_alu instid0(VALU_DEP_1) | instskip(NEXT) | instid1(VALU_DEP_3)
	v_cvt_f16_f32_e32 v2, v2
	v_add_co_u32 v0, vcc_lo, s2, v0
	s_delay_alu instid0(VALU_DEP_4)
	v_add_co_ci_u32_e32 v1, vcc_lo, s3, v1, vcc_lo
	global_store_b16 v[0:1], v2, off
.LBB470_7:
	s_nop 0
	s_sendmsg sendmsg(MSG_DEALLOC_VGPRS)
	s_endpgm
	.section	.rodata,"a",@progbits
	.p2align	6, 0x0
	.amdhsa_kernel _ZL28rocblas_dot_batched_4_kernelIlLi32ELi4ELb1EfDF16_PKDF16_EviT5_lT_lS2_lS3_liPT4_
		.amdhsa_group_segment_fixed_size 0
		.amdhsa_private_segment_fixed_size 0
		.amdhsa_kernarg_size 88
		.amdhsa_user_sgpr_count 15
		.amdhsa_user_sgpr_dispatch_ptr 0
		.amdhsa_user_sgpr_queue_ptr 0
		.amdhsa_user_sgpr_kernarg_segment_ptr 1
		.amdhsa_user_sgpr_dispatch_id 0
		.amdhsa_user_sgpr_private_segment_size 0
		.amdhsa_wavefront_size32 1
		.amdhsa_uses_dynamic_stack 0
		.amdhsa_enable_private_segment 0
		.amdhsa_system_sgpr_workgroup_id_x 1
		.amdhsa_system_sgpr_workgroup_id_y 0
		.amdhsa_system_sgpr_workgroup_id_z 0
		.amdhsa_system_sgpr_workgroup_info 0
		.amdhsa_system_vgpr_workitem_id 1
		.amdhsa_next_free_vgpr 17
		.amdhsa_next_free_sgpr 20
		.amdhsa_reserve_vcc 1
		.amdhsa_float_round_mode_32 0
		.amdhsa_float_round_mode_16_64 0
		.amdhsa_float_denorm_mode_32 3
		.amdhsa_float_denorm_mode_16_64 3
		.amdhsa_dx10_clamp 1
		.amdhsa_ieee_mode 1
		.amdhsa_fp16_overflow 0
		.amdhsa_workgroup_processor_mode 1
		.amdhsa_memory_ordered 1
		.amdhsa_forward_progress 0
		.amdhsa_shared_vgpr_count 0
		.amdhsa_exception_fp_ieee_invalid_op 0
		.amdhsa_exception_fp_denorm_src 0
		.amdhsa_exception_fp_ieee_div_zero 0
		.amdhsa_exception_fp_ieee_overflow 0
		.amdhsa_exception_fp_ieee_underflow 0
		.amdhsa_exception_fp_ieee_inexact 0
		.amdhsa_exception_int_div_zero 0
	.end_amdhsa_kernel
	.section	.text._ZL28rocblas_dot_batched_4_kernelIlLi32ELi4ELb1EfDF16_PKDF16_EviT5_lT_lS2_lS3_liPT4_,"axG",@progbits,_ZL28rocblas_dot_batched_4_kernelIlLi32ELi4ELb1EfDF16_PKDF16_EviT5_lT_lS2_lS3_liPT4_,comdat
.Lfunc_end470:
	.size	_ZL28rocblas_dot_batched_4_kernelIlLi32ELi4ELb1EfDF16_PKDF16_EviT5_lT_lS2_lS3_liPT4_, .Lfunc_end470-_ZL28rocblas_dot_batched_4_kernelIlLi32ELi4ELb1EfDF16_PKDF16_EviT5_lT_lS2_lS3_liPT4_
                                        ; -- End function
	.section	.AMDGPU.csdata,"",@progbits
; Kernel info:
; codeLenInByte = 752
; NumSgprs: 22
; NumVgprs: 17
; ScratchSize: 0
; MemoryBound: 0
; FloatMode: 240
; IeeeMode: 1
; LDSByteSize: 0 bytes/workgroup (compile time only)
; SGPRBlocks: 2
; VGPRBlocks: 2
; NumSGPRsForWavesPerEU: 22
; NumVGPRsForWavesPerEU: 17
; Occupancy: 16
; WaveLimiterHint : 0
; COMPUTE_PGM_RSRC2:SCRATCH_EN: 0
; COMPUTE_PGM_RSRC2:USER_SGPR: 15
; COMPUTE_PGM_RSRC2:TRAP_HANDLER: 0
; COMPUTE_PGM_RSRC2:TGID_X_EN: 1
; COMPUTE_PGM_RSRC2:TGID_Y_EN: 0
; COMPUTE_PGM_RSRC2:TGID_Z_EN: 0
; COMPUTE_PGM_RSRC2:TIDIG_COMP_CNT: 1
	.section	.text._ZL28rocblas_dot_batched_4_kernelIlLi64ELi4ELb1EfDF16_PKDF16_EviT5_lT_lS2_lS3_liPT4_,"axG",@progbits,_ZL28rocblas_dot_batched_4_kernelIlLi64ELi4ELb1EfDF16_PKDF16_EviT5_lT_lS2_lS3_liPT4_,comdat
	.globl	_ZL28rocblas_dot_batched_4_kernelIlLi64ELi4ELb1EfDF16_PKDF16_EviT5_lT_lS2_lS3_liPT4_ ; -- Begin function _ZL28rocblas_dot_batched_4_kernelIlLi64ELi4ELb1EfDF16_PKDF16_EviT5_lT_lS2_lS3_liPT4_
	.p2align	8
	.type	_ZL28rocblas_dot_batched_4_kernelIlLi64ELi4ELb1EfDF16_PKDF16_EviT5_lT_lS2_lS3_liPT4_,@function
_ZL28rocblas_dot_batched_4_kernelIlLi64ELi4ELb1EfDF16_PKDF16_EviT5_lT_lS2_lS3_liPT4_: ; @_ZL28rocblas_dot_batched_4_kernelIlLi64ELi4ELb1EfDF16_PKDF16_EviT5_lT_lS2_lS3_liPT4_
; %bb.0:
	s_load_b32 s2, s[0:1], 0x48
	v_bfe_u32 v1, v0, 10, 10
	s_delay_alu instid0(VALU_DEP_1) | instskip(SKIP_1) | instid1(VALU_DEP_1)
	v_lshl_add_u32 v1, s15, 2, v1
	s_waitcnt lgkmcnt(0)
	v_cmp_gt_u32_e32 vcc_lo, s2, v1
	s_and_saveexec_b32 s2, vcc_lo
	s_cbranch_execz .LBB471_7
; %bb.1:
	s_clause 0x1
	s_load_b32 s16, s[0:1], 0x0
	s_load_b64 s[2:3], s[0:1], 0x50
	v_mov_b32_e32 v2, 0
	v_and_b32_e32 v0, 0x3ff, v0
	s_mov_b32 s17, exec_lo
	s_delay_alu instid0(VALU_DEP_2) | instskip(SKIP_1) | instid1(VALU_DEP_2)
	v_mov_b32_e32 v7, v2
	s_waitcnt lgkmcnt(0)
	v_cmpx_gt_i32_e64 s16, v0
	s_cbranch_execz .LBB471_5
; %bb.2:
	s_clause 0x3
	s_load_b128 s[12:15], s[0:1], 0x10
	s_load_b256 s[4:11], s[0:1], 0x20
	s_load_b64 s[18:19], s[0:1], 0x40
	s_load_b64 s[0:1], s[0:1], 0x8
	s_waitcnt lgkmcnt(0)
	v_mad_u64_u32 v[3:4], null, s14, v0, 0
	v_mad_u64_u32 v[5:6], null, s4, v1, 0
	;; [unrolled: 1-line block ×4, first 2 shown]
	s_lshl_b64 s[12:13], s[12:13], 1
	s_delay_alu instid0(VALU_DEP_3) | instskip(SKIP_4) | instid1(VALU_DEP_2)
	v_mad_u64_u32 v[12:13], null, s15, v0, v[4:5]
	v_mov_b32_e32 v7, 0
	s_add_u32 s12, s0, s12
	s_addc_u32 s13, s1, s13
	s_lshl_b64 s[0:1], s[8:9], 1
	v_mov_b32_e32 v4, v12
	v_mad_u64_u32 v[13:14], null, s5, v1, v[6:7]
	v_mad_u64_u32 v[14:15], null, s11, v0, v[9:10]
	;; [unrolled: 1-line block ×3, first 2 shown]
	s_delay_alu instid0(VALU_DEP_4) | instskip(SKIP_1) | instid1(VALU_DEP_4)
	v_lshlrev_b64 v[3:4], 1, v[3:4]
	s_lshl_b64 s[4:5], s[14:15], 7
	v_mov_b32_e32 v6, v13
	s_add_u32 s0, s6, s0
	s_delay_alu instid0(VALU_DEP_4) | instskip(SKIP_1) | instid1(VALU_DEP_4)
	v_mov_b32_e32 v9, v14
	s_addc_u32 s1, s7, s1
	v_mov_b32_e32 v11, v15
	v_lshlrev_b64 v[5:6], 1, v[5:6]
	s_lshl_b64 s[6:7], s[10:11], 7
	v_lshlrev_b64 v[8:9], 1, v[8:9]
	s_delay_alu instid0(VALU_DEP_3) | instskip(NEXT) | instid1(VALU_DEP_3)
	v_lshlrev_b64 v[10:11], 1, v[10:11]
	v_add_co_u32 v3, vcc_lo, v3, v5
	s_delay_alu instid0(VALU_DEP_4) | instskip(NEXT) | instid1(VALU_DEP_3)
	v_add_co_ci_u32_e32 v4, vcc_lo, v4, v6, vcc_lo
	v_add_co_u32 v5, vcc_lo, v8, v10
	v_mov_b32_e32 v8, v0
	v_add_co_ci_u32_e32 v6, vcc_lo, v9, v11, vcc_lo
	v_add_co_u32 v3, vcc_lo, s12, v3
	v_add_co_ci_u32_e32 v4, vcc_lo, s13, v4, vcc_lo
	v_add_co_u32 v5, vcc_lo, s0, v5
	s_delay_alu instid0(VALU_DEP_4)
	v_add_co_ci_u32_e32 v6, vcc_lo, s1, v6, vcc_lo
	s_mov_b32 s1, 0
	.p2align	6
.LBB471_3:                              ; =>This Inner Loop Header: Depth=1
	global_load_u16 v9, v[3:4], off
	global_load_u16 v10, v[5:6], off
	v_add_nc_u32_e32 v8, 64, v8
	v_add_co_u32 v3, vcc_lo, v3, s4
	v_add_co_ci_u32_e32 v4, vcc_lo, s5, v4, vcc_lo
	v_add_co_u32 v5, vcc_lo, v5, s6
	s_delay_alu instid0(VALU_DEP_4) | instskip(SKIP_1) | instid1(VALU_DEP_2)
	v_cmp_le_i32_e64 s0, s16, v8
	v_add_co_ci_u32_e32 v6, vcc_lo, s7, v6, vcc_lo
	s_or_b32 s1, s0, s1
	s_waitcnt vmcnt(0)
	v_fma_mix_f32 v7, v9, v10, v7 op_sel_hi:[1,1,0]
	s_and_not1_b32 exec_lo, exec_lo, s1
	s_cbranch_execnz .LBB471_3
; %bb.4:
	s_or_b32 exec_lo, exec_lo, s1
.LBB471_5:
	s_delay_alu instid0(SALU_CYCLE_1)
	s_or_b32 exec_lo, exec_lo, s17
	v_mbcnt_lo_u32_b32 v3, -1, 0
	s_barrier
	buffer_gl0_inv
	v_lshlrev_b32_e32 v4, 2, v3
	v_cmp_gt_u32_e32 vcc_lo, 16, v3
	ds_bpermute_b32 v4, v4, v7
	v_cndmask_b32_e64 v5, 0, 1, vcc_lo
	v_cmp_gt_u32_e32 vcc_lo, 24, v3
	s_delay_alu instid0(VALU_DEP_2) | instskip(SKIP_2) | instid1(VALU_DEP_2)
	v_lshlrev_b32_e32 v5, 4, v5
	v_cndmask_b32_e64 v6, 0, 1, vcc_lo
	v_cmp_gt_u32_e32 vcc_lo, 28, v3
	v_lshlrev_b32_e32 v6, 3, v6
	s_delay_alu instid0(VALU_DEP_1)
	v_add_lshl_u32 v6, v6, v3, 2
	s_waitcnt lgkmcnt(0)
	v_add_f32_e32 v4, v7, v4
	v_add_lshl_u32 v5, v5, v3, 2
	ds_bpermute_b32 v5, v5, v4
	s_waitcnt lgkmcnt(0)
	v_add_f32_e32 v4, v4, v5
	ds_bpermute_b32 v5, v6, v4
	v_cndmask_b32_e64 v6, 0, 1, vcc_lo
	v_cmp_gt_u32_e32 vcc_lo, 30, v3
	s_delay_alu instid0(VALU_DEP_2) | instskip(NEXT) | instid1(VALU_DEP_1)
	v_lshlrev_b32_e32 v6, 2, v6
	v_add_lshl_u32 v6, v6, v3, 2
	s_waitcnt lgkmcnt(0)
	v_add_f32_e32 v4, v4, v5
	ds_bpermute_b32 v5, v6, v4
	v_cndmask_b32_e64 v6, 0, 1, vcc_lo
	v_cmp_ne_u32_e32 vcc_lo, 31, v3
	s_delay_alu instid0(VALU_DEP_2) | instskip(NEXT) | instid1(VALU_DEP_1)
	v_lshlrev_b32_e32 v6, 1, v6
	v_add_lshl_u32 v6, v6, v3, 2
	s_waitcnt lgkmcnt(0)
	v_add_f32_e32 v4, v4, v5
	ds_bpermute_b32 v5, v6, v4
	v_add_co_ci_u32_e32 v6, vcc_lo, 0, v3, vcc_lo
	v_cmp_eq_u32_e32 vcc_lo, 0, v0
	s_waitcnt lgkmcnt(0)
	s_delay_alu instid0(VALU_DEP_2)
	v_dual_add_f32 v3, v4, v5 :: v_dual_lshlrev_b32 v4, 2, v6
	ds_bpermute_b32 v4, v4, v3
	s_and_b32 exec_lo, exec_lo, vcc_lo
	s_cbranch_execz .LBB471_7
; %bb.6:
	v_lshlrev_b64 v[0:1], 1, v[1:2]
	s_waitcnt lgkmcnt(0)
	v_add_f32_e32 v2, v3, v4
	s_delay_alu instid0(VALU_DEP_1) | instskip(NEXT) | instid1(VALU_DEP_3)
	v_cvt_f16_f32_e32 v2, v2
	v_add_co_u32 v0, vcc_lo, s2, v0
	s_delay_alu instid0(VALU_DEP_4)
	v_add_co_ci_u32_e32 v1, vcc_lo, s3, v1, vcc_lo
	global_store_b16 v[0:1], v2, off
.LBB471_7:
	s_nop 0
	s_sendmsg sendmsg(MSG_DEALLOC_VGPRS)
	s_endpgm
	.section	.rodata,"a",@progbits
	.p2align	6, 0x0
	.amdhsa_kernel _ZL28rocblas_dot_batched_4_kernelIlLi64ELi4ELb1EfDF16_PKDF16_EviT5_lT_lS2_lS3_liPT4_
		.amdhsa_group_segment_fixed_size 0
		.amdhsa_private_segment_fixed_size 0
		.amdhsa_kernarg_size 88
		.amdhsa_user_sgpr_count 15
		.amdhsa_user_sgpr_dispatch_ptr 0
		.amdhsa_user_sgpr_queue_ptr 0
		.amdhsa_user_sgpr_kernarg_segment_ptr 1
		.amdhsa_user_sgpr_dispatch_id 0
		.amdhsa_user_sgpr_private_segment_size 0
		.amdhsa_wavefront_size32 1
		.amdhsa_uses_dynamic_stack 0
		.amdhsa_enable_private_segment 0
		.amdhsa_system_sgpr_workgroup_id_x 1
		.amdhsa_system_sgpr_workgroup_id_y 0
		.amdhsa_system_sgpr_workgroup_id_z 0
		.amdhsa_system_sgpr_workgroup_info 0
		.amdhsa_system_vgpr_workitem_id 1
		.amdhsa_next_free_vgpr 17
		.amdhsa_next_free_sgpr 20
		.amdhsa_reserve_vcc 1
		.amdhsa_float_round_mode_32 0
		.amdhsa_float_round_mode_16_64 0
		.amdhsa_float_denorm_mode_32 3
		.amdhsa_float_denorm_mode_16_64 3
		.amdhsa_dx10_clamp 1
		.amdhsa_ieee_mode 1
		.amdhsa_fp16_overflow 0
		.amdhsa_workgroup_processor_mode 1
		.amdhsa_memory_ordered 1
		.amdhsa_forward_progress 0
		.amdhsa_shared_vgpr_count 0
		.amdhsa_exception_fp_ieee_invalid_op 0
		.amdhsa_exception_fp_denorm_src 0
		.amdhsa_exception_fp_ieee_div_zero 0
		.amdhsa_exception_fp_ieee_overflow 0
		.amdhsa_exception_fp_ieee_underflow 0
		.amdhsa_exception_fp_ieee_inexact 0
		.amdhsa_exception_int_div_zero 0
	.end_amdhsa_kernel
	.section	.text._ZL28rocblas_dot_batched_4_kernelIlLi64ELi4ELb1EfDF16_PKDF16_EviT5_lT_lS2_lS3_liPT4_,"axG",@progbits,_ZL28rocblas_dot_batched_4_kernelIlLi64ELi4ELb1EfDF16_PKDF16_EviT5_lT_lS2_lS3_liPT4_,comdat
.Lfunc_end471:
	.size	_ZL28rocblas_dot_batched_4_kernelIlLi64ELi4ELb1EfDF16_PKDF16_EviT5_lT_lS2_lS3_liPT4_, .Lfunc_end471-_ZL28rocblas_dot_batched_4_kernelIlLi64ELi4ELb1EfDF16_PKDF16_EviT5_lT_lS2_lS3_liPT4_
                                        ; -- End function
	.section	.AMDGPU.csdata,"",@progbits
; Kernel info:
; codeLenInByte = 776
; NumSgprs: 22
; NumVgprs: 17
; ScratchSize: 0
; MemoryBound: 0
; FloatMode: 240
; IeeeMode: 1
; LDSByteSize: 0 bytes/workgroup (compile time only)
; SGPRBlocks: 2
; VGPRBlocks: 2
; NumSGPRsForWavesPerEU: 22
; NumVGPRsForWavesPerEU: 17
; Occupancy: 16
; WaveLimiterHint : 0
; COMPUTE_PGM_RSRC2:SCRATCH_EN: 0
; COMPUTE_PGM_RSRC2:USER_SGPR: 15
; COMPUTE_PGM_RSRC2:TRAP_HANDLER: 0
; COMPUTE_PGM_RSRC2:TGID_X_EN: 1
; COMPUTE_PGM_RSRC2:TGID_Y_EN: 0
; COMPUTE_PGM_RSRC2:TGID_Z_EN: 0
; COMPUTE_PGM_RSRC2:TIDIG_COMP_CNT: 1
	.section	.text._ZL18rocblas_dot_kernelIlLb1ELi1024ELi32ELb1EDF16_PKDF16_fEviT5_lT_lS2_lS3_liPT6_PT4_,"axG",@progbits,_ZL18rocblas_dot_kernelIlLb1ELi1024ELi32ELb1EDF16_PKDF16_fEviT5_lT_lS2_lS3_liPT6_PT4_,comdat
	.globl	_ZL18rocblas_dot_kernelIlLb1ELi1024ELi32ELb1EDF16_PKDF16_fEviT5_lT_lS2_lS3_liPT6_PT4_ ; -- Begin function _ZL18rocblas_dot_kernelIlLb1ELi1024ELi32ELb1EDF16_PKDF16_fEviT5_lT_lS2_lS3_liPT6_PT4_
	.p2align	8
	.type	_ZL18rocblas_dot_kernelIlLb1ELi1024ELi32ELb1EDF16_PKDF16_fEviT5_lT_lS2_lS3_liPT6_PT4_,@function
_ZL18rocblas_dot_kernelIlLb1ELi1024ELi32ELb1EDF16_PKDF16_fEviT5_lT_lS2_lS3_liPT6_PT4_: ; @_ZL18rocblas_dot_kernelIlLb1ELi1024ELi32ELb1EDF16_PKDF16_fEviT5_lT_lS2_lS3_liPT6_PT4_
; %bb.0:
	s_clause 0x1
	s_load_b32 s18, s[0:1], 0x0
	s_load_b64 s[2:3], s[0:1], 0x58
	v_mov_b32_e32 v6, 0
	s_mov_b32 s16, s15
	s_mov_b32 s17, 0
	s_mov_b32 s19, exec_lo
	s_waitcnt lgkmcnt(0)
	v_cmpx_gt_i32_e64 s18, v0
	s_cbranch_execz .LBB472_4
; %bb.1:
	s_clause 0x4
	s_load_b32 s24, s[0:1], 0x60
	s_load_b256 s[4:11], s[0:1], 0x20
	s_load_b128 s[12:15], s[0:1], 0x10
	s_load_b64 s[20:21], s[0:1], 0x40
	s_load_b64 s[22:23], s[0:1], 0x8
	s_waitcnt lgkmcnt(0)
	s_lshl_b32 s1, s24, 10
	v_mad_u64_u32 v[3:4], null, s10, v0, 0
	v_mad_u64_u32 v[1:2], null, s14, v0, 0
	v_or_b32_e32 v5, s1, v0
	s_mul_i32 s0, s5, s16
	s_mul_hi_u32 s5, s4, s16
	s_mul_i32 s4, s4, s16
	s_add_i32 s5, s5, s0
	s_lshl_b64 s[12:13], s[12:13], 1
	s_delay_alu instid0(VALU_DEP_2)
	v_mad_u64_u32 v[6:7], null, s15, v0, v[2:3]
	v_mad_u64_u32 v[7:8], null, s11, v0, v[4:5]
	s_lshl_b64 s[4:5], s[4:5], 1
	s_add_u32 s12, s22, s12
	s_addc_u32 s13, s23, s13
	s_add_u32 s22, s12, s4
	s_delay_alu instid0(VALU_DEP_2)
	v_mov_b32_e32 v2, v6
	s_addc_u32 s23, s13, s5
	s_ashr_i32 s4, s1, 31
	s_mul_hi_u32 s0, s14, s1
	s_mul_i32 s5, s14, s4
	v_mov_b32_e32 v4, v7
	s_mul_i32 s21, s21, s16
	s_mul_hi_u32 s25, s20, s16
	s_mul_i32 s26, s15, s1
	s_add_i32 s0, s0, s5
	v_lshlrev_b64 v[1:2], 1, v[1:2]
	s_mul_i32 s20, s20, s16
	s_mul_i32 s24, s14, s1
	s_add_i32 s21, s25, s21
	s_add_i32 s25, s0, s26
	s_lshl_b64 s[8:9], s[8:9], 1
	v_lshlrev_b64 v[3:4], 1, v[3:4]
	s_lshl_b64 s[12:13], s[20:21], 1
	s_mul_i32 s0, s10, s4
	s_lshl_b64 s[4:5], s[24:25], 1
	s_add_u32 s6, s6, s8
	s_addc_u32 s7, s7, s9
	v_add_co_u32 v1, vcc_lo, s22, v1
	s_add_u32 s6, s6, s12
	v_add_co_ci_u32_e32 v2, vcc_lo, s23, v2, vcc_lo
	s_mul_hi_u32 s8, s10, s1
	s_addc_u32 s7, s7, s13
	v_add_co_u32 v3, vcc_lo, s6, v3
	s_add_i32 s0, s8, s0
	s_mul_i32 s8, s11, s1
	v_add_co_ci_u32_e32 v4, vcc_lo, s7, v4, vcc_lo
	v_mov_b32_e32 v6, 0
	s_add_i32 s7, s0, s8
	s_mul_i32 s6, s10, s1
	s_mov_b32 s8, s17
	s_lshl_b64 s[6:7], s[6:7], 1
	s_mov_b32 s9, s17
	.p2align	6
.LBB472_2:                              ; =>This Inner Loop Header: Depth=1
	global_load_u16 v7, v[3:4], off
	global_load_u16 v8, v[1:2], off
	v_add_co_u32 v1, s0, v1, s4
	s_delay_alu instid0(VALU_DEP_1)
	v_add_co_ci_u32_e64 v2, s0, s5, v2, s0
	s_add_i32 s10, s9, 1
	v_cmp_le_i32_e32 vcc_lo, s18, v5
	v_add_co_u32 v3, s0, v3, s6
	s_cmp_gt_u32 s9, 30
	v_add_co_ci_u32_e64 v4, s0, s7, v4, s0
	s_cselect_b32 s0, -1, 0
	v_add_nc_u32_e32 v5, s1, v5
	s_or_b32 s0, s0, vcc_lo
	s_mov_b32 s9, s10
	s_and_b32 s0, exec_lo, s0
	s_delay_alu instid0(SALU_CYCLE_1)
	s_or_b32 s8, s0, s8
	s_waitcnt vmcnt(0)
	v_fma_mix_f32 v6, v7, v8, v6 op_sel_hi:[1,1,0]
	s_and_not1_b32 exec_lo, exec_lo, s8
	s_cbranch_execnz .LBB472_2
; %bb.3:
	s_or_b32 exec_lo, exec_lo, s8
.LBB472_4:
	s_delay_alu instid0(SALU_CYCLE_1) | instskip(SKIP_2) | instid1(VALU_DEP_2)
	s_or_b32 exec_lo, exec_lo, s19
	v_and_b32_e32 v7, 31, v0
	v_cmp_gt_u32_e32 vcc_lo, 32, v0
	v_lshlrev_b32_e32 v1, 2, v7
	s_and_saveexec_b32 s0, vcc_lo
	s_cbranch_execz .LBB472_6
; %bb.5:
	v_mov_b32_e32 v2, 0
	ds_store_b32 v1, v2
.LBB472_6:
	s_or_b32 exec_lo, exec_lo, s0
	v_mbcnt_lo_u32_b32 v8, -1, 0
	s_mov_b32 s1, exec_lo
	s_waitcnt lgkmcnt(0)
	s_barrier
	buffer_gl0_inv
	v_cmp_gt_u32_e64 s0, 16, v8
	s_delay_alu instid0(VALU_DEP_1) | instskip(SKIP_1) | instid1(VALU_DEP_2)
	v_cndmask_b32_e64 v2, 0, 1, s0
	v_cmp_gt_u32_e64 s0, 24, v8
	v_lshlrev_b32_e32 v2, 4, v2
	s_delay_alu instid0(VALU_DEP_2) | instskip(SKIP_1) | instid1(VALU_DEP_3)
	v_cndmask_b32_e64 v3, 0, 1, s0
	v_cmp_gt_u32_e64 s0, 28, v8
	v_add_lshl_u32 v2, v2, v8, 2
	ds_bpermute_b32 v4, v2, v6
	s_waitcnt lgkmcnt(0)
	v_add_f32_e32 v5, v6, v4
	v_lshlrev_b32_e32 v3, 3, v3
	v_cndmask_b32_e64 v4, 0, 1, s0
	v_cmp_gt_u32_e64 s0, 30, v8
	s_delay_alu instid0(VALU_DEP_3) | instskip(NEXT) | instid1(VALU_DEP_3)
	v_add_lshl_u32 v3, v3, v8, 2
	v_lshlrev_b32_e32 v4, 2, v4
	ds_bpermute_b32 v6, v3, v5
	v_add_lshl_u32 v4, v4, v8, 2
	s_waitcnt lgkmcnt(0)
	v_add_f32_e32 v6, v5, v6
	v_cndmask_b32_e64 v5, 0, 1, s0
	v_cmp_ne_u32_e64 s0, 31, v8
	ds_bpermute_b32 v9, v4, v6
	v_lshlrev_b32_e32 v5, 1, v5
	v_add_co_ci_u32_e64 v10, s0, 0, v8, s0
	s_delay_alu instid0(VALU_DEP_2)
	v_add_lshl_u32 v5, v5, v8, 2
	s_waitcnt lgkmcnt(0)
	v_add_f32_e32 v6, v6, v9
	ds_bpermute_b32 v9, v5, v6
	s_waitcnt lgkmcnt(0)
	v_add_f32_e32 v8, v6, v9
	v_lshlrev_b32_e32 v6, 2, v10
	ds_bpermute_b32 v9, v6, v8
	v_cmpx_eq_u32_e32 0, v7
	s_cbranch_execz .LBB472_8
; %bb.7:
	v_lshrrev_b32_e32 v7, 3, v0
	s_waitcnt lgkmcnt(0)
	s_delay_alu instid0(VALU_DEP_1)
	v_dual_add_f32 v8, v8, v9 :: v_dual_and_b32 v7, 0x7c, v7
	ds_store_b32 v7, v8
.LBB472_8:
	s_or_b32 exec_lo, exec_lo, s1
	v_mov_b32_e32 v7, 0
	s_waitcnt lgkmcnt(0)
	s_barrier
	buffer_gl0_inv
	s_and_saveexec_b32 s0, vcc_lo
	s_cbranch_execz .LBB472_10
; %bb.9:
	ds_load_b32 v7, v1
.LBB472_10:
	s_or_b32 exec_lo, exec_lo, s0
	s_and_saveexec_b32 s0, vcc_lo
	s_cbranch_execz .LBB472_12
; %bb.11:
	s_waitcnt lgkmcnt(0)
	ds_bpermute_b32 v1, v2, v7
	s_waitcnt lgkmcnt(0)
	v_add_f32_e32 v1, v7, v1
	ds_bpermute_b32 v2, v3, v1
	s_waitcnt lgkmcnt(0)
	v_add_f32_e32 v1, v1, v2
	;; [unrolled: 3-line block ×5, first 2 shown]
.LBB472_12:
	s_or_b32 exec_lo, exec_lo, s0
	s_delay_alu instid0(SALU_CYCLE_1)
	s_mov_b32 s0, exec_lo
	v_cmpx_eq_u32_e32 0, v0
	s_cbranch_execz .LBB472_14
; %bb.13:
	s_waitcnt lgkmcnt(0)
	v_cvt_f16_f32_e32 v0, v7
	s_lshl_b64 s[0:1], s[16:17], 1
	v_mov_b32_e32 v1, 0
	s_add_u32 s0, s2, s0
	s_addc_u32 s1, s3, s1
	global_store_b16 v1, v0, s[0:1]
.LBB472_14:
	s_nop 0
	s_sendmsg sendmsg(MSG_DEALLOC_VGPRS)
	s_endpgm
	.section	.rodata,"a",@progbits
	.p2align	6, 0x0
	.amdhsa_kernel _ZL18rocblas_dot_kernelIlLb1ELi1024ELi32ELb1EDF16_PKDF16_fEviT5_lT_lS2_lS3_liPT6_PT4_
		.amdhsa_group_segment_fixed_size 128
		.amdhsa_private_segment_fixed_size 0
		.amdhsa_kernarg_size 352
		.amdhsa_user_sgpr_count 14
		.amdhsa_user_sgpr_dispatch_ptr 0
		.amdhsa_user_sgpr_queue_ptr 0
		.amdhsa_user_sgpr_kernarg_segment_ptr 1
		.amdhsa_user_sgpr_dispatch_id 0
		.amdhsa_user_sgpr_private_segment_size 0
		.amdhsa_wavefront_size32 1
		.amdhsa_uses_dynamic_stack 0
		.amdhsa_enable_private_segment 0
		.amdhsa_system_sgpr_workgroup_id_x 1
		.amdhsa_system_sgpr_workgroup_id_y 0
		.amdhsa_system_sgpr_workgroup_id_z 1
		.amdhsa_system_sgpr_workgroup_info 0
		.amdhsa_system_vgpr_workitem_id 0
		.amdhsa_next_free_vgpr 11
		.amdhsa_next_free_sgpr 27
		.amdhsa_reserve_vcc 1
		.amdhsa_float_round_mode_32 0
		.amdhsa_float_round_mode_16_64 0
		.amdhsa_float_denorm_mode_32 3
		.amdhsa_float_denorm_mode_16_64 3
		.amdhsa_dx10_clamp 1
		.amdhsa_ieee_mode 1
		.amdhsa_fp16_overflow 0
		.amdhsa_workgroup_processor_mode 1
		.amdhsa_memory_ordered 1
		.amdhsa_forward_progress 0
		.amdhsa_shared_vgpr_count 0
		.amdhsa_exception_fp_ieee_invalid_op 0
		.amdhsa_exception_fp_denorm_src 0
		.amdhsa_exception_fp_ieee_div_zero 0
		.amdhsa_exception_fp_ieee_overflow 0
		.amdhsa_exception_fp_ieee_underflow 0
		.amdhsa_exception_fp_ieee_inexact 0
		.amdhsa_exception_int_div_zero 0
	.end_amdhsa_kernel
	.section	.text._ZL18rocblas_dot_kernelIlLb1ELi1024ELi32ELb1EDF16_PKDF16_fEviT5_lT_lS2_lS3_liPT6_PT4_,"axG",@progbits,_ZL18rocblas_dot_kernelIlLb1ELi1024ELi32ELb1EDF16_PKDF16_fEviT5_lT_lS2_lS3_liPT6_PT4_,comdat
.Lfunc_end472:
	.size	_ZL18rocblas_dot_kernelIlLb1ELi1024ELi32ELb1EDF16_PKDF16_fEviT5_lT_lS2_lS3_liPT6_PT4_, .Lfunc_end472-_ZL18rocblas_dot_kernelIlLb1ELi1024ELi32ELb1EDF16_PKDF16_fEviT5_lT_lS2_lS3_liPT6_PT4_
                                        ; -- End function
	.section	.AMDGPU.csdata,"",@progbits
; Kernel info:
; codeLenInByte = 996
; NumSgprs: 29
; NumVgprs: 11
; ScratchSize: 0
; MemoryBound: 0
; FloatMode: 240
; IeeeMode: 1
; LDSByteSize: 128 bytes/workgroup (compile time only)
; SGPRBlocks: 3
; VGPRBlocks: 1
; NumSGPRsForWavesPerEU: 29
; NumVGPRsForWavesPerEU: 11
; Occupancy: 16
; WaveLimiterHint : 0
; COMPUTE_PGM_RSRC2:SCRATCH_EN: 0
; COMPUTE_PGM_RSRC2:USER_SGPR: 14
; COMPUTE_PGM_RSRC2:TRAP_HANDLER: 0
; COMPUTE_PGM_RSRC2:TGID_X_EN: 1
; COMPUTE_PGM_RSRC2:TGID_Y_EN: 0
; COMPUTE_PGM_RSRC2:TGID_Z_EN: 1
; COMPUTE_PGM_RSRC2:TIDIG_COMP_CNT: 0
	.section	.text._ZL24rocblas_dot_kernel_magsqIlLb1ELi1024ELi32ELb1EDF16_PKDF16_fEviT5_lT_liPT6_PT4_,"axG",@progbits,_ZL24rocblas_dot_kernel_magsqIlLb1ELi1024ELi32ELb1EDF16_PKDF16_fEviT5_lT_liPT6_PT4_,comdat
	.globl	_ZL24rocblas_dot_kernel_magsqIlLb1ELi1024ELi32ELb1EDF16_PKDF16_fEviT5_lT_liPT6_PT4_ ; -- Begin function _ZL24rocblas_dot_kernel_magsqIlLb1ELi1024ELi32ELb1EDF16_PKDF16_fEviT5_lT_liPT6_PT4_
	.p2align	8
	.type	_ZL24rocblas_dot_kernel_magsqIlLb1ELi1024ELi32ELb1EDF16_PKDF16_fEviT5_lT_liPT6_PT4_,@function
_ZL24rocblas_dot_kernel_magsqIlLb1ELi1024ELi32ELb1EDF16_PKDF16_fEviT5_lT_liPT6_PT4_: ; @_ZL24rocblas_dot_kernel_magsqIlLb1ELi1024ELi32ELb1EDF16_PKDF16_fEviT5_lT_liPT6_PT4_
; %bb.0:
	s_clause 0x1
	s_load_b32 s8, s[0:1], 0x0
	s_load_b64 s[2:3], s[0:1], 0x38
	v_mov_b32_e32 v3, 0
	s_mov_b32 s4, s15
	s_mov_b32 s5, 0
	s_mov_b32 s9, exec_lo
	s_waitcnt lgkmcnt(0)
	v_cmpx_gt_i32_e64 s8, v0
	s_cbranch_execz .LBB473_4
; %bb.1:
	s_clause 0x3
	s_load_b128 s[12:15], s[0:1], 0x10
	s_load_b32 s16, s[0:1], 0x40
	s_load_b64 s[6:7], s[0:1], 0x20
	s_load_b64 s[10:11], s[0:1], 0x8
	s_waitcnt lgkmcnt(0)
	v_mad_u64_u32 v[1:2], null, s14, v0, 0
	s_mul_i32 s0, s7, s4
	s_mul_hi_u32 s7, s6, s4
	s_mul_i32 s6, s6, s4
	s_add_i32 s7, s7, s0
	s_lshl_b64 s[12:13], s[12:13], 1
	s_lshl_b32 s1, s16, 10
	s_delay_alu instid0(VALU_DEP_1)
	v_mad_u64_u32 v[3:4], null, s15, v0, v[2:3]
	s_lshl_b64 s[6:7], s[6:7], 1
	s_add_u32 s0, s10, s12
	s_addc_u32 s10, s11, s13
	s_add_u32 s0, s0, s6
	s_addc_u32 s10, s10, s7
	s_ashr_i32 s6, s1, 31
	s_delay_alu instid0(VALU_DEP_1) | instskip(SKIP_3) | instid1(VALU_DEP_1)
	v_dual_mov_b32 v2, v3 :: v_dual_mov_b32 v3, 0
	s_mul_hi_u32 s7, s14, s1
	s_mul_i32 s6, s14, s6
	s_mul_i32 s11, s15, s1
	v_lshlrev_b64 v[1:2], 1, v[1:2]
	s_add_i32 s7, s7, s6
	v_or_b32_e32 v4, s1, v0
	s_mul_i32 s6, s14, s1
	s_add_i32 s7, s7, s11
	s_mov_b32 s11, s5
	v_add_co_u32 v1, vcc_lo, s0, v1
	v_add_co_ci_u32_e32 v2, vcc_lo, s10, v2, vcc_lo
	s_lshl_b64 s[6:7], s[6:7], 1
	s_mov_b32 s10, s5
	.p2align	6
.LBB473_2:                              ; =>This Inner Loop Header: Depth=1
	global_load_u16 v5, v[1:2], off
	s_add_i32 s12, s11, 1
	v_cmp_le_i32_e32 vcc_lo, s8, v4
	v_add_co_u32 v1, s0, v1, s6
	s_cmp_gt_u32 s11, 30
	v_add_co_ci_u32_e64 v2, s0, s7, v2, s0
	s_cselect_b32 s0, -1, 0
	v_add_nc_u32_e32 v4, s1, v4
	s_or_b32 s0, s0, vcc_lo
	s_mov_b32 s11, s12
	s_and_b32 s0, exec_lo, s0
	s_delay_alu instid0(SALU_CYCLE_1)
	s_or_b32 s10, s0, s10
	s_waitcnt vmcnt(0)
	v_fma_mix_f32 v3, v5, v5, v3 op_sel_hi:[1,1,0]
	s_and_not1_b32 exec_lo, exec_lo, s10
	s_cbranch_execnz .LBB473_2
; %bb.3:
	s_or_b32 exec_lo, exec_lo, s10
.LBB473_4:
	s_delay_alu instid0(SALU_CYCLE_1) | instskip(SKIP_2) | instid1(VALU_DEP_2)
	s_or_b32 exec_lo, exec_lo, s9
	v_and_b32_e32 v7, 31, v0
	v_cmp_gt_u32_e32 vcc_lo, 32, v0
	v_lshlrev_b32_e32 v1, 2, v7
	s_and_saveexec_b32 s0, vcc_lo
	s_cbranch_execz .LBB473_6
; %bb.5:
	v_mov_b32_e32 v2, 0
	ds_store_b32 v1, v2
.LBB473_6:
	s_or_b32 exec_lo, exec_lo, s0
	v_mbcnt_lo_u32_b32 v6, -1, 0
	s_mov_b32 s1, exec_lo
	s_waitcnt lgkmcnt(0)
	s_barrier
	buffer_gl0_inv
	v_cmp_gt_u32_e64 s0, 16, v6
	s_delay_alu instid0(VALU_DEP_1) | instskip(SKIP_1) | instid1(VALU_DEP_2)
	v_cndmask_b32_e64 v2, 0, 1, s0
	v_cmp_gt_u32_e64 s0, 24, v6
	v_lshlrev_b32_e32 v2, 4, v2
	s_delay_alu instid0(VALU_DEP_2) | instskip(SKIP_1) | instid1(VALU_DEP_3)
	v_cndmask_b32_e64 v4, 0, 1, s0
	v_cmp_gt_u32_e64 s0, 28, v6
	v_add_lshl_u32 v2, v2, v6, 2
	s_delay_alu instid0(VALU_DEP_3)
	v_lshlrev_b32_e32 v4, 3, v4
	ds_bpermute_b32 v5, v2, v3
	v_add_lshl_u32 v4, v4, v6, 2
	s_waitcnt lgkmcnt(0)
	v_add_f32_e32 v5, v3, v5
	v_cndmask_b32_e64 v3, 0, 1, s0
	v_cmp_gt_u32_e64 s0, 30, v6
	ds_bpermute_b32 v8, v4, v5
	s_waitcnt lgkmcnt(0)
	v_dual_add_f32 v8, v5, v8 :: v_dual_lshlrev_b32 v3, 2, v3
	s_delay_alu instid0(VALU_DEP_1) | instskip(SKIP_4) | instid1(VALU_DEP_1)
	v_add_lshl_u32 v3, v3, v6, 2
	v_cndmask_b32_e64 v5, 0, 1, s0
	v_cmp_ne_u32_e64 s0, 31, v6
	ds_bpermute_b32 v9, v3, v8
	v_lshlrev_b32_e32 v5, 1, v5
	v_add_lshl_u32 v5, v5, v6, 2
	v_add_co_ci_u32_e64 v6, s0, 0, v6, s0
	s_delay_alu instid0(VALU_DEP_1)
	v_lshlrev_b32_e32 v6, 2, v6
	s_waitcnt lgkmcnt(0)
	v_add_f32_e32 v8, v8, v9
	ds_bpermute_b32 v9, v5, v8
	s_waitcnt lgkmcnt(0)
	v_add_f32_e32 v8, v8, v9
	ds_bpermute_b32 v9, v6, v8
	v_cmpx_eq_u32_e32 0, v7
	s_cbranch_execz .LBB473_8
; %bb.7:
	v_lshrrev_b32_e32 v7, 3, v0
	s_waitcnt lgkmcnt(0)
	s_delay_alu instid0(VALU_DEP_1)
	v_dual_add_f32 v8, v8, v9 :: v_dual_and_b32 v7, 0x7c, v7
	ds_store_b32 v7, v8
.LBB473_8:
	s_or_b32 exec_lo, exec_lo, s1
	v_mov_b32_e32 v7, 0
	s_waitcnt lgkmcnt(0)
	s_barrier
	buffer_gl0_inv
	s_and_saveexec_b32 s0, vcc_lo
	s_cbranch_execz .LBB473_10
; %bb.9:
	ds_load_b32 v7, v1
.LBB473_10:
	s_or_b32 exec_lo, exec_lo, s0
	s_and_saveexec_b32 s0, vcc_lo
	s_cbranch_execz .LBB473_12
; %bb.11:
	s_waitcnt lgkmcnt(0)
	ds_bpermute_b32 v1, v2, v7
	s_waitcnt lgkmcnt(0)
	v_add_f32_e32 v1, v7, v1
	ds_bpermute_b32 v2, v4, v1
	s_waitcnt lgkmcnt(0)
	v_add_f32_e32 v1, v1, v2
	;; [unrolled: 3-line block ×5, first 2 shown]
.LBB473_12:
	s_or_b32 exec_lo, exec_lo, s0
	s_delay_alu instid0(SALU_CYCLE_1)
	s_mov_b32 s0, exec_lo
	v_cmpx_eq_u32_e32 0, v0
	s_cbranch_execz .LBB473_14
; %bb.13:
	s_waitcnt lgkmcnt(0)
	v_cvt_f16_f32_e32 v0, v7
	s_lshl_b64 s[0:1], s[4:5], 1
	v_mov_b32_e32 v1, 0
	s_add_u32 s0, s2, s0
	s_addc_u32 s1, s3, s1
	global_store_b16 v1, v0, s[0:1]
.LBB473_14:
	s_nop 0
	s_sendmsg sendmsg(MSG_DEALLOC_VGPRS)
	s_endpgm
	.section	.rodata,"a",@progbits
	.p2align	6, 0x0
	.amdhsa_kernel _ZL24rocblas_dot_kernel_magsqIlLb1ELi1024ELi32ELb1EDF16_PKDF16_fEviT5_lT_liPT6_PT4_
		.amdhsa_group_segment_fixed_size 128
		.amdhsa_private_segment_fixed_size 0
		.amdhsa_kernarg_size 320
		.amdhsa_user_sgpr_count 14
		.amdhsa_user_sgpr_dispatch_ptr 0
		.amdhsa_user_sgpr_queue_ptr 0
		.amdhsa_user_sgpr_kernarg_segment_ptr 1
		.amdhsa_user_sgpr_dispatch_id 0
		.amdhsa_user_sgpr_private_segment_size 0
		.amdhsa_wavefront_size32 1
		.amdhsa_uses_dynamic_stack 0
		.amdhsa_enable_private_segment 0
		.amdhsa_system_sgpr_workgroup_id_x 1
		.amdhsa_system_sgpr_workgroup_id_y 0
		.amdhsa_system_sgpr_workgroup_id_z 1
		.amdhsa_system_sgpr_workgroup_info 0
		.amdhsa_system_vgpr_workitem_id 0
		.amdhsa_next_free_vgpr 10
		.amdhsa_next_free_sgpr 17
		.amdhsa_reserve_vcc 1
		.amdhsa_float_round_mode_32 0
		.amdhsa_float_round_mode_16_64 0
		.amdhsa_float_denorm_mode_32 3
		.amdhsa_float_denorm_mode_16_64 3
		.amdhsa_dx10_clamp 1
		.amdhsa_ieee_mode 1
		.amdhsa_fp16_overflow 0
		.amdhsa_workgroup_processor_mode 1
		.amdhsa_memory_ordered 1
		.amdhsa_forward_progress 0
		.amdhsa_shared_vgpr_count 0
		.amdhsa_exception_fp_ieee_invalid_op 0
		.amdhsa_exception_fp_denorm_src 0
		.amdhsa_exception_fp_ieee_div_zero 0
		.amdhsa_exception_fp_ieee_overflow 0
		.amdhsa_exception_fp_ieee_underflow 0
		.amdhsa_exception_fp_ieee_inexact 0
		.amdhsa_exception_int_div_zero 0
	.end_amdhsa_kernel
	.section	.text._ZL24rocblas_dot_kernel_magsqIlLb1ELi1024ELi32ELb1EDF16_PKDF16_fEviT5_lT_liPT6_PT4_,"axG",@progbits,_ZL24rocblas_dot_kernel_magsqIlLb1ELi1024ELi32ELb1EDF16_PKDF16_fEviT5_lT_liPT6_PT4_,comdat
.Lfunc_end473:
	.size	_ZL24rocblas_dot_kernel_magsqIlLb1ELi1024ELi32ELb1EDF16_PKDF16_fEviT5_lT_liPT6_PT4_, .Lfunc_end473-_ZL24rocblas_dot_kernel_magsqIlLb1ELi1024ELi32ELb1EDF16_PKDF16_fEviT5_lT_liPT6_PT4_
                                        ; -- End function
	.section	.AMDGPU.csdata,"",@progbits
; Kernel info:
; codeLenInByte = 856
; NumSgprs: 19
; NumVgprs: 10
; ScratchSize: 0
; MemoryBound: 0
; FloatMode: 240
; IeeeMode: 1
; LDSByteSize: 128 bytes/workgroup (compile time only)
; SGPRBlocks: 2
; VGPRBlocks: 1
; NumSGPRsForWavesPerEU: 19
; NumVGPRsForWavesPerEU: 10
; Occupancy: 16
; WaveLimiterHint : 0
; COMPUTE_PGM_RSRC2:SCRATCH_EN: 0
; COMPUTE_PGM_RSRC2:USER_SGPR: 14
; COMPUTE_PGM_RSRC2:TRAP_HANDLER: 0
; COMPUTE_PGM_RSRC2:TGID_X_EN: 1
; COMPUTE_PGM_RSRC2:TGID_Y_EN: 0
; COMPUTE_PGM_RSRC2:TGID_Z_EN: 1
; COMPUTE_PGM_RSRC2:TIDIG_COMP_CNT: 0
	.section	.text._ZL18rocblas_dot_kernelIlLb0ELi512ELi8ELb1EDF16_PKDF16_fEviT5_lT_lS2_lS3_liPT6_PT4_,"axG",@progbits,_ZL18rocblas_dot_kernelIlLb0ELi512ELi8ELb1EDF16_PKDF16_fEviT5_lT_lS2_lS3_liPT6_PT4_,comdat
	.globl	_ZL18rocblas_dot_kernelIlLb0ELi512ELi8ELb1EDF16_PKDF16_fEviT5_lT_lS2_lS3_liPT6_PT4_ ; -- Begin function _ZL18rocblas_dot_kernelIlLb0ELi512ELi8ELb1EDF16_PKDF16_fEviT5_lT_lS2_lS3_liPT6_PT4_
	.p2align	8
	.type	_ZL18rocblas_dot_kernelIlLb0ELi512ELi8ELb1EDF16_PKDF16_fEviT5_lT_lS2_lS3_liPT6_PT4_,@function
_ZL18rocblas_dot_kernelIlLb0ELi512ELi8ELb1EDF16_PKDF16_fEviT5_lT_lS2_lS3_liPT6_PT4_: ; @_ZL18rocblas_dot_kernelIlLb0ELi512ELi8ELb1EDF16_PKDF16_fEviT5_lT_lS2_lS3_liPT6_PT4_
; %bb.0:
	s_clause 0x2
	s_load_b32 s12, s[0:1], 0x60
	s_load_b32 s13, s[0:1], 0x0
	s_load_b128 s[16:19], s[0:1], 0x50
	v_lshl_or_b32 v1, s14, 9, v0
	v_mov_b32_e32 v6, 0
	s_mov_b32 s2, s15
	s_mov_b32 s3, 0
	s_mov_b32 s15, exec_lo
	s_waitcnt lgkmcnt(0)
	v_cmpx_gt_i32_e64 s13, v1
	s_cbranch_execz .LBB474_4
; %bb.1:
	s_clause 0x2
	s_load_b128 s[20:23], s[0:1], 0x10
	s_load_b256 s[4:11], s[0:1], 0x20
	s_load_b64 s[26:27], s[0:1], 0x8
	v_ashrrev_i32_e32 v4, 31, v1
	s_load_b64 s[0:1], s[0:1], 0x40
	s_lshl_b32 s24, s12, 9
	s_delay_alu instid0(SALU_CYCLE_1)
	v_add_nc_u32_e32 v5, s24, v1
	s_waitcnt lgkmcnt(0)
	v_mul_lo_u32 v8, s23, v1
	v_mul_lo_u32 v9, s22, v4
	v_mad_u64_u32 v[2:3], null, s22, v1, 0
	s_mul_i32 s5, s5, s2
	s_mul_hi_u32 s25, s4, s2
	s_mul_i32 s4, s4, s2
	v_mul_lo_u32 v10, s11, v1
	v_mul_lo_u32 v4, s10, v4
	s_add_i32 s5, s25, s5
	s_delay_alu instid0(VALU_DEP_3)
	v_add3_u32 v3, v3, v9, v8
	v_mad_u64_u32 v[6:7], null, s10, v1, 0
	s_lshl_b64 s[20:21], s[20:21], 1
	s_lshl_b64 s[4:5], s[4:5], 1
	s_add_u32 s20, s26, s20
	s_addc_u32 s21, s27, s21
	v_lshlrev_b64 v[1:2], 1, v[2:3]
	s_add_u32 s20, s20, s4
	s_addc_u32 s21, s21, s5
	s_ashr_i32 s25, s24, 31
	s_mul_hi_u32 s4, s22, s24
	s_mul_i32 s5, s22, s25
	v_add3_u32 v7, v7, v4, v10
	s_mul_i32 s23, s23, s24
	s_add_i32 s5, s4, s5
	v_add_co_u32 v1, vcc_lo, s20, v1
	s_mul_i32 s1, s1, s2
	s_mul_hi_u32 s20, s0, s2
	s_mul_i32 s4, s22, s24
	s_add_i32 s5, s5, s23
	s_add_i32 s1, s20, s1
	s_mul_i32 s0, s0, s2
	v_lshlrev_b64 v[3:4], 1, v[6:7]
	v_mov_b32_e32 v6, 0
	s_lshl_b64 s[8:9], s[8:9], 1
	s_lshl_b64 s[4:5], s[4:5], 1
	;; [unrolled: 1-line block ×3, first 2 shown]
	s_add_u32 s6, s6, s8
	s_addc_u32 s7, s7, s9
	s_add_u32 s0, s6, s0
	v_add_co_ci_u32_e32 v2, vcc_lo, s21, v2, vcc_lo
	s_mul_i32 s6, s10, s25
	s_mul_hi_u32 s8, s10, s24
	s_addc_u32 s1, s7, s1
	v_add_co_u32 v3, vcc_lo, s0, v3
	s_add_i32 s6, s8, s6
	s_mul_i32 s7, s11, s24
	v_add_co_ci_u32_e32 v4, vcc_lo, s1, v4, vcc_lo
	s_add_i32 s1, s6, s7
	s_mul_i32 s0, s10, s24
	s_mov_b32 s8, s3
	s_lshl_b64 s[6:7], s[0:1], 1
	s_mov_b32 s1, s3
	.p2align	6
.LBB474_2:                              ; =>This Inner Loop Header: Depth=1
	global_load_u16 v7, v[3:4], off
	global_load_u16 v8, v[1:2], off
	v_add_co_u32 v1, s0, v1, s4
	s_delay_alu instid0(VALU_DEP_1)
	v_add_co_ci_u32_e64 v2, s0, s5, v2, s0
	s_add_i32 s9, s8, 1
	v_cmp_le_i32_e32 vcc_lo, s13, v5
	v_add_co_u32 v3, s0, v3, s6
	s_cmp_gt_u32 s8, 6
	v_add_co_ci_u32_e64 v4, s0, s7, v4, s0
	s_cselect_b32 s0, -1, 0
	v_add_nc_u32_e32 v5, s24, v5
	s_or_b32 s0, s0, vcc_lo
	s_mov_b32 s8, s9
	s_and_b32 s0, exec_lo, s0
	s_delay_alu instid0(SALU_CYCLE_1)
	s_or_b32 s1, s0, s1
	s_waitcnt vmcnt(0)
	v_fma_mix_f32 v6, v7, v8, v6 op_sel_hi:[1,1,0]
	s_and_not1_b32 exec_lo, exec_lo, s1
	s_cbranch_execnz .LBB474_2
; %bb.3:
	s_or_b32 exec_lo, exec_lo, s1
.LBB474_4:
	s_delay_alu instid0(SALU_CYCLE_1) | instskip(SKIP_2) | instid1(VALU_DEP_2)
	s_or_b32 exec_lo, exec_lo, s15
	v_and_b32_e32 v2, 31, v0
	v_cmp_gt_u32_e32 vcc_lo, 32, v0
	v_lshlrev_b32_e32 v1, 2, v2
	s_and_saveexec_b32 s0, vcc_lo
	s_cbranch_execz .LBB474_6
; %bb.5:
	v_mov_b32_e32 v3, 0
	ds_store_b32 v1, v3
.LBB474_6:
	s_or_b32 exec_lo, exec_lo, s0
	v_mbcnt_lo_u32_b32 v7, -1, 0
	s_mov_b32 s1, exec_lo
	s_waitcnt lgkmcnt(0)
	s_barrier
	buffer_gl0_inv
	v_cmp_gt_u32_e64 s0, 16, v7
	s_delay_alu instid0(VALU_DEP_1) | instskip(SKIP_1) | instid1(VALU_DEP_2)
	v_cndmask_b32_e64 v3, 0, 1, s0
	v_cmp_gt_u32_e64 s0, 24, v7
	v_lshlrev_b32_e32 v3, 4, v3
	s_delay_alu instid0(VALU_DEP_1) | instskip(SKIP_3) | instid1(VALU_DEP_2)
	v_add_lshl_u32 v3, v3, v7, 2
	ds_bpermute_b32 v4, v3, v6
	v_cndmask_b32_e64 v3, 0, 1, s0
	v_cmp_gt_u32_e64 s0, 28, v7
	v_lshlrev_b32_e32 v3, 3, v3
	s_delay_alu instid0(VALU_DEP_1)
	v_add_lshl_u32 v3, v3, v7, 2
	s_waitcnt lgkmcnt(0)
	v_add_f32_e32 v5, v6, v4
	v_cndmask_b32_e64 v4, 0, 1, s0
	v_cmp_gt_u32_e64 s0, 30, v7
	ds_bpermute_b32 v6, v3, v5
	v_lshlrev_b32_e32 v4, 2, v4
	s_delay_alu instid0(VALU_DEP_1)
	v_add_lshl_u32 v4, v4, v7, 2
	s_waitcnt lgkmcnt(0)
	v_add_f32_e32 v6, v5, v6
	v_cndmask_b32_e64 v5, 0, 1, s0
	v_cmp_ne_u32_e64 s0, 31, v7
	ds_bpermute_b32 v8, v4, v6
	v_lshlrev_b32_e32 v5, 1, v5
	v_add_co_ci_u32_e64 v9, s0, 0, v7, s0
	s_delay_alu instid0(VALU_DEP_2)
	v_add_lshl_u32 v5, v5, v7, 2
	s_waitcnt lgkmcnt(0)
	v_add_f32_e32 v6, v6, v8
	ds_bpermute_b32 v8, v5, v6
	s_waitcnt lgkmcnt(0)
	v_dual_add_f32 v7, v6, v8 :: v_dual_lshlrev_b32 v6, 2, v9
	ds_bpermute_b32 v8, v6, v7
	v_cmpx_eq_u32_e32 0, v2
	s_cbranch_execz .LBB474_8
; %bb.7:
	v_lshrrev_b32_e32 v2, 3, v0
	s_waitcnt lgkmcnt(0)
	s_delay_alu instid0(VALU_DEP_1)
	v_dual_add_f32 v7, v7, v8 :: v_dual_and_b32 v2, 60, v2
	ds_store_b32 v2, v7
.LBB474_8:
	s_or_b32 exec_lo, exec_lo, s1
	v_mov_b32_e32 v2, 0
	s_mov_b32 s1, exec_lo
	s_waitcnt lgkmcnt(0)
	s_barrier
	buffer_gl0_inv
	v_cmpx_gt_u32_e32 16, v0
	s_cbranch_execz .LBB474_10
; %bb.9:
	ds_load_b32 v2, v1
.LBB474_10:
	s_or_b32 exec_lo, exec_lo, s1
	s_and_saveexec_b32 s0, vcc_lo
	s_cbranch_execz .LBB474_12
; %bb.11:
	s_waitcnt lgkmcnt(0)
	ds_bpermute_b32 v1, v3, v2
	s_waitcnt lgkmcnt(0)
	v_add_f32_e32 v1, v2, v1
	ds_bpermute_b32 v2, v4, v1
	s_waitcnt lgkmcnt(0)
	v_add_f32_e32 v1, v1, v2
	;; [unrolled: 3-line block ×4, first 2 shown]
.LBB474_12:
	s_or_b32 exec_lo, exec_lo, s0
	s_delay_alu instid0(SALU_CYCLE_1)
	s_mov_b32 s0, exec_lo
	v_cmpx_eq_u32_e32 0, v0
	s_cbranch_execz .LBB474_17
; %bb.13:
	s_cmp_lg_u32 s12, 1
	s_mov_b32 s15, -1
	s_cbranch_scc0 .LBB474_15
; %bb.14:
	s_mul_hi_u32 s1, s12, s2
	s_mul_i32 s0, s12, s2
	s_mov_b32 s15, 0
	s_lshl_b64 s[0:1], s[0:1], 2
	v_mov_b32_e32 v0, 0
	s_add_u32 s4, s16, s0
	s_addc_u32 s5, s17, s1
	s_lshl_b64 s[0:1], s[14:15], 2
	s_delay_alu instid0(SALU_CYCLE_1)
	s_add_u32 s0, s4, s0
	s_addc_u32 s1, s5, s1
	s_waitcnt lgkmcnt(0)
	global_store_b32 v0, v2, s[0:1]
.LBB474_15:
	s_and_not1_b32 vcc_lo, exec_lo, s15
	s_cbranch_vccnz .LBB474_17
; %bb.16:
	s_waitcnt lgkmcnt(0)
	v_cvt_f16_f32_e32 v0, v2
	s_lshl_b64 s[0:1], s[2:3], 1
	v_mov_b32_e32 v1, 0
	s_add_u32 s0, s18, s0
	s_addc_u32 s1, s19, s1
	global_store_b16 v1, v0, s[0:1]
.LBB474_17:
	s_nop 0
	s_sendmsg sendmsg(MSG_DEALLOC_VGPRS)
	s_endpgm
	.section	.rodata,"a",@progbits
	.p2align	6, 0x0
	.amdhsa_kernel _ZL18rocblas_dot_kernelIlLb0ELi512ELi8ELb1EDF16_PKDF16_fEviT5_lT_lS2_lS3_liPT6_PT4_
		.amdhsa_group_segment_fixed_size 128
		.amdhsa_private_segment_fixed_size 0
		.amdhsa_kernarg_size 352
		.amdhsa_user_sgpr_count 14
		.amdhsa_user_sgpr_dispatch_ptr 0
		.amdhsa_user_sgpr_queue_ptr 0
		.amdhsa_user_sgpr_kernarg_segment_ptr 1
		.amdhsa_user_sgpr_dispatch_id 0
		.amdhsa_user_sgpr_private_segment_size 0
		.amdhsa_wavefront_size32 1
		.amdhsa_uses_dynamic_stack 0
		.amdhsa_enable_private_segment 0
		.amdhsa_system_sgpr_workgroup_id_x 1
		.amdhsa_system_sgpr_workgroup_id_y 0
		.amdhsa_system_sgpr_workgroup_id_z 1
		.amdhsa_system_sgpr_workgroup_info 0
		.amdhsa_system_vgpr_workitem_id 0
		.amdhsa_next_free_vgpr 11
		.amdhsa_next_free_sgpr 28
		.amdhsa_reserve_vcc 1
		.amdhsa_float_round_mode_32 0
		.amdhsa_float_round_mode_16_64 0
		.amdhsa_float_denorm_mode_32 3
		.amdhsa_float_denorm_mode_16_64 3
		.amdhsa_dx10_clamp 1
		.amdhsa_ieee_mode 1
		.amdhsa_fp16_overflow 0
		.amdhsa_workgroup_processor_mode 1
		.amdhsa_memory_ordered 1
		.amdhsa_forward_progress 0
		.amdhsa_shared_vgpr_count 0
		.amdhsa_exception_fp_ieee_invalid_op 0
		.amdhsa_exception_fp_denorm_src 0
		.amdhsa_exception_fp_ieee_div_zero 0
		.amdhsa_exception_fp_ieee_overflow 0
		.amdhsa_exception_fp_ieee_underflow 0
		.amdhsa_exception_fp_ieee_inexact 0
		.amdhsa_exception_int_div_zero 0
	.end_amdhsa_kernel
	.section	.text._ZL18rocblas_dot_kernelIlLb0ELi512ELi8ELb1EDF16_PKDF16_fEviT5_lT_lS2_lS3_liPT6_PT4_,"axG",@progbits,_ZL18rocblas_dot_kernelIlLb0ELi512ELi8ELb1EDF16_PKDF16_fEviT5_lT_lS2_lS3_liPT6_PT4_,comdat
.Lfunc_end474:
	.size	_ZL18rocblas_dot_kernelIlLb0ELi512ELi8ELb1EDF16_PKDF16_fEviT5_lT_lS2_lS3_liPT6_PT4_, .Lfunc_end474-_ZL18rocblas_dot_kernelIlLb0ELi512ELi8ELb1EDF16_PKDF16_fEviT5_lT_lS2_lS3_liPT6_PT4_
                                        ; -- End function
	.section	.AMDGPU.csdata,"",@progbits
; Kernel info:
; codeLenInByte = 1096
; NumSgprs: 30
; NumVgprs: 11
; ScratchSize: 0
; MemoryBound: 0
; FloatMode: 240
; IeeeMode: 1
; LDSByteSize: 128 bytes/workgroup (compile time only)
; SGPRBlocks: 3
; VGPRBlocks: 1
; NumSGPRsForWavesPerEU: 30
; NumVGPRsForWavesPerEU: 11
; Occupancy: 16
; WaveLimiterHint : 0
; COMPUTE_PGM_RSRC2:SCRATCH_EN: 0
; COMPUTE_PGM_RSRC2:USER_SGPR: 14
; COMPUTE_PGM_RSRC2:TRAP_HANDLER: 0
; COMPUTE_PGM_RSRC2:TGID_X_EN: 1
; COMPUTE_PGM_RSRC2:TGID_Y_EN: 0
; COMPUTE_PGM_RSRC2:TGID_Z_EN: 1
; COMPUTE_PGM_RSRC2:TIDIG_COMP_CNT: 0
	.section	.text._ZL24rocblas_dot_kernel_magsqIlLb0ELi512ELi8ELb1EDF16_PKDF16_fEviT5_lT_liPT6_PT4_,"axG",@progbits,_ZL24rocblas_dot_kernel_magsqIlLb0ELi512ELi8ELb1EDF16_PKDF16_fEviT5_lT_liPT6_PT4_,comdat
	.globl	_ZL24rocblas_dot_kernel_magsqIlLb0ELi512ELi8ELb1EDF16_PKDF16_fEviT5_lT_liPT6_PT4_ ; -- Begin function _ZL24rocblas_dot_kernel_magsqIlLb0ELi512ELi8ELb1EDF16_PKDF16_fEviT5_lT_liPT6_PT4_
	.p2align	8
	.type	_ZL24rocblas_dot_kernel_magsqIlLb0ELi512ELi8ELb1EDF16_PKDF16_fEviT5_lT_liPT6_PT4_,@function
_ZL24rocblas_dot_kernel_magsqIlLb0ELi512ELi8ELb1EDF16_PKDF16_fEviT5_lT_liPT6_PT4_: ; @_ZL24rocblas_dot_kernel_magsqIlLb0ELi512ELi8ELb1EDF16_PKDF16_fEviT5_lT_liPT6_PT4_
; %bb.0:
	s_clause 0x2
	s_load_b32 s11, s[0:1], 0x0
	s_load_b128 s[4:7], s[0:1], 0x30
	s_load_b32 s10, s[0:1], 0x40
	v_lshl_or_b32 v1, s14, 9, v0
	v_mov_b32_e32 v3, 0
	s_mov_b32 s2, s15
	s_mov_b32 s3, 0
	s_mov_b32 s12, exec_lo
	s_waitcnt lgkmcnt(0)
	v_cmpx_gt_i32_e64 s11, v1
	s_cbranch_execz .LBB475_4
; %bb.1:
	s_clause 0x2
	s_load_b128 s[16:19], s[0:1], 0x10
	s_load_b64 s[8:9], s[0:1], 0x20
	s_load_b64 s[20:21], s[0:1], 0x8
	v_ashrrev_i32_e32 v2, 31, v1
	s_lshl_b32 s1, s10, 9
	s_delay_alu instid0(SALU_CYCLE_1)
	v_add_nc_u32_e32 v4, s1, v1
	s_waitcnt lgkmcnt(0)
	v_mul_lo_u32 v5, s19, v1
	v_mul_lo_u32 v6, s18, v2
	v_mad_u64_u32 v[2:3], null, s18, v1, 0
	s_mul_i32 s0, s9, s2
	s_mul_hi_u32 s9, s8, s2
	s_mul_i32 s8, s8, s2
	s_add_i32 s9, s9, s0
	s_lshl_b64 s[16:17], s[16:17], 1
	s_lshl_b64 s[8:9], s[8:9], 1
	s_delay_alu instid0(VALU_DEP_1)
	v_add3_u32 v3, v3, v6, v5
	s_add_u32 s0, s20, s16
	s_addc_u32 s13, s21, s17
	s_add_u32 s0, s0, s8
	s_addc_u32 s13, s13, s9
	v_lshlrev_b64 v[1:2], 1, v[2:3]
	v_mov_b32_e32 v3, 0
	s_ashr_i32 s8, s1, 31
	s_mul_hi_u32 s9, s18, s1
	s_mul_i32 s8, s18, s8
	s_mul_i32 s15, s19, s1
	v_add_co_u32 v1, vcc_lo, s0, v1
	s_add_i32 s9, s9, s8
	v_add_co_ci_u32_e32 v2, vcc_lo, s13, v2, vcc_lo
	s_mul_i32 s8, s18, s1
	s_add_i32 s9, s9, s15
	s_mov_b32 s13, s3
	s_lshl_b64 s[8:9], s[8:9], 1
	s_mov_b32 s15, s3
	.p2align	6
.LBB475_2:                              ; =>This Inner Loop Header: Depth=1
	global_load_u16 v5, v[1:2], off
	s_add_i32 s16, s15, 1
	v_cmp_le_i32_e32 vcc_lo, s11, v4
	v_add_co_u32 v1, s0, v1, s8
	s_cmp_gt_u32 s15, 6
	v_add_co_ci_u32_e64 v2, s0, s9, v2, s0
	s_cselect_b32 s0, -1, 0
	v_add_nc_u32_e32 v4, s1, v4
	s_or_b32 s0, s0, vcc_lo
	s_mov_b32 s15, s16
	s_and_b32 s0, exec_lo, s0
	s_delay_alu instid0(SALU_CYCLE_1)
	s_or_b32 s13, s0, s13
	s_waitcnt vmcnt(0)
	v_fma_mix_f32 v3, v5, v5, v3 op_sel_hi:[1,1,0]
	s_and_not1_b32 exec_lo, exec_lo, s13
	s_cbranch_execnz .LBB475_2
; %bb.3:
	s_or_b32 exec_lo, exec_lo, s13
.LBB475_4:
	s_delay_alu instid0(SALU_CYCLE_1) | instskip(SKIP_2) | instid1(VALU_DEP_2)
	s_or_b32 exec_lo, exec_lo, s12
	v_and_b32_e32 v2, 31, v0
	v_cmp_gt_u32_e32 vcc_lo, 32, v0
	v_lshlrev_b32_e32 v1, 2, v2
	s_and_saveexec_b32 s0, vcc_lo
	s_cbranch_execz .LBB475_6
; %bb.5:
	v_mov_b32_e32 v4, 0
	ds_store_b32 v1, v4
.LBB475_6:
	s_or_b32 exec_lo, exec_lo, s0
	v_mbcnt_lo_u32_b32 v6, -1, 0
	s_mov_b32 s1, exec_lo
	s_waitcnt lgkmcnt(0)
	s_barrier
	buffer_gl0_inv
	v_cmp_gt_u32_e64 s0, 16, v6
	s_delay_alu instid0(VALU_DEP_1) | instskip(SKIP_1) | instid1(VALU_DEP_2)
	v_cndmask_b32_e64 v4, 0, 1, s0
	v_cmp_gt_u32_e64 s0, 24, v6
	v_lshlrev_b32_e32 v4, 4, v4
	s_delay_alu instid0(VALU_DEP_1) | instskip(SKIP_4) | instid1(VALU_DEP_2)
	v_add_lshl_u32 v4, v4, v6, 2
	ds_bpermute_b32 v5, v4, v3
	v_cndmask_b32_e64 v4, 0, 1, s0
	v_cmp_gt_u32_e64 s0, 28, v6
	s_waitcnt lgkmcnt(0)
	v_dual_add_f32 v5, v3, v5 :: v_dual_lshlrev_b32 v4, 3, v4
	s_delay_alu instid0(VALU_DEP_2) | instskip(SKIP_1) | instid1(VALU_DEP_3)
	v_cndmask_b32_e64 v3, 0, 1, s0
	v_cmp_gt_u32_e64 s0, 30, v6
	v_add_lshl_u32 v4, v4, v6, 2
	s_delay_alu instid0(VALU_DEP_3)
	v_lshlrev_b32_e32 v3, 2, v3
	ds_bpermute_b32 v7, v4, v5
	v_add_lshl_u32 v3, v3, v6, 2
	s_waitcnt lgkmcnt(0)
	v_add_f32_e32 v7, v5, v7
	v_cndmask_b32_e64 v5, 0, 1, s0
	v_cmp_ne_u32_e64 s0, 31, v6
	ds_bpermute_b32 v8, v3, v7
	v_lshlrev_b32_e32 v5, 1, v5
	s_delay_alu instid0(VALU_DEP_1) | instskip(SKIP_2) | instid1(VALU_DEP_1)
	v_add_lshl_u32 v5, v5, v6, 2
	v_add_co_ci_u32_e64 v6, s0, 0, v6, s0
	s_waitcnt lgkmcnt(0)
	v_dual_add_f32 v7, v7, v8 :: v_dual_lshlrev_b32 v6, 2, v6
	ds_bpermute_b32 v8, v5, v7
	s_waitcnt lgkmcnt(0)
	v_add_f32_e32 v7, v7, v8
	ds_bpermute_b32 v8, v6, v7
	v_cmpx_eq_u32_e32 0, v2
	s_cbranch_execz .LBB475_8
; %bb.7:
	v_lshrrev_b32_e32 v2, 3, v0
	s_waitcnt lgkmcnt(0)
	s_delay_alu instid0(VALU_DEP_1)
	v_dual_add_f32 v7, v7, v8 :: v_dual_and_b32 v2, 60, v2
	ds_store_b32 v2, v7
.LBB475_8:
	s_or_b32 exec_lo, exec_lo, s1
	v_mov_b32_e32 v2, 0
	s_mov_b32 s1, exec_lo
	s_waitcnt lgkmcnt(0)
	s_barrier
	buffer_gl0_inv
	v_cmpx_gt_u32_e32 16, v0
	s_cbranch_execz .LBB475_10
; %bb.9:
	ds_load_b32 v2, v1
.LBB475_10:
	s_or_b32 exec_lo, exec_lo, s1
	s_and_saveexec_b32 s0, vcc_lo
	s_cbranch_execz .LBB475_12
; %bb.11:
	s_waitcnt lgkmcnt(0)
	ds_bpermute_b32 v1, v4, v2
	s_waitcnt lgkmcnt(0)
	v_add_f32_e32 v1, v2, v1
	ds_bpermute_b32 v2, v3, v1
	s_waitcnt lgkmcnt(0)
	v_add_f32_e32 v1, v1, v2
	;; [unrolled: 3-line block ×4, first 2 shown]
.LBB475_12:
	s_or_b32 exec_lo, exec_lo, s0
	s_delay_alu instid0(SALU_CYCLE_1)
	s_mov_b32 s0, exec_lo
	v_cmpx_eq_u32_e32 0, v0
	s_cbranch_execz .LBB475_17
; %bb.13:
	s_cmp_lg_u32 s10, 1
	s_mov_b32 s15, -1
	s_cbranch_scc0 .LBB475_15
; %bb.14:
	s_mul_hi_u32 s1, s10, s2
	s_mul_i32 s0, s10, s2
	s_mov_b32 s15, 0
	s_lshl_b64 s[0:1], s[0:1], 2
	v_mov_b32_e32 v0, 0
	s_add_u32 s4, s4, s0
	s_addc_u32 s5, s5, s1
	s_lshl_b64 s[0:1], s[14:15], 2
	s_delay_alu instid0(SALU_CYCLE_1)
	s_add_u32 s0, s4, s0
	s_addc_u32 s1, s5, s1
	s_waitcnt lgkmcnt(0)
	global_store_b32 v0, v2, s[0:1]
.LBB475_15:
	s_and_not1_b32 vcc_lo, exec_lo, s15
	s_cbranch_vccnz .LBB475_17
; %bb.16:
	s_waitcnt lgkmcnt(0)
	v_cvt_f16_f32_e32 v0, v2
	s_lshl_b64 s[0:1], s[2:3], 1
	v_mov_b32_e32 v1, 0
	s_add_u32 s0, s6, s0
	s_addc_u32 s1, s7, s1
	global_store_b16 v1, v0, s[0:1]
.LBB475_17:
	s_nop 0
	s_sendmsg sendmsg(MSG_DEALLOC_VGPRS)
	s_endpgm
	.section	.rodata,"a",@progbits
	.p2align	6, 0x0
	.amdhsa_kernel _ZL24rocblas_dot_kernel_magsqIlLb0ELi512ELi8ELb1EDF16_PKDF16_fEviT5_lT_liPT6_PT4_
		.amdhsa_group_segment_fixed_size 128
		.amdhsa_private_segment_fixed_size 0
		.amdhsa_kernarg_size 320
		.amdhsa_user_sgpr_count 14
		.amdhsa_user_sgpr_dispatch_ptr 0
		.amdhsa_user_sgpr_queue_ptr 0
		.amdhsa_user_sgpr_kernarg_segment_ptr 1
		.amdhsa_user_sgpr_dispatch_id 0
		.amdhsa_user_sgpr_private_segment_size 0
		.amdhsa_wavefront_size32 1
		.amdhsa_uses_dynamic_stack 0
		.amdhsa_enable_private_segment 0
		.amdhsa_system_sgpr_workgroup_id_x 1
		.amdhsa_system_sgpr_workgroup_id_y 0
		.amdhsa_system_sgpr_workgroup_id_z 1
		.amdhsa_system_sgpr_workgroup_info 0
		.amdhsa_system_vgpr_workitem_id 0
		.amdhsa_next_free_vgpr 9
		.amdhsa_next_free_sgpr 22
		.amdhsa_reserve_vcc 1
		.amdhsa_float_round_mode_32 0
		.amdhsa_float_round_mode_16_64 0
		.amdhsa_float_denorm_mode_32 3
		.amdhsa_float_denorm_mode_16_64 3
		.amdhsa_dx10_clamp 1
		.amdhsa_ieee_mode 1
		.amdhsa_fp16_overflow 0
		.amdhsa_workgroup_processor_mode 1
		.amdhsa_memory_ordered 1
		.amdhsa_forward_progress 0
		.amdhsa_shared_vgpr_count 0
		.amdhsa_exception_fp_ieee_invalid_op 0
		.amdhsa_exception_fp_denorm_src 0
		.amdhsa_exception_fp_ieee_div_zero 0
		.amdhsa_exception_fp_ieee_overflow 0
		.amdhsa_exception_fp_ieee_underflow 0
		.amdhsa_exception_fp_ieee_inexact 0
		.amdhsa_exception_int_div_zero 0
	.end_amdhsa_kernel
	.section	.text._ZL24rocblas_dot_kernel_magsqIlLb0ELi512ELi8ELb1EDF16_PKDF16_fEviT5_lT_liPT6_PT4_,"axG",@progbits,_ZL24rocblas_dot_kernel_magsqIlLb0ELi512ELi8ELb1EDF16_PKDF16_fEviT5_lT_liPT6_PT4_,comdat
.Lfunc_end475:
	.size	_ZL24rocblas_dot_kernel_magsqIlLb0ELi512ELi8ELb1EDF16_PKDF16_fEviT5_lT_liPT6_PT4_, .Lfunc_end475-_ZL24rocblas_dot_kernel_magsqIlLb0ELi512ELi8ELb1EDF16_PKDF16_fEviT5_lT_liPT6_PT4_
                                        ; -- End function
	.section	.AMDGPU.csdata,"",@progbits
; Kernel info:
; codeLenInByte = 940
; NumSgprs: 24
; NumVgprs: 9
; ScratchSize: 0
; MemoryBound: 0
; FloatMode: 240
; IeeeMode: 1
; LDSByteSize: 128 bytes/workgroup (compile time only)
; SGPRBlocks: 2
; VGPRBlocks: 1
; NumSGPRsForWavesPerEU: 24
; NumVGPRsForWavesPerEU: 9
; Occupancy: 16
; WaveLimiterHint : 0
; COMPUTE_PGM_RSRC2:SCRATCH_EN: 0
; COMPUTE_PGM_RSRC2:USER_SGPR: 14
; COMPUTE_PGM_RSRC2:TRAP_HANDLER: 0
; COMPUTE_PGM_RSRC2:TGID_X_EN: 1
; COMPUTE_PGM_RSRC2:TGID_Y_EN: 0
; COMPUTE_PGM_RSRC2:TGID_Z_EN: 1
; COMPUTE_PGM_RSRC2:TIDIG_COMP_CNT: 0
	.section	.text._ZL28rocblas_dot_batched_4_kernelIiLi32ELi4ELb1EfDF16_PKPKDF16_EviT5_lT_lS4_lS5_liPT4_,"axG",@progbits,_ZL28rocblas_dot_batched_4_kernelIiLi32ELi4ELb1EfDF16_PKPKDF16_EviT5_lT_lS4_lS5_liPT4_,comdat
	.globl	_ZL28rocblas_dot_batched_4_kernelIiLi32ELi4ELb1EfDF16_PKPKDF16_EviT5_lT_lS4_lS5_liPT4_ ; -- Begin function _ZL28rocblas_dot_batched_4_kernelIiLi32ELi4ELb1EfDF16_PKPKDF16_EviT5_lT_lS4_lS5_liPT4_
	.p2align	8
	.type	_ZL28rocblas_dot_batched_4_kernelIiLi32ELi4ELb1EfDF16_PKPKDF16_EviT5_lT_lS4_lS5_liPT4_,@function
_ZL28rocblas_dot_batched_4_kernelIiLi32ELi4ELb1EfDF16_PKPKDF16_EviT5_lT_lS4_lS5_liPT4_: ; @_ZL28rocblas_dot_batched_4_kernelIiLi32ELi4ELb1EfDF16_PKPKDF16_EviT5_lT_lS4_lS5_liPT4_
; %bb.0:
	s_load_b32 s2, s[0:1], 0x48
	v_bfe_u32 v1, v0, 10, 10
	s_delay_alu instid0(VALU_DEP_1) | instskip(SKIP_1) | instid1(VALU_DEP_1)
	v_lshl_add_u32 v1, s15, 2, v1
	s_waitcnt lgkmcnt(0)
	v_cmp_gt_u32_e32 vcc_lo, s2, v1
	s_and_saveexec_b32 s2, vcc_lo
	s_cbranch_execz .LBB476_7
; %bb.1:
	s_clause 0x1
	s_load_b32 s12, s[0:1], 0x0
	s_load_b64 s[2:3], s[0:1], 0x50
	v_mov_b32_e32 v2, 0
	v_and_b32_e32 v0, 0x3ff, v0
	s_mov_b32 s13, exec_lo
	s_delay_alu instid0(VALU_DEP_2) | instskip(SKIP_1) | instid1(VALU_DEP_2)
	v_mov_b32_e32 v7, v2
	s_waitcnt lgkmcnt(0)
	v_cmpx_gt_i32_e64 s12, v0
	s_cbranch_execz .LBB476_5
; %bb.2:
	s_clause 0x1
	s_load_b128 s[4:7], s[0:1], 0x8
	s_load_b128 s[8:11], s[0:1], 0x28
	v_lshlrev_b64 v[3:4], 3, v[1:2]
	s_clause 0x1
	s_load_b32 s14, s[0:1], 0x18
	s_load_b32 s0, s[0:1], 0x38
	v_mov_b32_e32 v7, 0
	s_waitcnt lgkmcnt(0)
	v_add_co_u32 v5, vcc_lo, s4, v3
	v_add_co_ci_u32_e32 v6, vcc_lo, s5, v4, vcc_lo
	v_add_co_u32 v3, vcc_lo, s8, v3
	v_add_co_ci_u32_e32 v4, vcc_lo, s9, v4, vcc_lo
	v_mad_i64_i32 v[10:11], null, s0, v0, 0
	global_load_b64 v[5:6], v[5:6], off
	global_load_b64 v[8:9], v[3:4], off
	v_mad_i64_i32 v[3:4], null, s14, v0, 0
	s_lshl_b64 s[4:5], s[6:7], 1
	s_lshl_b64 s[6:7], s[10:11], 1
	s_ashr_i32 s15, s14, 31
	v_lshlrev_b64 v[10:11], 1, v[10:11]
	s_ashr_i32 s1, s0, 31
	s_delay_alu instid0(VALU_DEP_2) | instskip(NEXT) | instid1(VALU_DEP_1)
	v_lshlrev_b64 v[3:4], 1, v[3:4]
	v_add_co_u32 v3, vcc_lo, v3, s4
	s_delay_alu instid0(VALU_DEP_2) | instskip(NEXT) | instid1(VALU_DEP_4)
	v_add_co_ci_u32_e32 v4, vcc_lo, s5, v4, vcc_lo
	v_add_co_u32 v10, vcc_lo, v10, s6
	v_add_co_ci_u32_e32 v11, vcc_lo, s7, v11, vcc_lo
	s_lshl_b64 s[4:5], s[14:15], 6
	s_lshl_b64 s[6:7], s[0:1], 6
	s_mov_b32 s1, 0
	s_waitcnt vmcnt(1)
	v_add_co_u32 v3, vcc_lo, v5, v3
	v_add_co_ci_u32_e32 v4, vcc_lo, v6, v4, vcc_lo
	s_waitcnt vmcnt(0)
	v_add_co_u32 v5, vcc_lo, v8, v10
	v_mov_b32_e32 v8, v0
	v_add_co_ci_u32_e32 v6, vcc_lo, v9, v11, vcc_lo
	.p2align	6
.LBB476_3:                              ; =>This Inner Loop Header: Depth=1
	global_load_u16 v9, v[3:4], off
	global_load_u16 v10, v[5:6], off
	v_add_nc_u32_e32 v8, 32, v8
	v_add_co_u32 v3, vcc_lo, v3, s4
	v_add_co_ci_u32_e32 v4, vcc_lo, s5, v4, vcc_lo
	v_add_co_u32 v5, vcc_lo, v5, s6
	s_delay_alu instid0(VALU_DEP_4) | instskip(SKIP_1) | instid1(VALU_DEP_2)
	v_cmp_le_i32_e64 s0, s12, v8
	v_add_co_ci_u32_e32 v6, vcc_lo, s7, v6, vcc_lo
	s_or_b32 s1, s0, s1
	s_waitcnt vmcnt(0)
	v_fma_mix_f32 v7, v9, v10, v7 op_sel_hi:[1,1,0]
	s_and_not1_b32 exec_lo, exec_lo, s1
	s_cbranch_execnz .LBB476_3
; %bb.4:
	s_or_b32 exec_lo, exec_lo, s1
.LBB476_5:
	s_delay_alu instid0(SALU_CYCLE_1)
	s_or_b32 exec_lo, exec_lo, s13
	v_mbcnt_lo_u32_b32 v3, -1, 0
	s_barrier
	buffer_gl0_inv
	v_cmp_gt_u32_e32 vcc_lo, 16, v3
	v_cndmask_b32_e64 v4, 0, 1, vcc_lo
	v_cmp_gt_u32_e32 vcc_lo, 24, v3
	s_delay_alu instid0(VALU_DEP_2) | instskip(SKIP_2) | instid1(VALU_DEP_3)
	v_lshlrev_b32_e32 v4, 4, v4
	v_cndmask_b32_e64 v5, 0, 1, vcc_lo
	v_cmp_gt_u32_e32 vcc_lo, 28, v3
	v_add_lshl_u32 v4, v4, v3, 2
	v_cndmask_b32_e64 v6, 0, 1, vcc_lo
	v_cmp_gt_u32_e32 vcc_lo, 30, v3
	ds_bpermute_b32 v4, v4, v7
	v_lshlrev_b32_e32 v5, 3, v5
	v_lshlrev_b32_e32 v6, 2, v6
	s_delay_alu instid0(VALU_DEP_1)
	v_add_lshl_u32 v6, v6, v3, 2
	s_waitcnt lgkmcnt(0)
	v_add_f32_e32 v4, v7, v4
	v_add_lshl_u32 v5, v5, v3, 2
	ds_bpermute_b32 v5, v5, v4
	s_waitcnt lgkmcnt(0)
	v_add_f32_e32 v4, v4, v5
	ds_bpermute_b32 v5, v6, v4
	v_cndmask_b32_e64 v6, 0, 1, vcc_lo
	v_cmp_ne_u32_e32 vcc_lo, 31, v3
	s_delay_alu instid0(VALU_DEP_2) | instskip(NEXT) | instid1(VALU_DEP_1)
	v_lshlrev_b32_e32 v6, 1, v6
	v_add_lshl_u32 v6, v6, v3, 2
	s_waitcnt lgkmcnt(0)
	v_add_f32_e32 v4, v4, v5
	ds_bpermute_b32 v5, v6, v4
	v_add_co_ci_u32_e32 v6, vcc_lo, 0, v3, vcc_lo
	v_cmp_eq_u32_e32 vcc_lo, 0, v0
	s_waitcnt lgkmcnt(0)
	s_delay_alu instid0(VALU_DEP_2)
	v_dual_add_f32 v3, v4, v5 :: v_dual_lshlrev_b32 v4, 2, v6
	ds_bpermute_b32 v4, v4, v3
	s_and_b32 exec_lo, exec_lo, vcc_lo
	s_cbranch_execz .LBB476_7
; %bb.6:
	v_lshlrev_b64 v[0:1], 1, v[1:2]
	s_waitcnt lgkmcnt(0)
	v_add_f32_e32 v2, v3, v4
	s_delay_alu instid0(VALU_DEP_1) | instskip(NEXT) | instid1(VALU_DEP_3)
	v_cvt_f16_f32_e32 v2, v2
	v_add_co_u32 v0, vcc_lo, s2, v0
	s_delay_alu instid0(VALU_DEP_4)
	v_add_co_ci_u32_e32 v1, vcc_lo, s3, v1, vcc_lo
	global_store_b16 v[0:1], v2, off
.LBB476_7:
	s_nop 0
	s_sendmsg sendmsg(MSG_DEALLOC_VGPRS)
	s_endpgm
	.section	.rodata,"a",@progbits
	.p2align	6, 0x0
	.amdhsa_kernel _ZL28rocblas_dot_batched_4_kernelIiLi32ELi4ELb1EfDF16_PKPKDF16_EviT5_lT_lS4_lS5_liPT4_
		.amdhsa_group_segment_fixed_size 0
		.amdhsa_private_segment_fixed_size 0
		.amdhsa_kernarg_size 88
		.amdhsa_user_sgpr_count 15
		.amdhsa_user_sgpr_dispatch_ptr 0
		.amdhsa_user_sgpr_queue_ptr 0
		.amdhsa_user_sgpr_kernarg_segment_ptr 1
		.amdhsa_user_sgpr_dispatch_id 0
		.amdhsa_user_sgpr_private_segment_size 0
		.amdhsa_wavefront_size32 1
		.amdhsa_uses_dynamic_stack 0
		.amdhsa_enable_private_segment 0
		.amdhsa_system_sgpr_workgroup_id_x 1
		.amdhsa_system_sgpr_workgroup_id_y 0
		.amdhsa_system_sgpr_workgroup_id_z 0
		.amdhsa_system_sgpr_workgroup_info 0
		.amdhsa_system_vgpr_workitem_id 1
		.amdhsa_next_free_vgpr 12
		.amdhsa_next_free_sgpr 16
		.amdhsa_reserve_vcc 1
		.amdhsa_float_round_mode_32 0
		.amdhsa_float_round_mode_16_64 0
		.amdhsa_float_denorm_mode_32 3
		.amdhsa_float_denorm_mode_16_64 3
		.amdhsa_dx10_clamp 1
		.amdhsa_ieee_mode 1
		.amdhsa_fp16_overflow 0
		.amdhsa_workgroup_processor_mode 1
		.amdhsa_memory_ordered 1
		.amdhsa_forward_progress 0
		.amdhsa_shared_vgpr_count 0
		.amdhsa_exception_fp_ieee_invalid_op 0
		.amdhsa_exception_fp_denorm_src 0
		.amdhsa_exception_fp_ieee_div_zero 0
		.amdhsa_exception_fp_ieee_overflow 0
		.amdhsa_exception_fp_ieee_underflow 0
		.amdhsa_exception_fp_ieee_inexact 0
		.amdhsa_exception_int_div_zero 0
	.end_amdhsa_kernel
	.section	.text._ZL28rocblas_dot_batched_4_kernelIiLi32ELi4ELb1EfDF16_PKPKDF16_EviT5_lT_lS4_lS5_liPT4_,"axG",@progbits,_ZL28rocblas_dot_batched_4_kernelIiLi32ELi4ELb1EfDF16_PKPKDF16_EviT5_lT_lS4_lS5_liPT4_,comdat
.Lfunc_end476:
	.size	_ZL28rocblas_dot_batched_4_kernelIiLi32ELi4ELb1EfDF16_PKPKDF16_EviT5_lT_lS4_lS5_liPT4_, .Lfunc_end476-_ZL28rocblas_dot_batched_4_kernelIiLi32ELi4ELb1EfDF16_PKPKDF16_EviT5_lT_lS4_lS5_liPT4_
                                        ; -- End function
	.section	.AMDGPU.csdata,"",@progbits
; Kernel info:
; codeLenInByte = 708
; NumSgprs: 18
; NumVgprs: 12
; ScratchSize: 0
; MemoryBound: 0
; FloatMode: 240
; IeeeMode: 1
; LDSByteSize: 0 bytes/workgroup (compile time only)
; SGPRBlocks: 2
; VGPRBlocks: 1
; NumSGPRsForWavesPerEU: 18
; NumVGPRsForWavesPerEU: 12
; Occupancy: 16
; WaveLimiterHint : 0
; COMPUTE_PGM_RSRC2:SCRATCH_EN: 0
; COMPUTE_PGM_RSRC2:USER_SGPR: 15
; COMPUTE_PGM_RSRC2:TRAP_HANDLER: 0
; COMPUTE_PGM_RSRC2:TGID_X_EN: 1
; COMPUTE_PGM_RSRC2:TGID_Y_EN: 0
; COMPUTE_PGM_RSRC2:TGID_Z_EN: 0
; COMPUTE_PGM_RSRC2:TIDIG_COMP_CNT: 1
	.section	.text._ZL28rocblas_dot_batched_4_kernelIiLi64ELi4ELb1EfDF16_PKPKDF16_EviT5_lT_lS4_lS5_liPT4_,"axG",@progbits,_ZL28rocblas_dot_batched_4_kernelIiLi64ELi4ELb1EfDF16_PKPKDF16_EviT5_lT_lS4_lS5_liPT4_,comdat
	.globl	_ZL28rocblas_dot_batched_4_kernelIiLi64ELi4ELb1EfDF16_PKPKDF16_EviT5_lT_lS4_lS5_liPT4_ ; -- Begin function _ZL28rocblas_dot_batched_4_kernelIiLi64ELi4ELb1EfDF16_PKPKDF16_EviT5_lT_lS4_lS5_liPT4_
	.p2align	8
	.type	_ZL28rocblas_dot_batched_4_kernelIiLi64ELi4ELb1EfDF16_PKPKDF16_EviT5_lT_lS4_lS5_liPT4_,@function
_ZL28rocblas_dot_batched_4_kernelIiLi64ELi4ELb1EfDF16_PKPKDF16_EviT5_lT_lS4_lS5_liPT4_: ; @_ZL28rocblas_dot_batched_4_kernelIiLi64ELi4ELb1EfDF16_PKPKDF16_EviT5_lT_lS4_lS5_liPT4_
; %bb.0:
	s_load_b32 s2, s[0:1], 0x48
	v_bfe_u32 v1, v0, 10, 10
	s_delay_alu instid0(VALU_DEP_1) | instskip(SKIP_1) | instid1(VALU_DEP_1)
	v_lshl_add_u32 v1, s15, 2, v1
	s_waitcnt lgkmcnt(0)
	v_cmp_gt_u32_e32 vcc_lo, s2, v1
	s_and_saveexec_b32 s2, vcc_lo
	s_cbranch_execz .LBB477_7
; %bb.1:
	s_clause 0x1
	s_load_b32 s12, s[0:1], 0x0
	s_load_b64 s[2:3], s[0:1], 0x50
	v_mov_b32_e32 v2, 0
	v_and_b32_e32 v0, 0x3ff, v0
	s_mov_b32 s13, exec_lo
	s_delay_alu instid0(VALU_DEP_2) | instskip(SKIP_1) | instid1(VALU_DEP_2)
	v_mov_b32_e32 v7, v2
	s_waitcnt lgkmcnt(0)
	v_cmpx_gt_i32_e64 s12, v0
	s_cbranch_execz .LBB477_5
; %bb.2:
	s_clause 0x1
	s_load_b128 s[4:7], s[0:1], 0x8
	s_load_b128 s[8:11], s[0:1], 0x28
	v_lshlrev_b64 v[3:4], 3, v[1:2]
	s_clause 0x1
	s_load_b32 s14, s[0:1], 0x18
	s_load_b32 s0, s[0:1], 0x38
	v_mov_b32_e32 v7, 0
	s_waitcnt lgkmcnt(0)
	v_add_co_u32 v5, vcc_lo, s4, v3
	v_add_co_ci_u32_e32 v6, vcc_lo, s5, v4, vcc_lo
	v_add_co_u32 v3, vcc_lo, s8, v3
	v_add_co_ci_u32_e32 v4, vcc_lo, s9, v4, vcc_lo
	v_mad_i64_i32 v[10:11], null, s0, v0, 0
	global_load_b64 v[5:6], v[5:6], off
	global_load_b64 v[8:9], v[3:4], off
	v_mad_i64_i32 v[3:4], null, s14, v0, 0
	s_lshl_b64 s[4:5], s[6:7], 1
	s_lshl_b64 s[6:7], s[10:11], 1
	s_ashr_i32 s15, s14, 31
	v_lshlrev_b64 v[10:11], 1, v[10:11]
	s_ashr_i32 s1, s0, 31
	s_delay_alu instid0(VALU_DEP_2) | instskip(NEXT) | instid1(VALU_DEP_1)
	v_lshlrev_b64 v[3:4], 1, v[3:4]
	v_add_co_u32 v3, vcc_lo, v3, s4
	s_delay_alu instid0(VALU_DEP_2) | instskip(NEXT) | instid1(VALU_DEP_4)
	v_add_co_ci_u32_e32 v4, vcc_lo, s5, v4, vcc_lo
	v_add_co_u32 v10, vcc_lo, v10, s6
	v_add_co_ci_u32_e32 v11, vcc_lo, s7, v11, vcc_lo
	s_lshl_b64 s[4:5], s[14:15], 7
	s_lshl_b64 s[6:7], s[0:1], 7
	s_mov_b32 s1, 0
	s_waitcnt vmcnt(1)
	v_add_co_u32 v3, vcc_lo, v5, v3
	v_add_co_ci_u32_e32 v4, vcc_lo, v6, v4, vcc_lo
	s_waitcnt vmcnt(0)
	v_add_co_u32 v5, vcc_lo, v8, v10
	v_mov_b32_e32 v8, v0
	v_add_co_ci_u32_e32 v6, vcc_lo, v9, v11, vcc_lo
	.p2align	6
.LBB477_3:                              ; =>This Inner Loop Header: Depth=1
	global_load_u16 v9, v[3:4], off
	global_load_u16 v10, v[5:6], off
	v_add_nc_u32_e32 v8, 64, v8
	v_add_co_u32 v3, vcc_lo, v3, s4
	v_add_co_ci_u32_e32 v4, vcc_lo, s5, v4, vcc_lo
	v_add_co_u32 v5, vcc_lo, v5, s6
	s_delay_alu instid0(VALU_DEP_4) | instskip(SKIP_1) | instid1(VALU_DEP_2)
	v_cmp_le_i32_e64 s0, s12, v8
	v_add_co_ci_u32_e32 v6, vcc_lo, s7, v6, vcc_lo
	s_or_b32 s1, s0, s1
	s_waitcnt vmcnt(0)
	v_fma_mix_f32 v7, v9, v10, v7 op_sel_hi:[1,1,0]
	s_and_not1_b32 exec_lo, exec_lo, s1
	s_cbranch_execnz .LBB477_3
; %bb.4:
	s_or_b32 exec_lo, exec_lo, s1
.LBB477_5:
	s_delay_alu instid0(SALU_CYCLE_1)
	s_or_b32 exec_lo, exec_lo, s13
	v_mbcnt_lo_u32_b32 v3, -1, 0
	s_barrier
	buffer_gl0_inv
	v_lshlrev_b32_e32 v4, 2, v3
	v_cmp_gt_u32_e32 vcc_lo, 16, v3
	ds_bpermute_b32 v4, v4, v7
	v_cndmask_b32_e64 v5, 0, 1, vcc_lo
	v_cmp_gt_u32_e32 vcc_lo, 24, v3
	s_delay_alu instid0(VALU_DEP_2) | instskip(SKIP_2) | instid1(VALU_DEP_2)
	v_lshlrev_b32_e32 v5, 4, v5
	v_cndmask_b32_e64 v6, 0, 1, vcc_lo
	v_cmp_gt_u32_e32 vcc_lo, 28, v3
	v_lshlrev_b32_e32 v6, 3, v6
	s_delay_alu instid0(VALU_DEP_1)
	v_add_lshl_u32 v6, v6, v3, 2
	s_waitcnt lgkmcnt(0)
	v_add_f32_e32 v4, v7, v4
	v_add_lshl_u32 v5, v5, v3, 2
	ds_bpermute_b32 v5, v5, v4
	s_waitcnt lgkmcnt(0)
	v_add_f32_e32 v4, v4, v5
	ds_bpermute_b32 v5, v6, v4
	v_cndmask_b32_e64 v6, 0, 1, vcc_lo
	v_cmp_gt_u32_e32 vcc_lo, 30, v3
	s_delay_alu instid0(VALU_DEP_2) | instskip(NEXT) | instid1(VALU_DEP_1)
	v_lshlrev_b32_e32 v6, 2, v6
	v_add_lshl_u32 v6, v6, v3, 2
	s_waitcnt lgkmcnt(0)
	v_add_f32_e32 v4, v4, v5
	ds_bpermute_b32 v5, v6, v4
	v_cndmask_b32_e64 v6, 0, 1, vcc_lo
	v_cmp_ne_u32_e32 vcc_lo, 31, v3
	s_delay_alu instid0(VALU_DEP_2) | instskip(NEXT) | instid1(VALU_DEP_1)
	v_lshlrev_b32_e32 v6, 1, v6
	v_add_lshl_u32 v6, v6, v3, 2
	s_waitcnt lgkmcnt(0)
	v_add_f32_e32 v4, v4, v5
	ds_bpermute_b32 v5, v6, v4
	v_add_co_ci_u32_e32 v6, vcc_lo, 0, v3, vcc_lo
	v_cmp_eq_u32_e32 vcc_lo, 0, v0
	s_waitcnt lgkmcnt(0)
	s_delay_alu instid0(VALU_DEP_2)
	v_dual_add_f32 v3, v4, v5 :: v_dual_lshlrev_b32 v4, 2, v6
	ds_bpermute_b32 v4, v4, v3
	s_and_b32 exec_lo, exec_lo, vcc_lo
	s_cbranch_execz .LBB477_7
; %bb.6:
	v_lshlrev_b64 v[0:1], 1, v[1:2]
	s_waitcnt lgkmcnt(0)
	v_add_f32_e32 v2, v3, v4
	s_delay_alu instid0(VALU_DEP_1) | instskip(NEXT) | instid1(VALU_DEP_3)
	v_cvt_f16_f32_e32 v2, v2
	v_add_co_u32 v0, vcc_lo, s2, v0
	s_delay_alu instid0(VALU_DEP_4)
	v_add_co_ci_u32_e32 v1, vcc_lo, s3, v1, vcc_lo
	global_store_b16 v[0:1], v2, off
.LBB477_7:
	s_nop 0
	s_sendmsg sendmsg(MSG_DEALLOC_VGPRS)
	s_endpgm
	.section	.rodata,"a",@progbits
	.p2align	6, 0x0
	.amdhsa_kernel _ZL28rocblas_dot_batched_4_kernelIiLi64ELi4ELb1EfDF16_PKPKDF16_EviT5_lT_lS4_lS5_liPT4_
		.amdhsa_group_segment_fixed_size 0
		.amdhsa_private_segment_fixed_size 0
		.amdhsa_kernarg_size 88
		.amdhsa_user_sgpr_count 15
		.amdhsa_user_sgpr_dispatch_ptr 0
		.amdhsa_user_sgpr_queue_ptr 0
		.amdhsa_user_sgpr_kernarg_segment_ptr 1
		.amdhsa_user_sgpr_dispatch_id 0
		.amdhsa_user_sgpr_private_segment_size 0
		.amdhsa_wavefront_size32 1
		.amdhsa_uses_dynamic_stack 0
		.amdhsa_enable_private_segment 0
		.amdhsa_system_sgpr_workgroup_id_x 1
		.amdhsa_system_sgpr_workgroup_id_y 0
		.amdhsa_system_sgpr_workgroup_id_z 0
		.amdhsa_system_sgpr_workgroup_info 0
		.amdhsa_system_vgpr_workitem_id 1
		.amdhsa_next_free_vgpr 12
		.amdhsa_next_free_sgpr 16
		.amdhsa_reserve_vcc 1
		.amdhsa_float_round_mode_32 0
		.amdhsa_float_round_mode_16_64 0
		.amdhsa_float_denorm_mode_32 3
		.amdhsa_float_denorm_mode_16_64 3
		.amdhsa_dx10_clamp 1
		.amdhsa_ieee_mode 1
		.amdhsa_fp16_overflow 0
		.amdhsa_workgroup_processor_mode 1
		.amdhsa_memory_ordered 1
		.amdhsa_forward_progress 0
		.amdhsa_shared_vgpr_count 0
		.amdhsa_exception_fp_ieee_invalid_op 0
		.amdhsa_exception_fp_denorm_src 0
		.amdhsa_exception_fp_ieee_div_zero 0
		.amdhsa_exception_fp_ieee_overflow 0
		.amdhsa_exception_fp_ieee_underflow 0
		.amdhsa_exception_fp_ieee_inexact 0
		.amdhsa_exception_int_div_zero 0
	.end_amdhsa_kernel
	.section	.text._ZL28rocblas_dot_batched_4_kernelIiLi64ELi4ELb1EfDF16_PKPKDF16_EviT5_lT_lS4_lS5_liPT4_,"axG",@progbits,_ZL28rocblas_dot_batched_4_kernelIiLi64ELi4ELb1EfDF16_PKPKDF16_EviT5_lT_lS4_lS5_liPT4_,comdat
.Lfunc_end477:
	.size	_ZL28rocblas_dot_batched_4_kernelIiLi64ELi4ELb1EfDF16_PKPKDF16_EviT5_lT_lS4_lS5_liPT4_, .Lfunc_end477-_ZL28rocblas_dot_batched_4_kernelIiLi64ELi4ELb1EfDF16_PKPKDF16_EviT5_lT_lS4_lS5_liPT4_
                                        ; -- End function
	.section	.AMDGPU.csdata,"",@progbits
; Kernel info:
; codeLenInByte = 732
; NumSgprs: 18
; NumVgprs: 12
; ScratchSize: 0
; MemoryBound: 0
; FloatMode: 240
; IeeeMode: 1
; LDSByteSize: 0 bytes/workgroup (compile time only)
; SGPRBlocks: 2
; VGPRBlocks: 1
; NumSGPRsForWavesPerEU: 18
; NumVGPRsForWavesPerEU: 12
; Occupancy: 16
; WaveLimiterHint : 0
; COMPUTE_PGM_RSRC2:SCRATCH_EN: 0
; COMPUTE_PGM_RSRC2:USER_SGPR: 15
; COMPUTE_PGM_RSRC2:TRAP_HANDLER: 0
; COMPUTE_PGM_RSRC2:TGID_X_EN: 1
; COMPUTE_PGM_RSRC2:TGID_Y_EN: 0
; COMPUTE_PGM_RSRC2:TGID_Z_EN: 0
; COMPUTE_PGM_RSRC2:TIDIG_COMP_CNT: 1
	.section	.text._ZL26rocblas_dot_kernel_inc1by2ILb1ELi1024ELi32ELb1EDF16_PKPKDF16_fEviT4_llS4_lliPT5_PT3_,"axG",@progbits,_ZL26rocblas_dot_kernel_inc1by2ILb1ELi1024ELi32ELb1EDF16_PKPKDF16_fEviT4_llS4_lliPT5_PT3_,comdat
	.globl	_ZL26rocblas_dot_kernel_inc1by2ILb1ELi1024ELi32ELb1EDF16_PKPKDF16_fEviT4_llS4_lliPT5_PT3_ ; -- Begin function _ZL26rocblas_dot_kernel_inc1by2ILb1ELi1024ELi32ELb1EDF16_PKPKDF16_fEviT4_llS4_lliPT5_PT3_
	.p2align	8
	.type	_ZL26rocblas_dot_kernel_inc1by2ILb1ELi1024ELi32ELb1EDF16_PKPKDF16_fEviT4_llS4_lliPT5_PT3_,@function
_ZL26rocblas_dot_kernel_inc1by2ILb1ELi1024ELi32ELb1EDF16_PKPKDF16_fEviT4_llS4_lliPT5_PT3_: ; @_ZL26rocblas_dot_kernel_inc1by2ILb1ELi1024ELi32ELb1EDF16_PKPKDF16_fEviT4_llS4_lliPT5_PT3_
; %bb.0:
	s_clause 0x1
	s_load_b128 s[8:11], s[0:1], 0x8
	s_load_b128 s[4:7], s[0:1], 0x20
	s_mov_b32 s2, s15
	s_mov_b32 s3, 0
	s_clause 0x1
	s_load_b32 s14, s[0:1], 0x0
	s_load_b64 s[12:13], s[0:1], 0x48
	s_lshl_b64 s[16:17], s[2:3], 3
	v_dual_mov_b32 v5, 0 :: v_dual_lshlrev_b32 v6, 1, v0
	s_waitcnt lgkmcnt(0)
	s_add_u32 s0, s8, s16
	s_addc_u32 s1, s9, s17
	s_add_u32 s4, s4, s16
	s_addc_u32 s5, s5, s17
	s_load_b64 s[8:9], s[0:1], 0x0
	s_load_b64 s[4:5], s[4:5], 0x0
	s_add_i32 s0, s14, -1
	s_mov_b32 s1, exec_lo
	v_cmpx_gt_i32_e64 s0, v6
	s_cbranch_execz .LBB478_4
; %bb.1:
	v_lshlrev_b32_e32 v3, 2, v0
	s_lshl_b64 s[16:17], s[6:7], 1
	v_mov_b32_e32 v5, 0
	s_waitcnt lgkmcnt(0)
	s_add_u32 s15, s4, s16
	s_addc_u32 s18, s5, s17
	s_lshl_b64 s[16:17], s[10:11], 1
	v_add_co_u32 v1, s15, s15, v3
	s_delay_alu instid0(VALU_DEP_1) | instskip(SKIP_3) | instid1(VALU_DEP_1)
	v_add_co_ci_u32_e64 v2, null, s18, 0, s15
	s_add_u32 s15, s8, s16
	s_addc_u32 s16, s9, s17
	v_add_co_u32 v3, s15, s15, v3
	v_add_co_ci_u32_e64 v4, null, s16, 0, s15
	s_mov_b32 s15, s3
	s_mov_b32 s16, s3
	.p2align	6
.LBB478_2:                              ; =>This Inner Loop Header: Depth=1
	global_load_b32 v7, v[1:2], off
	global_load_b32 v8, v[3:4], off
	v_add_co_u32 v1, vcc_lo, 0x1000, v1
	v_add_nc_u32_e32 v6, 0x800, v6
	v_add_co_ci_u32_e32 v2, vcc_lo, 0, v2, vcc_lo
	v_add_co_u32 v3, vcc_lo, 0x1000, v3
	v_add_co_ci_u32_e32 v4, vcc_lo, 0, v4, vcc_lo
	s_add_i32 s17, s16, 1
	s_cmp_gt_u32 s16, 30
	s_cselect_b32 s16, -1, 0
	s_waitcnt vmcnt(0)
	v_dot2acc_f32_f16 v5, v7, v8
	v_cmp_le_i32_e32 vcc_lo, s0, v6
	s_or_b32 s16, s16, vcc_lo
	s_delay_alu instid0(SALU_CYCLE_1) | instskip(NEXT) | instid1(SALU_CYCLE_1)
	s_and_b32 s16, exec_lo, s16
	s_or_b32 s15, s16, s15
	s_mov_b32 s16, s17
	s_and_not1_b32 exec_lo, exec_lo, s15
	s_cbranch_execnz .LBB478_2
; %bb.3:
	s_or_b32 exec_lo, exec_lo, s15
.LBB478_4:
	s_delay_alu instid0(SALU_CYCLE_1) | instskip(SKIP_3) | instid1(SALU_CYCLE_1)
	s_or_b32 exec_lo, exec_lo, s1
	v_cmp_eq_u32_e32 vcc_lo, s0, v6
	s_bitcmp1_b32 s14, 0
	s_cselect_b32 s1, -1, 0
	s_and_b32 s1, s1, vcc_lo
	s_delay_alu instid0(SALU_CYCLE_1)
	s_and_saveexec_b32 s14, s1
	s_cbranch_execz .LBB478_6
; %bb.5:
	s_lshl_b64 s[10:11], s[10:11], 1
	s_mov_b32 s1, 0
	s_waitcnt lgkmcnt(0)
	s_add_u32 s8, s8, s10
	s_addc_u32 s9, s9, s11
	s_lshl_b64 s[6:7], s[6:7], 1
	v_mov_b32_e32 v1, 0
	s_add_u32 s4, s4, s6
	s_addc_u32 s5, s5, s7
	s_lshl_b64 s[0:1], s[0:1], 1
	s_delay_alu instid0(SALU_CYCLE_1)
	s_add_u32 s4, s4, s0
	s_addc_u32 s5, s5, s1
	s_add_u32 s0, s8, s0
	s_addc_u32 s1, s9, s1
	s_clause 0x1
	global_load_u16 v2, v1, s[4:5]
	global_load_u16 v1, v1, s[0:1]
	s_waitcnt vmcnt(0)
	v_fma_mix_f32 v5, v2, v1, v5 op_sel_hi:[1,1,0]
.LBB478_6:
	s_or_b32 exec_lo, exec_lo, s14
	v_and_b32_e32 v7, 31, v0
	v_cmp_gt_u32_e32 vcc_lo, 32, v0
	s_delay_alu instid0(VALU_DEP_2)
	v_lshlrev_b32_e32 v1, 2, v7
	s_and_saveexec_b32 s0, vcc_lo
	s_cbranch_execz .LBB478_8
; %bb.7:
	v_mov_b32_e32 v2, 0
	ds_store_b32 v1, v2
.LBB478_8:
	s_or_b32 exec_lo, exec_lo, s0
	v_mbcnt_lo_u32_b32 v6, -1, 0
	s_mov_b32 s1, exec_lo
	s_waitcnt lgkmcnt(0)
	s_barrier
	buffer_gl0_inv
	v_cmp_gt_u32_e64 s0, 16, v6
	s_delay_alu instid0(VALU_DEP_1) | instskip(SKIP_1) | instid1(VALU_DEP_2)
	v_cndmask_b32_e64 v2, 0, 1, s0
	v_cmp_gt_u32_e64 s0, 24, v6
	v_lshlrev_b32_e32 v2, 4, v2
	s_delay_alu instid0(VALU_DEP_2) | instskip(SKIP_1) | instid1(VALU_DEP_3)
	v_cndmask_b32_e64 v3, 0, 1, s0
	v_cmp_gt_u32_e64 s0, 28, v6
	v_add_lshl_u32 v2, v2, v6, 2
	ds_bpermute_b32 v4, v2, v5
	s_waitcnt lgkmcnt(0)
	v_add_f32_e32 v5, v5, v4
	v_lshlrev_b32_e32 v3, 3, v3
	v_cndmask_b32_e64 v4, 0, 1, s0
	v_cmp_gt_u32_e64 s0, 30, v6
	s_delay_alu instid0(VALU_DEP_3) | instskip(NEXT) | instid1(VALU_DEP_3)
	v_add_lshl_u32 v3, v3, v6, 2
	v_lshlrev_b32_e32 v4, 2, v4
	ds_bpermute_b32 v8, v3, v5
	v_add_lshl_u32 v4, v4, v6, 2
	s_waitcnt lgkmcnt(0)
	v_add_f32_e32 v8, v5, v8
	v_cndmask_b32_e64 v5, 0, 1, s0
	v_cmp_ne_u32_e64 s0, 31, v6
	ds_bpermute_b32 v9, v4, v8
	v_lshlrev_b32_e32 v5, 1, v5
	s_delay_alu instid0(VALU_DEP_1) | instskip(SKIP_1) | instid1(VALU_DEP_1)
	v_add_lshl_u32 v5, v5, v6, 2
	v_add_co_ci_u32_e64 v6, s0, 0, v6, s0
	v_lshlrev_b32_e32 v6, 2, v6
	s_waitcnt lgkmcnt(0)
	v_add_f32_e32 v8, v8, v9
	ds_bpermute_b32 v9, v5, v8
	s_waitcnt lgkmcnt(0)
	v_add_f32_e32 v8, v8, v9
	ds_bpermute_b32 v9, v6, v8
	v_cmpx_eq_u32_e32 0, v7
	s_cbranch_execz .LBB478_10
; %bb.9:
	v_lshrrev_b32_e32 v7, 3, v0
	s_waitcnt lgkmcnt(0)
	s_delay_alu instid0(VALU_DEP_1)
	v_dual_add_f32 v8, v8, v9 :: v_dual_and_b32 v7, 0x7c, v7
	ds_store_b32 v7, v8
.LBB478_10:
	s_or_b32 exec_lo, exec_lo, s1
	v_mov_b32_e32 v7, 0
	s_waitcnt lgkmcnt(0)
	s_barrier
	buffer_gl0_inv
	s_and_saveexec_b32 s0, vcc_lo
	s_cbranch_execz .LBB478_12
; %bb.11:
	ds_load_b32 v7, v1
.LBB478_12:
	s_or_b32 exec_lo, exec_lo, s0
	s_and_saveexec_b32 s0, vcc_lo
	s_cbranch_execz .LBB478_14
; %bb.13:
	s_waitcnt lgkmcnt(0)
	ds_bpermute_b32 v1, v2, v7
	s_waitcnt lgkmcnt(0)
	v_add_f32_e32 v1, v7, v1
	ds_bpermute_b32 v2, v3, v1
	s_waitcnt lgkmcnt(0)
	v_add_f32_e32 v1, v1, v2
	;; [unrolled: 3-line block ×5, first 2 shown]
.LBB478_14:
	s_or_b32 exec_lo, exec_lo, s0
	s_delay_alu instid0(SALU_CYCLE_1)
	s_mov_b32 s0, exec_lo
	v_cmpx_eq_u32_e32 0, v0
	s_cbranch_execz .LBB478_16
; %bb.15:
	s_waitcnt lgkmcnt(0)
	v_cvt_f16_f32_e32 v0, v7
	s_lshl_b64 s[0:1], s[2:3], 1
	v_mov_b32_e32 v1, 0
	s_add_u32 s0, s12, s0
	s_addc_u32 s1, s13, s1
	global_store_b16 v1, v0, s[0:1]
.LBB478_16:
	s_nop 0
	s_sendmsg sendmsg(MSG_DEALLOC_VGPRS)
	s_endpgm
	.section	.rodata,"a",@progbits
	.p2align	6, 0x0
	.amdhsa_kernel _ZL26rocblas_dot_kernel_inc1by2ILb1ELi1024ELi32ELb1EDF16_PKPKDF16_fEviT4_llS4_lliPT5_PT3_
		.amdhsa_group_segment_fixed_size 128
		.amdhsa_private_segment_fixed_size 0
		.amdhsa_kernarg_size 80
		.amdhsa_user_sgpr_count 14
		.amdhsa_user_sgpr_dispatch_ptr 0
		.amdhsa_user_sgpr_queue_ptr 0
		.amdhsa_user_sgpr_kernarg_segment_ptr 1
		.amdhsa_user_sgpr_dispatch_id 0
		.amdhsa_user_sgpr_private_segment_size 0
		.amdhsa_wavefront_size32 1
		.amdhsa_uses_dynamic_stack 0
		.amdhsa_enable_private_segment 0
		.amdhsa_system_sgpr_workgroup_id_x 1
		.amdhsa_system_sgpr_workgroup_id_y 0
		.amdhsa_system_sgpr_workgroup_id_z 1
		.amdhsa_system_sgpr_workgroup_info 0
		.amdhsa_system_vgpr_workitem_id 0
		.amdhsa_next_free_vgpr 10
		.amdhsa_next_free_sgpr 19
		.amdhsa_reserve_vcc 1
		.amdhsa_float_round_mode_32 0
		.amdhsa_float_round_mode_16_64 0
		.amdhsa_float_denorm_mode_32 3
		.amdhsa_float_denorm_mode_16_64 3
		.amdhsa_dx10_clamp 1
		.amdhsa_ieee_mode 1
		.amdhsa_fp16_overflow 0
		.amdhsa_workgroup_processor_mode 1
		.amdhsa_memory_ordered 1
		.amdhsa_forward_progress 0
		.amdhsa_shared_vgpr_count 0
		.amdhsa_exception_fp_ieee_invalid_op 0
		.amdhsa_exception_fp_denorm_src 0
		.amdhsa_exception_fp_ieee_div_zero 0
		.amdhsa_exception_fp_ieee_overflow 0
		.amdhsa_exception_fp_ieee_underflow 0
		.amdhsa_exception_fp_ieee_inexact 0
		.amdhsa_exception_int_div_zero 0
	.end_amdhsa_kernel
	.section	.text._ZL26rocblas_dot_kernel_inc1by2ILb1ELi1024ELi32ELb1EDF16_PKPKDF16_fEviT4_llS4_lliPT5_PT3_,"axG",@progbits,_ZL26rocblas_dot_kernel_inc1by2ILb1ELi1024ELi32ELb1EDF16_PKPKDF16_fEviT4_llS4_lliPT5_PT3_,comdat
.Lfunc_end478:
	.size	_ZL26rocblas_dot_kernel_inc1by2ILb1ELi1024ELi32ELb1EDF16_PKPKDF16_fEviT4_llS4_lliPT5_PT3_, .Lfunc_end478-_ZL26rocblas_dot_kernel_inc1by2ILb1ELi1024ELi32ELb1EDF16_PKPKDF16_fEviT4_llS4_lliPT5_PT3_
                                        ; -- End function
	.section	.AMDGPU.csdata,"",@progbits
; Kernel info:
; codeLenInByte = 968
; NumSgprs: 21
; NumVgprs: 10
; ScratchSize: 0
; MemoryBound: 0
; FloatMode: 240
; IeeeMode: 1
; LDSByteSize: 128 bytes/workgroup (compile time only)
; SGPRBlocks: 2
; VGPRBlocks: 1
; NumSGPRsForWavesPerEU: 21
; NumVGPRsForWavesPerEU: 10
; Occupancy: 16
; WaveLimiterHint : 1
; COMPUTE_PGM_RSRC2:SCRATCH_EN: 0
; COMPUTE_PGM_RSRC2:USER_SGPR: 14
; COMPUTE_PGM_RSRC2:TRAP_HANDLER: 0
; COMPUTE_PGM_RSRC2:TGID_X_EN: 1
; COMPUTE_PGM_RSRC2:TGID_Y_EN: 0
; COMPUTE_PGM_RSRC2:TGID_Z_EN: 1
; COMPUTE_PGM_RSRC2:TIDIG_COMP_CNT: 0
	.section	.text._ZL18rocblas_dot_kernelIiLb1ELi1024ELi32ELb1EDF16_PKPKDF16_fEviT5_lT_lS4_lS5_liPT6_PT4_,"axG",@progbits,_ZL18rocblas_dot_kernelIiLb1ELi1024ELi32ELb1EDF16_PKPKDF16_fEviT5_lT_lS4_lS5_liPT6_PT4_,comdat
	.globl	_ZL18rocblas_dot_kernelIiLb1ELi1024ELi32ELb1EDF16_PKPKDF16_fEviT5_lT_lS4_lS5_liPT6_PT4_ ; -- Begin function _ZL18rocblas_dot_kernelIiLb1ELi1024ELi32ELb1EDF16_PKPKDF16_fEviT5_lT_lS4_lS5_liPT6_PT4_
	.p2align	8
	.type	_ZL18rocblas_dot_kernelIiLb1ELi1024ELi32ELb1EDF16_PKPKDF16_fEviT5_lT_lS4_lS5_liPT6_PT4_,@function
_ZL18rocblas_dot_kernelIiLb1ELi1024ELi32ELb1EDF16_PKPKDF16_fEviT5_lT_lS4_lS5_liPT6_PT4_: ; @_ZL18rocblas_dot_kernelIiLb1ELi1024ELi32ELb1EDF16_PKPKDF16_fEviT5_lT_lS4_lS5_liPT6_PT4_
; %bb.0:
	s_clause 0x1
	s_load_b32 s10, s[0:1], 0x0
	s_load_b64 s[2:3], s[0:1], 0x58
	v_mov_b32_e32 v5, 0
	s_mov_b32 s8, s15
	s_mov_b32 s9, 0
	s_mov_b32 s11, exec_lo
	s_waitcnt lgkmcnt(0)
	v_cmpx_gt_i32_e64 s10, v0
	s_cbranch_execz .LBB479_4
; %bb.1:
	s_clause 0x4
	s_load_b128 s[12:15], s[0:1], 0x8
	s_load_b128 s[4:7], s[0:1], 0x28
	s_load_b32 s18, s[0:1], 0x18
	s_load_b32 s20, s[0:1], 0x38
	;; [unrolled: 1-line block ×3, first 2 shown]
	s_lshl_b64 s[0:1], s[8:9], 3
	v_mov_b32_e32 v5, 0
	s_waitcnt lgkmcnt(0)
	s_add_u32 s12, s12, s0
	s_addc_u32 s13, s13, s1
	s_add_u32 s0, s4, s0
	s_load_b64 s[12:13], s[12:13], 0x0
	s_addc_u32 s1, s5, s1
	v_mad_i64_i32 v[1:2], null, s18, v0, 0
	s_load_b64 s[16:17], s[0:1], 0x0
	v_mad_i64_i32 v[3:4], null, s20, v0, 0
	s_lshl_b32 s1, s19, 10
	s_lshl_b64 s[4:5], s[14:15], 1
	s_mul_hi_i32 s15, s18, s1
	s_delay_alu instid0(VALU_DEP_2) | instskip(SKIP_2) | instid1(VALU_DEP_3)
	v_lshlrev_b64 v[1:2], 1, v[1:2]
	s_mul_i32 s14, s18, s1
	v_or_b32_e32 v6, s1, v0
	v_lshlrev_b64 v[3:4], 1, v[3:4]
	s_mul_hi_i32 s19, s20, s1
	s_mul_i32 s18, s20, s1
	s_waitcnt lgkmcnt(0)
	s_add_u32 s0, s12, s4
	s_addc_u32 s12, s13, s5
	s_lshl_b64 s[6:7], s[6:7], 1
	s_lshl_b64 s[4:5], s[14:15], 1
	v_add_co_u32 v1, vcc_lo, s0, v1
	s_add_u32 s0, s16, s6
	v_add_co_ci_u32_e32 v2, vcc_lo, s12, v2, vcc_lo
	s_addc_u32 s6, s17, s7
	v_add_co_u32 v3, vcc_lo, s0, v3
	v_add_co_ci_u32_e32 v4, vcc_lo, s6, v4, vcc_lo
	s_lshl_b64 s[6:7], s[18:19], 1
	s_mov_b32 s12, s9
	s_mov_b32 s13, s9
	.p2align	6
.LBB479_2:                              ; =>This Inner Loop Header: Depth=1
	global_load_u16 v7, v[3:4], off
	global_load_u16 v8, v[1:2], off
	v_add_co_u32 v1, s0, v1, s4
	s_delay_alu instid0(VALU_DEP_1)
	v_add_co_ci_u32_e64 v2, s0, s5, v2, s0
	s_add_i32 s14, s13, 1
	v_cmp_le_i32_e32 vcc_lo, s10, v6
	v_add_co_u32 v3, s0, v3, s6
	s_cmp_gt_u32 s13, 30
	v_add_co_ci_u32_e64 v4, s0, s7, v4, s0
	s_cselect_b32 s0, -1, 0
	v_add_nc_u32_e32 v6, s1, v6
	s_or_b32 s0, s0, vcc_lo
	s_mov_b32 s13, s14
	s_and_b32 s0, exec_lo, s0
	s_delay_alu instid0(SALU_CYCLE_1)
	s_or_b32 s12, s0, s12
	s_waitcnt vmcnt(0)
	v_fma_mix_f32 v5, v7, v8, v5 op_sel_hi:[1,1,0]
	s_and_not1_b32 exec_lo, exec_lo, s12
	s_cbranch_execnz .LBB479_2
; %bb.3:
	s_or_b32 exec_lo, exec_lo, s12
.LBB479_4:
	s_delay_alu instid0(SALU_CYCLE_1) | instskip(SKIP_2) | instid1(VALU_DEP_2)
	s_or_b32 exec_lo, exec_lo, s11
	v_and_b32_e32 v7, 31, v0
	v_cmp_gt_u32_e32 vcc_lo, 32, v0
	v_lshlrev_b32_e32 v1, 2, v7
	s_and_saveexec_b32 s0, vcc_lo
	s_cbranch_execz .LBB479_6
; %bb.5:
	v_mov_b32_e32 v2, 0
	ds_store_b32 v1, v2
.LBB479_6:
	s_or_b32 exec_lo, exec_lo, s0
	v_mbcnt_lo_u32_b32 v6, -1, 0
	s_mov_b32 s1, exec_lo
	s_waitcnt lgkmcnt(0)
	s_barrier
	buffer_gl0_inv
	v_cmp_gt_u32_e64 s0, 16, v6
	s_delay_alu instid0(VALU_DEP_1) | instskip(SKIP_1) | instid1(VALU_DEP_2)
	v_cndmask_b32_e64 v2, 0, 1, s0
	v_cmp_gt_u32_e64 s0, 24, v6
	v_lshlrev_b32_e32 v2, 4, v2
	s_delay_alu instid0(VALU_DEP_2) | instskip(SKIP_1) | instid1(VALU_DEP_3)
	v_cndmask_b32_e64 v3, 0, 1, s0
	v_cmp_gt_u32_e64 s0, 28, v6
	v_add_lshl_u32 v2, v2, v6, 2
	ds_bpermute_b32 v4, v2, v5
	s_waitcnt lgkmcnt(0)
	v_add_f32_e32 v5, v5, v4
	v_lshlrev_b32_e32 v3, 3, v3
	v_cndmask_b32_e64 v4, 0, 1, s0
	v_cmp_gt_u32_e64 s0, 30, v6
	s_delay_alu instid0(VALU_DEP_3) | instskip(NEXT) | instid1(VALU_DEP_3)
	v_add_lshl_u32 v3, v3, v6, 2
	v_lshlrev_b32_e32 v4, 2, v4
	ds_bpermute_b32 v8, v3, v5
	v_add_lshl_u32 v4, v4, v6, 2
	s_waitcnt lgkmcnt(0)
	v_add_f32_e32 v8, v5, v8
	v_cndmask_b32_e64 v5, 0, 1, s0
	v_cmp_ne_u32_e64 s0, 31, v6
	ds_bpermute_b32 v9, v4, v8
	v_lshlrev_b32_e32 v5, 1, v5
	s_delay_alu instid0(VALU_DEP_1) | instskip(SKIP_1) | instid1(VALU_DEP_1)
	v_add_lshl_u32 v5, v5, v6, 2
	v_add_co_ci_u32_e64 v6, s0, 0, v6, s0
	v_lshlrev_b32_e32 v6, 2, v6
	s_waitcnt lgkmcnt(0)
	v_add_f32_e32 v8, v8, v9
	ds_bpermute_b32 v9, v5, v8
	s_waitcnt lgkmcnt(0)
	v_add_f32_e32 v8, v8, v9
	ds_bpermute_b32 v9, v6, v8
	v_cmpx_eq_u32_e32 0, v7
	s_cbranch_execz .LBB479_8
; %bb.7:
	v_lshrrev_b32_e32 v7, 3, v0
	s_waitcnt lgkmcnt(0)
	s_delay_alu instid0(VALU_DEP_1)
	v_dual_add_f32 v8, v8, v9 :: v_dual_and_b32 v7, 0x7c, v7
	ds_store_b32 v7, v8
.LBB479_8:
	s_or_b32 exec_lo, exec_lo, s1
	v_mov_b32_e32 v7, 0
	s_waitcnt lgkmcnt(0)
	s_barrier
	buffer_gl0_inv
	s_and_saveexec_b32 s0, vcc_lo
	s_cbranch_execz .LBB479_10
; %bb.9:
	ds_load_b32 v7, v1
.LBB479_10:
	s_or_b32 exec_lo, exec_lo, s0
	s_and_saveexec_b32 s0, vcc_lo
	s_cbranch_execz .LBB479_12
; %bb.11:
	s_waitcnt lgkmcnt(0)
	ds_bpermute_b32 v1, v2, v7
	s_waitcnt lgkmcnt(0)
	v_add_f32_e32 v1, v7, v1
	ds_bpermute_b32 v2, v3, v1
	s_waitcnt lgkmcnt(0)
	v_add_f32_e32 v1, v1, v2
	;; [unrolled: 3-line block ×5, first 2 shown]
.LBB479_12:
	s_or_b32 exec_lo, exec_lo, s0
	s_delay_alu instid0(SALU_CYCLE_1)
	s_mov_b32 s0, exec_lo
	v_cmpx_eq_u32_e32 0, v0
	s_cbranch_execz .LBB479_14
; %bb.13:
	s_waitcnt lgkmcnt(0)
	v_cvt_f16_f32_e32 v0, v7
	s_lshl_b64 s[0:1], s[8:9], 1
	v_mov_b32_e32 v1, 0
	s_add_u32 s0, s2, s0
	s_addc_u32 s1, s3, s1
	global_store_b16 v1, v0, s[0:1]
.LBB479_14:
	s_nop 0
	s_sendmsg sendmsg(MSG_DEALLOC_VGPRS)
	s_endpgm
	.section	.rodata,"a",@progbits
	.p2align	6, 0x0
	.amdhsa_kernel _ZL18rocblas_dot_kernelIiLb1ELi1024ELi32ELb1EDF16_PKPKDF16_fEviT5_lT_lS4_lS5_liPT6_PT4_
		.amdhsa_group_segment_fixed_size 128
		.amdhsa_private_segment_fixed_size 0
		.amdhsa_kernarg_size 352
		.amdhsa_user_sgpr_count 14
		.amdhsa_user_sgpr_dispatch_ptr 0
		.amdhsa_user_sgpr_queue_ptr 0
		.amdhsa_user_sgpr_kernarg_segment_ptr 1
		.amdhsa_user_sgpr_dispatch_id 0
		.amdhsa_user_sgpr_private_segment_size 0
		.amdhsa_wavefront_size32 1
		.amdhsa_uses_dynamic_stack 0
		.amdhsa_enable_private_segment 0
		.amdhsa_system_sgpr_workgroup_id_x 1
		.amdhsa_system_sgpr_workgroup_id_y 0
		.amdhsa_system_sgpr_workgroup_id_z 1
		.amdhsa_system_sgpr_workgroup_info 0
		.amdhsa_system_vgpr_workitem_id 0
		.amdhsa_next_free_vgpr 10
		.amdhsa_next_free_sgpr 21
		.amdhsa_reserve_vcc 1
		.amdhsa_float_round_mode_32 0
		.amdhsa_float_round_mode_16_64 0
		.amdhsa_float_denorm_mode_32 3
		.amdhsa_float_denorm_mode_16_64 3
		.amdhsa_dx10_clamp 1
		.amdhsa_ieee_mode 1
		.amdhsa_fp16_overflow 0
		.amdhsa_workgroup_processor_mode 1
		.amdhsa_memory_ordered 1
		.amdhsa_forward_progress 0
		.amdhsa_shared_vgpr_count 0
		.amdhsa_exception_fp_ieee_invalid_op 0
		.amdhsa_exception_fp_denorm_src 0
		.amdhsa_exception_fp_ieee_div_zero 0
		.amdhsa_exception_fp_ieee_overflow 0
		.amdhsa_exception_fp_ieee_underflow 0
		.amdhsa_exception_fp_ieee_inexact 0
		.amdhsa_exception_int_div_zero 0
	.end_amdhsa_kernel
	.section	.text._ZL18rocblas_dot_kernelIiLb1ELi1024ELi32ELb1EDF16_PKPKDF16_fEviT5_lT_lS4_lS5_liPT6_PT4_,"axG",@progbits,_ZL18rocblas_dot_kernelIiLb1ELi1024ELi32ELb1EDF16_PKPKDF16_fEviT5_lT_lS4_lS5_liPT6_PT4_,comdat
.Lfunc_end479:
	.size	_ZL18rocblas_dot_kernelIiLb1ELi1024ELi32ELb1EDF16_PKPKDF16_fEviT5_lT_lS4_lS5_liPT6_PT4_, .Lfunc_end479-_ZL18rocblas_dot_kernelIiLb1ELi1024ELi32ELb1EDF16_PKPKDF16_fEviT5_lT_lS4_lS5_liPT6_PT4_
                                        ; -- End function
	.section	.AMDGPU.csdata,"",@progbits
; Kernel info:
; codeLenInByte = 916
; NumSgprs: 23
; NumVgprs: 10
; ScratchSize: 0
; MemoryBound: 0
; FloatMode: 240
; IeeeMode: 1
; LDSByteSize: 128 bytes/workgroup (compile time only)
; SGPRBlocks: 2
; VGPRBlocks: 1
; NumSGPRsForWavesPerEU: 23
; NumVGPRsForWavesPerEU: 10
; Occupancy: 16
; WaveLimiterHint : 0
; COMPUTE_PGM_RSRC2:SCRATCH_EN: 0
; COMPUTE_PGM_RSRC2:USER_SGPR: 14
; COMPUTE_PGM_RSRC2:TRAP_HANDLER: 0
; COMPUTE_PGM_RSRC2:TGID_X_EN: 1
; COMPUTE_PGM_RSRC2:TGID_Y_EN: 0
; COMPUTE_PGM_RSRC2:TGID_Z_EN: 1
; COMPUTE_PGM_RSRC2:TIDIG_COMP_CNT: 0
	.section	.text._ZL24rocblas_dot_kernel_magsqIiLb1ELi1024ELi32ELb1EDF16_PKPKDF16_fEviT5_lT_liPT6_PT4_,"axG",@progbits,_ZL24rocblas_dot_kernel_magsqIiLb1ELi1024ELi32ELb1EDF16_PKPKDF16_fEviT5_lT_liPT6_PT4_,comdat
	.globl	_ZL24rocblas_dot_kernel_magsqIiLb1ELi1024ELi32ELb1EDF16_PKPKDF16_fEviT5_lT_liPT6_PT4_ ; -- Begin function _ZL24rocblas_dot_kernel_magsqIiLb1ELi1024ELi32ELb1EDF16_PKPKDF16_fEviT5_lT_liPT6_PT4_
	.p2align	8
	.type	_ZL24rocblas_dot_kernel_magsqIiLb1ELi1024ELi32ELb1EDF16_PKPKDF16_fEviT5_lT_liPT6_PT4_,@function
_ZL24rocblas_dot_kernel_magsqIiLb1ELi1024ELi32ELb1EDF16_PKPKDF16_fEviT5_lT_liPT6_PT4_: ; @_ZL24rocblas_dot_kernel_magsqIiLb1ELi1024ELi32ELb1EDF16_PKPKDF16_fEviT5_lT_liPT6_PT4_
; %bb.0:
	s_clause 0x1
	s_load_b32 s8, s[0:1], 0x0
	s_load_b64 s[2:3], s[0:1], 0x38
	v_mov_b32_e32 v3, 0
	s_mov_b32 s4, s15
	s_mov_b32 s5, 0
	s_mov_b32 s9, exec_lo
	s_waitcnt lgkmcnt(0)
	v_cmpx_gt_i32_e64 s8, v0
	s_cbranch_execz .LBB480_4
; %bb.1:
	s_clause 0x2
	s_load_b128 s[12:15], s[0:1], 0x8
	s_load_b32 s16, s[0:1], 0x18
	s_load_b32 s10, s[0:1], 0x40
	s_lshl_b64 s[0:1], s[4:5], 3
	v_mov_b32_e32 v3, 0
	s_waitcnt lgkmcnt(0)
	s_add_u32 s0, s12, s0
	s_addc_u32 s1, s13, s1
	v_mad_i64_i32 v[1:2], null, s16, v0, 0
	s_load_b64 s[6:7], s[0:1], 0x0
	s_lshl_b32 s1, s10, 10
	s_lshl_b64 s[10:11], s[14:15], 1
	v_or_b32_e32 v4, s1, v0
	s_mul_hi_i32 s13, s16, s1
	s_mul_i32 s12, s16, s1
	s_delay_alu instid0(VALU_DEP_2) | instskip(SKIP_3) | instid1(VALU_DEP_1)
	v_lshlrev_b64 v[1:2], 1, v[1:2]
	s_waitcnt lgkmcnt(0)
	s_add_u32 s0, s6, s10
	s_addc_u32 s6, s7, s11
	v_add_co_u32 v1, vcc_lo, s0, v1
	s_delay_alu instid0(VALU_DEP_2)
	v_add_co_ci_u32_e32 v2, vcc_lo, s6, v2, vcc_lo
	s_lshl_b64 s[6:7], s[12:13], 1
	s_mov_b32 s10, s5
	s_mov_b32 s11, s5
	.p2align	6
.LBB480_2:                              ; =>This Inner Loop Header: Depth=1
	global_load_u16 v5, v[1:2], off
	s_add_i32 s12, s11, 1
	v_cmp_le_i32_e32 vcc_lo, s8, v4
	v_add_co_u32 v1, s0, v1, s6
	s_cmp_gt_u32 s11, 30
	v_add_co_ci_u32_e64 v2, s0, s7, v2, s0
	s_cselect_b32 s0, -1, 0
	v_add_nc_u32_e32 v4, s1, v4
	s_or_b32 s0, s0, vcc_lo
	s_mov_b32 s11, s12
	s_and_b32 s0, exec_lo, s0
	s_delay_alu instid0(SALU_CYCLE_1)
	s_or_b32 s10, s0, s10
	s_waitcnt vmcnt(0)
	v_fma_mix_f32 v3, v5, v5, v3 op_sel_hi:[1,1,0]
	s_and_not1_b32 exec_lo, exec_lo, s10
	s_cbranch_execnz .LBB480_2
; %bb.3:
	s_or_b32 exec_lo, exec_lo, s10
.LBB480_4:
	s_delay_alu instid0(SALU_CYCLE_1) | instskip(SKIP_2) | instid1(VALU_DEP_2)
	s_or_b32 exec_lo, exec_lo, s9
	v_and_b32_e32 v7, 31, v0
	v_cmp_gt_u32_e32 vcc_lo, 32, v0
	v_lshlrev_b32_e32 v1, 2, v7
	s_and_saveexec_b32 s0, vcc_lo
	s_cbranch_execz .LBB480_6
; %bb.5:
	v_mov_b32_e32 v2, 0
	ds_store_b32 v1, v2
.LBB480_6:
	s_or_b32 exec_lo, exec_lo, s0
	v_mbcnt_lo_u32_b32 v6, -1, 0
	s_mov_b32 s1, exec_lo
	s_waitcnt lgkmcnt(0)
	s_barrier
	buffer_gl0_inv
	v_cmp_gt_u32_e64 s0, 16, v6
	s_delay_alu instid0(VALU_DEP_1) | instskip(SKIP_1) | instid1(VALU_DEP_2)
	v_cndmask_b32_e64 v2, 0, 1, s0
	v_cmp_gt_u32_e64 s0, 24, v6
	v_lshlrev_b32_e32 v2, 4, v2
	s_delay_alu instid0(VALU_DEP_2) | instskip(SKIP_1) | instid1(VALU_DEP_3)
	v_cndmask_b32_e64 v4, 0, 1, s0
	v_cmp_gt_u32_e64 s0, 28, v6
	v_add_lshl_u32 v2, v2, v6, 2
	s_delay_alu instid0(VALU_DEP_3)
	v_lshlrev_b32_e32 v4, 3, v4
	ds_bpermute_b32 v5, v2, v3
	v_add_lshl_u32 v4, v4, v6, 2
	s_waitcnt lgkmcnt(0)
	v_add_f32_e32 v5, v3, v5
	v_cndmask_b32_e64 v3, 0, 1, s0
	v_cmp_gt_u32_e64 s0, 30, v6
	ds_bpermute_b32 v8, v4, v5
	s_waitcnt lgkmcnt(0)
	v_dual_add_f32 v8, v5, v8 :: v_dual_lshlrev_b32 v3, 2, v3
	s_delay_alu instid0(VALU_DEP_1) | instskip(SKIP_4) | instid1(VALU_DEP_1)
	v_add_lshl_u32 v3, v3, v6, 2
	v_cndmask_b32_e64 v5, 0, 1, s0
	v_cmp_ne_u32_e64 s0, 31, v6
	ds_bpermute_b32 v9, v3, v8
	v_lshlrev_b32_e32 v5, 1, v5
	v_add_lshl_u32 v5, v5, v6, 2
	v_add_co_ci_u32_e64 v6, s0, 0, v6, s0
	s_delay_alu instid0(VALU_DEP_1)
	v_lshlrev_b32_e32 v6, 2, v6
	s_waitcnt lgkmcnt(0)
	v_add_f32_e32 v8, v8, v9
	ds_bpermute_b32 v9, v5, v8
	s_waitcnt lgkmcnt(0)
	v_add_f32_e32 v8, v8, v9
	ds_bpermute_b32 v9, v6, v8
	v_cmpx_eq_u32_e32 0, v7
	s_cbranch_execz .LBB480_8
; %bb.7:
	v_lshrrev_b32_e32 v7, 3, v0
	s_waitcnt lgkmcnt(0)
	s_delay_alu instid0(VALU_DEP_1)
	v_dual_add_f32 v8, v8, v9 :: v_dual_and_b32 v7, 0x7c, v7
	ds_store_b32 v7, v8
.LBB480_8:
	s_or_b32 exec_lo, exec_lo, s1
	v_mov_b32_e32 v7, 0
	s_waitcnt lgkmcnt(0)
	s_barrier
	buffer_gl0_inv
	s_and_saveexec_b32 s0, vcc_lo
	s_cbranch_execz .LBB480_10
; %bb.9:
	ds_load_b32 v7, v1
.LBB480_10:
	s_or_b32 exec_lo, exec_lo, s0
	s_and_saveexec_b32 s0, vcc_lo
	s_cbranch_execz .LBB480_12
; %bb.11:
	s_waitcnt lgkmcnt(0)
	ds_bpermute_b32 v1, v2, v7
	s_waitcnt lgkmcnt(0)
	v_add_f32_e32 v1, v7, v1
	ds_bpermute_b32 v2, v4, v1
	s_waitcnt lgkmcnt(0)
	v_add_f32_e32 v1, v1, v2
	;; [unrolled: 3-line block ×5, first 2 shown]
.LBB480_12:
	s_or_b32 exec_lo, exec_lo, s0
	s_delay_alu instid0(SALU_CYCLE_1)
	s_mov_b32 s0, exec_lo
	v_cmpx_eq_u32_e32 0, v0
	s_cbranch_execz .LBB480_14
; %bb.13:
	s_waitcnt lgkmcnt(0)
	v_cvt_f16_f32_e32 v0, v7
	s_lshl_b64 s[0:1], s[4:5], 1
	v_mov_b32_e32 v1, 0
	s_add_u32 s0, s2, s0
	s_addc_u32 s1, s3, s1
	global_store_b16 v1, v0, s[0:1]
.LBB480_14:
	s_nop 0
	s_sendmsg sendmsg(MSG_DEALLOC_VGPRS)
	s_endpgm
	.section	.rodata,"a",@progbits
	.p2align	6, 0x0
	.amdhsa_kernel _ZL24rocblas_dot_kernel_magsqIiLb1ELi1024ELi32ELb1EDF16_PKPKDF16_fEviT5_lT_liPT6_PT4_
		.amdhsa_group_segment_fixed_size 128
		.amdhsa_private_segment_fixed_size 0
		.amdhsa_kernarg_size 320
		.amdhsa_user_sgpr_count 14
		.amdhsa_user_sgpr_dispatch_ptr 0
		.amdhsa_user_sgpr_queue_ptr 0
		.amdhsa_user_sgpr_kernarg_segment_ptr 1
		.amdhsa_user_sgpr_dispatch_id 0
		.amdhsa_user_sgpr_private_segment_size 0
		.amdhsa_wavefront_size32 1
		.amdhsa_uses_dynamic_stack 0
		.amdhsa_enable_private_segment 0
		.amdhsa_system_sgpr_workgroup_id_x 1
		.amdhsa_system_sgpr_workgroup_id_y 0
		.amdhsa_system_sgpr_workgroup_id_z 1
		.amdhsa_system_sgpr_workgroup_info 0
		.amdhsa_system_vgpr_workitem_id 0
		.amdhsa_next_free_vgpr 10
		.amdhsa_next_free_sgpr 17
		.amdhsa_reserve_vcc 1
		.amdhsa_float_round_mode_32 0
		.amdhsa_float_round_mode_16_64 0
		.amdhsa_float_denorm_mode_32 3
		.amdhsa_float_denorm_mode_16_64 3
		.amdhsa_dx10_clamp 1
		.amdhsa_ieee_mode 1
		.amdhsa_fp16_overflow 0
		.amdhsa_workgroup_processor_mode 1
		.amdhsa_memory_ordered 1
		.amdhsa_forward_progress 0
		.amdhsa_shared_vgpr_count 0
		.amdhsa_exception_fp_ieee_invalid_op 0
		.amdhsa_exception_fp_denorm_src 0
		.amdhsa_exception_fp_ieee_div_zero 0
		.amdhsa_exception_fp_ieee_overflow 0
		.amdhsa_exception_fp_ieee_underflow 0
		.amdhsa_exception_fp_ieee_inexact 0
		.amdhsa_exception_int_div_zero 0
	.end_amdhsa_kernel
	.section	.text._ZL24rocblas_dot_kernel_magsqIiLb1ELi1024ELi32ELb1EDF16_PKPKDF16_fEviT5_lT_liPT6_PT4_,"axG",@progbits,_ZL24rocblas_dot_kernel_magsqIiLb1ELi1024ELi32ELb1EDF16_PKPKDF16_fEviT5_lT_liPT6_PT4_,comdat
.Lfunc_end480:
	.size	_ZL24rocblas_dot_kernel_magsqIiLb1ELi1024ELi32ELb1EDF16_PKPKDF16_fEviT5_lT_liPT6_PT4_, .Lfunc_end480-_ZL24rocblas_dot_kernel_magsqIiLb1ELi1024ELi32ELb1EDF16_PKPKDF16_fEviT5_lT_liPT6_PT4_
                                        ; -- End function
	.section	.AMDGPU.csdata,"",@progbits
; Kernel info:
; codeLenInByte = 812
; NumSgprs: 19
; NumVgprs: 10
; ScratchSize: 0
; MemoryBound: 0
; FloatMode: 240
; IeeeMode: 1
; LDSByteSize: 128 bytes/workgroup (compile time only)
; SGPRBlocks: 2
; VGPRBlocks: 1
; NumSGPRsForWavesPerEU: 19
; NumVGPRsForWavesPerEU: 10
; Occupancy: 16
; WaveLimiterHint : 0
; COMPUTE_PGM_RSRC2:SCRATCH_EN: 0
; COMPUTE_PGM_RSRC2:USER_SGPR: 14
; COMPUTE_PGM_RSRC2:TRAP_HANDLER: 0
; COMPUTE_PGM_RSRC2:TGID_X_EN: 1
; COMPUTE_PGM_RSRC2:TGID_Y_EN: 0
; COMPUTE_PGM_RSRC2:TGID_Z_EN: 1
; COMPUTE_PGM_RSRC2:TIDIG_COMP_CNT: 0
	.section	.text._ZL23rocblas_dot_kernel_inc1ILb0ELi512ELi8ELb1EDF16_PKPKDF16_fEviT4_llS4_lliPT5_PT3_,"axG",@progbits,_ZL23rocblas_dot_kernel_inc1ILb0ELi512ELi8ELb1EDF16_PKPKDF16_fEviT4_llS4_lliPT5_PT3_,comdat
	.globl	_ZL23rocblas_dot_kernel_inc1ILb0ELi512ELi8ELb1EDF16_PKPKDF16_fEviT4_llS4_lliPT5_PT3_ ; -- Begin function _ZL23rocblas_dot_kernel_inc1ILb0ELi512ELi8ELb1EDF16_PKPKDF16_fEviT4_llS4_lliPT5_PT3_
	.p2align	8
	.type	_ZL23rocblas_dot_kernel_inc1ILb0ELi512ELi8ELb1EDF16_PKPKDF16_fEviT4_llS4_lliPT5_PT3_,@function
_ZL23rocblas_dot_kernel_inc1ILb0ELi512ELi8ELb1EDF16_PKPKDF16_fEviT4_llS4_lliPT5_PT3_: ; @_ZL23rocblas_dot_kernel_inc1ILb0ELi512ELi8ELb1EDF16_PKPKDF16_fEviT4_llS4_lliPT5_PT3_
; %bb.0:
	s_clause 0x2
	s_load_b32 s12, s[0:1], 0x50
	s_load_b32 s13, s[0:1], 0x0
	s_load_b128 s[4:7], s[0:1], 0x40
	v_lshl_or_b32 v3, s14, 9, v0
	v_mov_b32_e32 v5, 0
	s_mov_b32 s2, s15
	s_mov_b32 s3, 0
	s_mov_b32 s15, exec_lo
	s_waitcnt lgkmcnt(0)
	v_cmpx_gt_i32_e64 s13, v3
	s_cbranch_execz .LBB481_4
; %bb.1:
	s_clause 0x1
	s_load_b128 s[8:11], s[0:1], 0x8
	s_load_b128 s[20:23], s[0:1], 0x20
	s_lshl_b64 s[18:19], s[2:3], 3
	v_ashrrev_i32_e32 v4, 31, v3
	v_mov_b32_e32 v5, 0
	s_delay_alu instid0(VALU_DEP_2)
	v_lshlrev_b64 v[1:2], 1, v[3:4]
	s_waitcnt lgkmcnt(0)
	s_add_u32 s0, s8, s18
	s_addc_u32 s1, s9, s19
	s_lshl_b64 s[10:11], s[10:11], 1
	s_load_b64 s[8:9], s[0:1], 0x0
	s_waitcnt lgkmcnt(0)
	s_add_u32 s1, s8, s10
	s_addc_u32 s16, s9, s11
	s_add_u32 s8, s20, s18
	s_addc_u32 s9, s21, s19
	s_lshl_b64 s[10:11], s[22:23], 1
	s_load_b64 s[8:9], s[8:9], 0x0
	s_mov_b32 s19, s3
	s_waitcnt lgkmcnt(0)
	s_add_u32 s17, s8, s10
	s_addc_u32 s18, s9, s11
	s_lshl_b32 s8, s12, 9
	s_delay_alu instid0(SALU_CYCLE_1) | instskip(SKIP_1) | instid1(SALU_CYCLE_1)
	v_add_nc_u32_e32 v3, s8, v3
	s_ashr_i32 s9, s8, 31
	s_lshl_b64 s[10:11], s[8:9], 1
	s_mov_b32 s9, s3
	.p2align	6
.LBB481_2:                              ; =>This Inner Loop Header: Depth=1
	v_add_co_u32 v6, vcc_lo, s17, v1
	v_add_co_ci_u32_e32 v7, vcc_lo, s18, v2, vcc_lo
	v_add_co_u32 v8, vcc_lo, s1, v1
	v_add_co_ci_u32_e32 v9, vcc_lo, s16, v2, vcc_lo
	s_add_i32 s20, s19, 1
	global_load_u16 v4, v[6:7], off
	global_load_u16 v6, v[8:9], off
	v_cmp_le_i32_e32 vcc_lo, s13, v3
	v_add_co_u32 v1, s0, v1, s10
	s_cmp_gt_u32 s19, 6
	v_add_co_ci_u32_e64 v2, s0, s11, v2, s0
	s_cselect_b32 s0, -1, 0
	v_add_nc_u32_e32 v3, s8, v3
	s_or_b32 s0, s0, vcc_lo
	s_mov_b32 s19, s20
	s_and_b32 s0, exec_lo, s0
	s_delay_alu instid0(SALU_CYCLE_1)
	s_or_b32 s9, s0, s9
	s_waitcnt vmcnt(0)
	v_fma_mix_f32 v5, v4, v6, v5 op_sel_hi:[1,1,0]
	s_and_not1_b32 exec_lo, exec_lo, s9
	s_cbranch_execnz .LBB481_2
; %bb.3:
	s_or_b32 exec_lo, exec_lo, s9
.LBB481_4:
	s_delay_alu instid0(SALU_CYCLE_1) | instskip(SKIP_2) | instid1(VALU_DEP_2)
	s_or_b32 exec_lo, exec_lo, s15
	v_and_b32_e32 v2, 31, v0
	v_cmp_gt_u32_e32 vcc_lo, 32, v0
	v_lshlrev_b32_e32 v1, 2, v2
	s_and_saveexec_b32 s0, vcc_lo
	s_cbranch_execz .LBB481_6
; %bb.5:
	v_mov_b32_e32 v3, 0
	ds_store_b32 v1, v3
.LBB481_6:
	s_or_b32 exec_lo, exec_lo, s0
	v_mbcnt_lo_u32_b32 v6, -1, 0
	s_mov_b32 s1, exec_lo
	s_waitcnt lgkmcnt(0)
	s_barrier
	buffer_gl0_inv
	v_cmp_gt_u32_e64 s0, 16, v6
	s_delay_alu instid0(VALU_DEP_1) | instskip(SKIP_1) | instid1(VALU_DEP_2)
	v_cndmask_b32_e64 v3, 0, 1, s0
	v_cmp_gt_u32_e64 s0, 24, v6
	v_lshlrev_b32_e32 v3, 4, v3
	s_delay_alu instid0(VALU_DEP_1) | instskip(SKIP_3) | instid1(VALU_DEP_2)
	v_add_lshl_u32 v3, v3, v6, 2
	ds_bpermute_b32 v4, v3, v5
	v_cndmask_b32_e64 v3, 0, 1, s0
	v_cmp_gt_u32_e64 s0, 28, v6
	v_lshlrev_b32_e32 v3, 3, v3
	s_delay_alu instid0(VALU_DEP_1)
	v_add_lshl_u32 v3, v3, v6, 2
	s_waitcnt lgkmcnt(0)
	v_add_f32_e32 v5, v5, v4
	v_cndmask_b32_e64 v4, 0, 1, s0
	v_cmp_gt_u32_e64 s0, 30, v6
	ds_bpermute_b32 v7, v3, v5
	s_waitcnt lgkmcnt(0)
	v_dual_add_f32 v7, v5, v7 :: v_dual_lshlrev_b32 v4, 2, v4
	s_delay_alu instid0(VALU_DEP_1) | instskip(SKIP_4) | instid1(VALU_DEP_1)
	v_add_lshl_u32 v4, v4, v6, 2
	v_cndmask_b32_e64 v5, 0, 1, s0
	v_cmp_ne_u32_e64 s0, 31, v6
	ds_bpermute_b32 v8, v4, v7
	v_lshlrev_b32_e32 v5, 1, v5
	v_add_lshl_u32 v5, v5, v6, 2
	v_add_co_ci_u32_e64 v6, s0, 0, v6, s0
	s_waitcnt lgkmcnt(0)
	s_delay_alu instid0(VALU_DEP_1)
	v_dual_add_f32 v7, v7, v8 :: v_dual_lshlrev_b32 v6, 2, v6
	ds_bpermute_b32 v8, v5, v7
	s_waitcnt lgkmcnt(0)
	v_add_f32_e32 v7, v7, v8
	ds_bpermute_b32 v8, v6, v7
	v_cmpx_eq_u32_e32 0, v2
	s_cbranch_execz .LBB481_8
; %bb.7:
	v_lshrrev_b32_e32 v2, 3, v0
	s_waitcnt lgkmcnt(0)
	s_delay_alu instid0(VALU_DEP_1)
	v_dual_add_f32 v7, v7, v8 :: v_dual_and_b32 v2, 60, v2
	ds_store_b32 v2, v7
.LBB481_8:
	s_or_b32 exec_lo, exec_lo, s1
	v_mov_b32_e32 v2, 0
	s_mov_b32 s1, exec_lo
	s_waitcnt lgkmcnt(0)
	s_barrier
	buffer_gl0_inv
	v_cmpx_gt_u32_e32 16, v0
	s_cbranch_execz .LBB481_10
; %bb.9:
	ds_load_b32 v2, v1
.LBB481_10:
	s_or_b32 exec_lo, exec_lo, s1
	s_and_saveexec_b32 s0, vcc_lo
	s_cbranch_execz .LBB481_12
; %bb.11:
	s_waitcnt lgkmcnt(0)
	ds_bpermute_b32 v1, v3, v2
	s_waitcnt lgkmcnt(0)
	v_add_f32_e32 v1, v2, v1
	ds_bpermute_b32 v2, v4, v1
	s_waitcnt lgkmcnt(0)
	v_add_f32_e32 v1, v1, v2
	;; [unrolled: 3-line block ×4, first 2 shown]
.LBB481_12:
	s_or_b32 exec_lo, exec_lo, s0
	s_delay_alu instid0(SALU_CYCLE_1)
	s_mov_b32 s0, exec_lo
	v_cmpx_eq_u32_e32 0, v0
	s_cbranch_execz .LBB481_17
; %bb.13:
	s_cmp_lg_u32 s12, 1
	s_mov_b32 s15, -1
	s_cbranch_scc0 .LBB481_15
; %bb.14:
	s_mul_hi_u32 s1, s12, s2
	s_mul_i32 s0, s12, s2
	s_mov_b32 s15, 0
	s_lshl_b64 s[0:1], s[0:1], 2
	v_mov_b32_e32 v0, 0
	s_add_u32 s4, s4, s0
	s_addc_u32 s5, s5, s1
	s_lshl_b64 s[0:1], s[14:15], 2
	s_delay_alu instid0(SALU_CYCLE_1)
	s_add_u32 s0, s4, s0
	s_addc_u32 s1, s5, s1
	s_waitcnt lgkmcnt(0)
	global_store_b32 v0, v2, s[0:1]
.LBB481_15:
	s_and_not1_b32 vcc_lo, exec_lo, s15
	s_cbranch_vccnz .LBB481_17
; %bb.16:
	s_waitcnt lgkmcnt(0)
	v_cvt_f16_f32_e32 v0, v2
	s_lshl_b64 s[0:1], s[2:3], 1
	v_mov_b32_e32 v1, 0
	s_add_u32 s0, s6, s0
	s_addc_u32 s1, s7, s1
	global_store_b16 v1, v0, s[0:1]
.LBB481_17:
	s_nop 0
	s_sendmsg sendmsg(MSG_DEALLOC_VGPRS)
	s_endpgm
	.section	.rodata,"a",@progbits
	.p2align	6, 0x0
	.amdhsa_kernel _ZL23rocblas_dot_kernel_inc1ILb0ELi512ELi8ELb1EDF16_PKPKDF16_fEviT4_llS4_lliPT5_PT3_
		.amdhsa_group_segment_fixed_size 128
		.amdhsa_private_segment_fixed_size 0
		.amdhsa_kernarg_size 336
		.amdhsa_user_sgpr_count 14
		.amdhsa_user_sgpr_dispatch_ptr 0
		.amdhsa_user_sgpr_queue_ptr 0
		.amdhsa_user_sgpr_kernarg_segment_ptr 1
		.amdhsa_user_sgpr_dispatch_id 0
		.amdhsa_user_sgpr_private_segment_size 0
		.amdhsa_wavefront_size32 1
		.amdhsa_uses_dynamic_stack 0
		.amdhsa_enable_private_segment 0
		.amdhsa_system_sgpr_workgroup_id_x 1
		.amdhsa_system_sgpr_workgroup_id_y 0
		.amdhsa_system_sgpr_workgroup_id_z 1
		.amdhsa_system_sgpr_workgroup_info 0
		.amdhsa_system_vgpr_workitem_id 0
		.amdhsa_next_free_vgpr 10
		.amdhsa_next_free_sgpr 24
		.amdhsa_reserve_vcc 1
		.amdhsa_float_round_mode_32 0
		.amdhsa_float_round_mode_16_64 0
		.amdhsa_float_denorm_mode_32 3
		.amdhsa_float_denorm_mode_16_64 3
		.amdhsa_dx10_clamp 1
		.amdhsa_ieee_mode 1
		.amdhsa_fp16_overflow 0
		.amdhsa_workgroup_processor_mode 1
		.amdhsa_memory_ordered 1
		.amdhsa_forward_progress 0
		.amdhsa_shared_vgpr_count 0
		.amdhsa_exception_fp_ieee_invalid_op 0
		.amdhsa_exception_fp_denorm_src 0
		.amdhsa_exception_fp_ieee_div_zero 0
		.amdhsa_exception_fp_ieee_overflow 0
		.amdhsa_exception_fp_ieee_underflow 0
		.amdhsa_exception_fp_ieee_inexact 0
		.amdhsa_exception_int_div_zero 0
	.end_amdhsa_kernel
	.section	.text._ZL23rocblas_dot_kernel_inc1ILb0ELi512ELi8ELb1EDF16_PKPKDF16_fEviT4_llS4_lliPT5_PT3_,"axG",@progbits,_ZL23rocblas_dot_kernel_inc1ILb0ELi512ELi8ELb1EDF16_PKPKDF16_fEviT4_llS4_lliPT5_PT3_,comdat
.Lfunc_end481:
	.size	_ZL23rocblas_dot_kernel_inc1ILb0ELi512ELi8ELb1EDF16_PKPKDF16_fEviT4_llS4_lliPT5_PT3_, .Lfunc_end481-_ZL23rocblas_dot_kernel_inc1ILb0ELi512ELi8ELb1EDF16_PKPKDF16_fEviT4_llS4_lliPT5_PT3_
                                        ; -- End function
	.section	.AMDGPU.csdata,"",@progbits
; Kernel info:
; codeLenInByte = 924
; NumSgprs: 26
; NumVgprs: 10
; ScratchSize: 0
; MemoryBound: 0
; FloatMode: 240
; IeeeMode: 1
; LDSByteSize: 128 bytes/workgroup (compile time only)
; SGPRBlocks: 3
; VGPRBlocks: 1
; NumSGPRsForWavesPerEU: 26
; NumVGPRsForWavesPerEU: 10
; Occupancy: 16
; WaveLimiterHint : 1
; COMPUTE_PGM_RSRC2:SCRATCH_EN: 0
; COMPUTE_PGM_RSRC2:USER_SGPR: 14
; COMPUTE_PGM_RSRC2:TRAP_HANDLER: 0
; COMPUTE_PGM_RSRC2:TGID_X_EN: 1
; COMPUTE_PGM_RSRC2:TGID_Y_EN: 0
; COMPUTE_PGM_RSRC2:TGID_Z_EN: 1
; COMPUTE_PGM_RSRC2:TIDIG_COMP_CNT: 0
	.section	.text._ZL18rocblas_dot_kernelIiLb0ELi512ELi8ELb1EDF16_PKPKDF16_fEviT5_lT_lS4_lS5_liPT6_PT4_,"axG",@progbits,_ZL18rocblas_dot_kernelIiLb0ELi512ELi8ELb1EDF16_PKPKDF16_fEviT5_lT_lS4_lS5_liPT6_PT4_,comdat
	.globl	_ZL18rocblas_dot_kernelIiLb0ELi512ELi8ELb1EDF16_PKPKDF16_fEviT5_lT_lS4_lS5_liPT6_PT4_ ; -- Begin function _ZL18rocblas_dot_kernelIiLb0ELi512ELi8ELb1EDF16_PKPKDF16_fEviT5_lT_lS4_lS5_liPT6_PT4_
	.p2align	8
	.type	_ZL18rocblas_dot_kernelIiLb0ELi512ELi8ELb1EDF16_PKPKDF16_fEviT5_lT_lS4_lS5_liPT6_PT4_,@function
_ZL18rocblas_dot_kernelIiLb0ELi512ELi8ELb1EDF16_PKPKDF16_fEviT5_lT_lS4_lS5_liPT6_PT4_: ; @_ZL18rocblas_dot_kernelIiLb0ELi512ELi8ELb1EDF16_PKPKDF16_fEviT5_lT_lS4_lS5_liPT6_PT4_
; %bb.0:
	s_clause 0x2
	s_load_b32 s12, s[0:1], 0x60
	s_load_b32 s13, s[0:1], 0x0
	s_load_b128 s[4:7], s[0:1], 0x50
	v_lshl_or_b32 v1, s14, 9, v0
	v_mov_b32_e32 v5, 0
	s_mov_b32 s2, s15
	s_mov_b32 s3, 0
	s_mov_b32 s15, exec_lo
	s_waitcnt lgkmcnt(0)
	v_cmpx_gt_i32_e64 s13, v1
	s_cbranch_execz .LBB482_4
; %bb.1:
	s_clause 0x3
	s_load_b128 s[16:19], s[0:1], 0x8
	s_load_b128 s[8:11], s[0:1], 0x28
	s_load_b32 s22, s[0:1], 0x18
	s_load_b32 s24, s[0:1], 0x38
	s_lshl_b64 s[0:1], s[2:3], 3
	s_waitcnt lgkmcnt(0)
	s_add_u32 s16, s16, s0
	s_addc_u32 s17, s17, s1
	s_add_u32 s0, s8, s0
	s_load_b64 s[16:17], s[16:17], 0x0
	s_addc_u32 s1, s9, s1
	v_mad_i64_i32 v[2:3], null, s22, v1, 0
	s_load_b64 s[20:21], s[0:1], 0x0
	v_mad_i64_i32 v[4:5], null, s24, v1, 0
	s_lshl_b32 s1, s12, 9
	s_lshl_b64 s[8:9], s[18:19], 1
	v_add_nc_u32_e32 v6, s1, v1
	s_delay_alu instid0(VALU_DEP_3) | instskip(SKIP_2) | instid1(VALU_DEP_3)
	v_lshlrev_b64 v[1:2], 1, v[2:3]
	s_mul_hi_i32 s19, s22, s1
	s_mul_i32 s18, s22, s1
	v_lshlrev_b64 v[3:4], 1, v[4:5]
	v_mov_b32_e32 v5, 0
	s_mul_hi_i32 s23, s24, s1
	s_mul_i32 s22, s24, s1
	s_waitcnt lgkmcnt(0)
	s_add_u32 s0, s16, s8
	s_addc_u32 s16, s17, s9
	s_lshl_b64 s[10:11], s[10:11], 1
	s_lshl_b64 s[8:9], s[18:19], 1
	v_add_co_u32 v1, vcc_lo, s0, v1
	s_add_u32 s0, s20, s10
	v_add_co_ci_u32_e32 v2, vcc_lo, s16, v2, vcc_lo
	s_addc_u32 s10, s21, s11
	v_add_co_u32 v3, vcc_lo, s0, v3
	v_add_co_ci_u32_e32 v4, vcc_lo, s10, v4, vcc_lo
	s_lshl_b64 s[10:11], s[22:23], 1
	s_mov_b32 s16, s3
	s_mov_b32 s17, s3
	.p2align	6
.LBB482_2:                              ; =>This Inner Loop Header: Depth=1
	global_load_u16 v7, v[3:4], off
	global_load_u16 v8, v[1:2], off
	v_add_co_u32 v1, s0, v1, s8
	s_delay_alu instid0(VALU_DEP_1)
	v_add_co_ci_u32_e64 v2, s0, s9, v2, s0
	s_add_i32 s18, s17, 1
	v_cmp_le_i32_e32 vcc_lo, s13, v6
	v_add_co_u32 v3, s0, v3, s10
	s_cmp_gt_u32 s17, 6
	v_add_co_ci_u32_e64 v4, s0, s11, v4, s0
	s_cselect_b32 s0, -1, 0
	v_add_nc_u32_e32 v6, s1, v6
	s_or_b32 s0, s0, vcc_lo
	s_mov_b32 s17, s18
	s_and_b32 s0, exec_lo, s0
	s_delay_alu instid0(SALU_CYCLE_1)
	s_or_b32 s16, s0, s16
	s_waitcnt vmcnt(0)
	v_fma_mix_f32 v5, v7, v8, v5 op_sel_hi:[1,1,0]
	s_and_not1_b32 exec_lo, exec_lo, s16
	s_cbranch_execnz .LBB482_2
; %bb.3:
	s_or_b32 exec_lo, exec_lo, s16
.LBB482_4:
	s_delay_alu instid0(SALU_CYCLE_1) | instskip(SKIP_2) | instid1(VALU_DEP_2)
	s_or_b32 exec_lo, exec_lo, s15
	v_and_b32_e32 v2, 31, v0
	v_cmp_gt_u32_e32 vcc_lo, 32, v0
	v_lshlrev_b32_e32 v1, 2, v2
	s_and_saveexec_b32 s0, vcc_lo
	s_cbranch_execz .LBB482_6
; %bb.5:
	v_mov_b32_e32 v3, 0
	ds_store_b32 v1, v3
.LBB482_6:
	s_or_b32 exec_lo, exec_lo, s0
	v_mbcnt_lo_u32_b32 v6, -1, 0
	s_mov_b32 s1, exec_lo
	s_waitcnt lgkmcnt(0)
	s_barrier
	buffer_gl0_inv
	v_cmp_gt_u32_e64 s0, 16, v6
	s_delay_alu instid0(VALU_DEP_1) | instskip(SKIP_1) | instid1(VALU_DEP_2)
	v_cndmask_b32_e64 v3, 0, 1, s0
	v_cmp_gt_u32_e64 s0, 24, v6
	v_lshlrev_b32_e32 v3, 4, v3
	s_delay_alu instid0(VALU_DEP_1) | instskip(SKIP_3) | instid1(VALU_DEP_2)
	v_add_lshl_u32 v3, v3, v6, 2
	ds_bpermute_b32 v4, v3, v5
	v_cndmask_b32_e64 v3, 0, 1, s0
	v_cmp_gt_u32_e64 s0, 28, v6
	v_lshlrev_b32_e32 v3, 3, v3
	s_delay_alu instid0(VALU_DEP_1)
	v_add_lshl_u32 v3, v3, v6, 2
	s_waitcnt lgkmcnt(0)
	v_add_f32_e32 v5, v5, v4
	v_cndmask_b32_e64 v4, 0, 1, s0
	v_cmp_gt_u32_e64 s0, 30, v6
	ds_bpermute_b32 v7, v3, v5
	s_waitcnt lgkmcnt(0)
	v_dual_add_f32 v7, v5, v7 :: v_dual_lshlrev_b32 v4, 2, v4
	s_delay_alu instid0(VALU_DEP_1) | instskip(SKIP_4) | instid1(VALU_DEP_1)
	v_add_lshl_u32 v4, v4, v6, 2
	v_cndmask_b32_e64 v5, 0, 1, s0
	v_cmp_ne_u32_e64 s0, 31, v6
	ds_bpermute_b32 v8, v4, v7
	v_lshlrev_b32_e32 v5, 1, v5
	v_add_lshl_u32 v5, v5, v6, 2
	v_add_co_ci_u32_e64 v6, s0, 0, v6, s0
	s_waitcnt lgkmcnt(0)
	s_delay_alu instid0(VALU_DEP_1)
	v_dual_add_f32 v7, v7, v8 :: v_dual_lshlrev_b32 v6, 2, v6
	ds_bpermute_b32 v8, v5, v7
	s_waitcnt lgkmcnt(0)
	v_add_f32_e32 v7, v7, v8
	ds_bpermute_b32 v8, v6, v7
	v_cmpx_eq_u32_e32 0, v2
	s_cbranch_execz .LBB482_8
; %bb.7:
	v_lshrrev_b32_e32 v2, 3, v0
	s_waitcnt lgkmcnt(0)
	s_delay_alu instid0(VALU_DEP_1)
	v_dual_add_f32 v7, v7, v8 :: v_dual_and_b32 v2, 60, v2
	ds_store_b32 v2, v7
.LBB482_8:
	s_or_b32 exec_lo, exec_lo, s1
	v_mov_b32_e32 v2, 0
	s_mov_b32 s1, exec_lo
	s_waitcnt lgkmcnt(0)
	s_barrier
	buffer_gl0_inv
	v_cmpx_gt_u32_e32 16, v0
	s_cbranch_execz .LBB482_10
; %bb.9:
	ds_load_b32 v2, v1
.LBB482_10:
	s_or_b32 exec_lo, exec_lo, s1
	s_and_saveexec_b32 s0, vcc_lo
	s_cbranch_execz .LBB482_12
; %bb.11:
	s_waitcnt lgkmcnt(0)
	ds_bpermute_b32 v1, v3, v2
	s_waitcnt lgkmcnt(0)
	v_add_f32_e32 v1, v2, v1
	ds_bpermute_b32 v2, v4, v1
	s_waitcnt lgkmcnt(0)
	v_add_f32_e32 v1, v1, v2
	;; [unrolled: 3-line block ×4, first 2 shown]
.LBB482_12:
	s_or_b32 exec_lo, exec_lo, s0
	s_delay_alu instid0(SALU_CYCLE_1)
	s_mov_b32 s0, exec_lo
	v_cmpx_eq_u32_e32 0, v0
	s_cbranch_execz .LBB482_17
; %bb.13:
	s_cmp_lg_u32 s12, 1
	s_mov_b32 s15, -1
	s_cbranch_scc0 .LBB482_15
; %bb.14:
	s_mul_hi_u32 s1, s12, s2
	s_mul_i32 s0, s12, s2
	s_mov_b32 s15, 0
	s_lshl_b64 s[0:1], s[0:1], 2
	v_mov_b32_e32 v0, 0
	s_add_u32 s4, s4, s0
	s_addc_u32 s5, s5, s1
	s_lshl_b64 s[0:1], s[14:15], 2
	s_delay_alu instid0(SALU_CYCLE_1)
	s_add_u32 s0, s4, s0
	s_addc_u32 s1, s5, s1
	s_waitcnt lgkmcnt(0)
	global_store_b32 v0, v2, s[0:1]
.LBB482_15:
	s_and_not1_b32 vcc_lo, exec_lo, s15
	s_cbranch_vccnz .LBB482_17
; %bb.16:
	s_waitcnt lgkmcnt(0)
	v_cvt_f16_f32_e32 v0, v2
	s_lshl_b64 s[0:1], s[2:3], 1
	v_mov_b32_e32 v1, 0
	s_add_u32 s0, s6, s0
	s_addc_u32 s1, s7, s1
	global_store_b16 v1, v0, s[0:1]
.LBB482_17:
	s_nop 0
	s_sendmsg sendmsg(MSG_DEALLOC_VGPRS)
	s_endpgm
	.section	.rodata,"a",@progbits
	.p2align	6, 0x0
	.amdhsa_kernel _ZL18rocblas_dot_kernelIiLb0ELi512ELi8ELb1EDF16_PKPKDF16_fEviT5_lT_lS4_lS5_liPT6_PT4_
		.amdhsa_group_segment_fixed_size 128
		.amdhsa_private_segment_fixed_size 0
		.amdhsa_kernarg_size 352
		.amdhsa_user_sgpr_count 14
		.amdhsa_user_sgpr_dispatch_ptr 0
		.amdhsa_user_sgpr_queue_ptr 0
		.amdhsa_user_sgpr_kernarg_segment_ptr 1
		.amdhsa_user_sgpr_dispatch_id 0
		.amdhsa_user_sgpr_private_segment_size 0
		.amdhsa_wavefront_size32 1
		.amdhsa_uses_dynamic_stack 0
		.amdhsa_enable_private_segment 0
		.amdhsa_system_sgpr_workgroup_id_x 1
		.amdhsa_system_sgpr_workgroup_id_y 0
		.amdhsa_system_sgpr_workgroup_id_z 1
		.amdhsa_system_sgpr_workgroup_info 0
		.amdhsa_system_vgpr_workitem_id 0
		.amdhsa_next_free_vgpr 9
		.amdhsa_next_free_sgpr 25
		.amdhsa_reserve_vcc 1
		.amdhsa_float_round_mode_32 0
		.amdhsa_float_round_mode_16_64 0
		.amdhsa_float_denorm_mode_32 3
		.amdhsa_float_denorm_mode_16_64 3
		.amdhsa_dx10_clamp 1
		.amdhsa_ieee_mode 1
		.amdhsa_fp16_overflow 0
		.amdhsa_workgroup_processor_mode 1
		.amdhsa_memory_ordered 1
		.amdhsa_forward_progress 0
		.amdhsa_shared_vgpr_count 0
		.amdhsa_exception_fp_ieee_invalid_op 0
		.amdhsa_exception_fp_denorm_src 0
		.amdhsa_exception_fp_ieee_div_zero 0
		.amdhsa_exception_fp_ieee_overflow 0
		.amdhsa_exception_fp_ieee_underflow 0
		.amdhsa_exception_fp_ieee_inexact 0
		.amdhsa_exception_int_div_zero 0
	.end_amdhsa_kernel
	.section	.text._ZL18rocblas_dot_kernelIiLb0ELi512ELi8ELb1EDF16_PKPKDF16_fEviT5_lT_lS4_lS5_liPT6_PT4_,"axG",@progbits,_ZL18rocblas_dot_kernelIiLb0ELi512ELi8ELb1EDF16_PKPKDF16_fEviT5_lT_lS4_lS5_liPT6_PT4_,comdat
.Lfunc_end482:
	.size	_ZL18rocblas_dot_kernelIiLb0ELi512ELi8ELb1EDF16_PKPKDF16_fEviT5_lT_lS4_lS5_liPT6_PT4_, .Lfunc_end482-_ZL18rocblas_dot_kernelIiLb0ELi512ELi8ELb1EDF16_PKPKDF16_fEviT5_lT_lS4_lS5_liPT6_PT4_
                                        ; -- End function
	.section	.AMDGPU.csdata,"",@progbits
; Kernel info:
; codeLenInByte = 988
; NumSgprs: 27
; NumVgprs: 9
; ScratchSize: 0
; MemoryBound: 0
; FloatMode: 240
; IeeeMode: 1
; LDSByteSize: 128 bytes/workgroup (compile time only)
; SGPRBlocks: 3
; VGPRBlocks: 1
; NumSGPRsForWavesPerEU: 27
; NumVGPRsForWavesPerEU: 9
; Occupancy: 16
; WaveLimiterHint : 0
; COMPUTE_PGM_RSRC2:SCRATCH_EN: 0
; COMPUTE_PGM_RSRC2:USER_SGPR: 14
; COMPUTE_PGM_RSRC2:TRAP_HANDLER: 0
; COMPUTE_PGM_RSRC2:TGID_X_EN: 1
; COMPUTE_PGM_RSRC2:TGID_Y_EN: 0
; COMPUTE_PGM_RSRC2:TGID_Z_EN: 1
; COMPUTE_PGM_RSRC2:TIDIG_COMP_CNT: 0
	.section	.text._ZL24rocblas_dot_kernel_magsqIiLb0ELi512ELi8ELb1EDF16_PKPKDF16_fEviT5_lT_liPT6_PT4_,"axG",@progbits,_ZL24rocblas_dot_kernel_magsqIiLb0ELi512ELi8ELb1EDF16_PKPKDF16_fEviT5_lT_liPT6_PT4_,comdat
	.globl	_ZL24rocblas_dot_kernel_magsqIiLb0ELi512ELi8ELb1EDF16_PKPKDF16_fEviT5_lT_liPT6_PT4_ ; -- Begin function _ZL24rocblas_dot_kernel_magsqIiLb0ELi512ELi8ELb1EDF16_PKPKDF16_fEviT5_lT_liPT6_PT4_
	.p2align	8
	.type	_ZL24rocblas_dot_kernel_magsqIiLb0ELi512ELi8ELb1EDF16_PKPKDF16_fEviT5_lT_liPT6_PT4_,@function
_ZL24rocblas_dot_kernel_magsqIiLb0ELi512ELi8ELb1EDF16_PKPKDF16_fEviT5_lT_liPT6_PT4_: ; @_ZL24rocblas_dot_kernel_magsqIiLb0ELi512ELi8ELb1EDF16_PKPKDF16_fEviT5_lT_liPT6_PT4_
; %bb.0:
	s_clause 0x2
	s_load_b32 s11, s[0:1], 0x0
	s_load_b128 s[4:7], s[0:1], 0x30
	s_load_b32 s10, s[0:1], 0x40
	v_lshl_or_b32 v1, s14, 9, v0
	v_mov_b32_e32 v3, 0
	s_mov_b32 s2, s15
	s_mov_b32 s3, 0
	s_mov_b32 s12, exec_lo
	s_waitcnt lgkmcnt(0)
	v_cmpx_gt_i32_e64 s11, v1
	s_cbranch_execz .LBB483_4
; %bb.1:
	s_clause 0x1
	s_load_b128 s[16:19], s[0:1], 0x8
	s_load_b32 s13, s[0:1], 0x18
	s_lshl_b64 s[0:1], s[2:3], 3
	s_mov_b32 s15, s3
	s_waitcnt lgkmcnt(0)
	s_add_u32 s0, s16, s0
	s_addc_u32 s1, s17, s1
	v_mad_i64_i32 v[2:3], null, s13, v1, 0
	s_load_b64 s[8:9], s[0:1], 0x0
	s_lshl_b32 s1, s10, 9
	s_lshl_b64 s[16:17], s[18:19], 1
	v_add_nc_u32_e32 v4, s1, v1
	s_mul_hi_i32 s19, s13, s1
	s_mul_i32 s18, s13, s1
	s_delay_alu instid0(VALU_DEP_2)
	v_lshlrev_b64 v[1:2], 1, v[2:3]
	v_mov_b32_e32 v3, 0
	s_mov_b32 s13, s3
	s_waitcnt lgkmcnt(0)
	s_add_u32 s0, s8, s16
	s_addc_u32 s8, s9, s17
	v_add_co_u32 v1, vcc_lo, s0, v1
	v_add_co_ci_u32_e32 v2, vcc_lo, s8, v2, vcc_lo
	s_lshl_b64 s[8:9], s[18:19], 1
	.p2align	6
.LBB483_2:                              ; =>This Inner Loop Header: Depth=1
	global_load_u16 v5, v[1:2], off
	s_add_i32 s16, s15, 1
	v_cmp_le_i32_e32 vcc_lo, s11, v4
	v_add_co_u32 v1, s0, v1, s8
	s_cmp_gt_u32 s15, 6
	v_add_co_ci_u32_e64 v2, s0, s9, v2, s0
	s_cselect_b32 s0, -1, 0
	v_add_nc_u32_e32 v4, s1, v4
	s_or_b32 s0, s0, vcc_lo
	s_mov_b32 s15, s16
	s_and_b32 s0, exec_lo, s0
	s_delay_alu instid0(SALU_CYCLE_1)
	s_or_b32 s13, s0, s13
	s_waitcnt vmcnt(0)
	v_fma_mix_f32 v3, v5, v5, v3 op_sel_hi:[1,1,0]
	s_and_not1_b32 exec_lo, exec_lo, s13
	s_cbranch_execnz .LBB483_2
; %bb.3:
	s_or_b32 exec_lo, exec_lo, s13
.LBB483_4:
	s_delay_alu instid0(SALU_CYCLE_1) | instskip(SKIP_2) | instid1(VALU_DEP_2)
	s_or_b32 exec_lo, exec_lo, s12
	v_and_b32_e32 v2, 31, v0
	v_cmp_gt_u32_e32 vcc_lo, 32, v0
	v_lshlrev_b32_e32 v1, 2, v2
	s_and_saveexec_b32 s0, vcc_lo
	s_cbranch_execz .LBB483_6
; %bb.5:
	v_mov_b32_e32 v4, 0
	ds_store_b32 v1, v4
.LBB483_6:
	s_or_b32 exec_lo, exec_lo, s0
	v_mbcnt_lo_u32_b32 v6, -1, 0
	s_mov_b32 s1, exec_lo
	s_waitcnt lgkmcnt(0)
	s_barrier
	buffer_gl0_inv
	v_cmp_gt_u32_e64 s0, 16, v6
	s_delay_alu instid0(VALU_DEP_1) | instskip(SKIP_1) | instid1(VALU_DEP_2)
	v_cndmask_b32_e64 v4, 0, 1, s0
	v_cmp_gt_u32_e64 s0, 24, v6
	v_lshlrev_b32_e32 v4, 4, v4
	s_delay_alu instid0(VALU_DEP_1) | instskip(SKIP_4) | instid1(VALU_DEP_2)
	v_add_lshl_u32 v4, v4, v6, 2
	ds_bpermute_b32 v5, v4, v3
	v_cndmask_b32_e64 v4, 0, 1, s0
	v_cmp_gt_u32_e64 s0, 28, v6
	s_waitcnt lgkmcnt(0)
	v_dual_add_f32 v5, v3, v5 :: v_dual_lshlrev_b32 v4, 3, v4
	s_delay_alu instid0(VALU_DEP_2) | instskip(SKIP_1) | instid1(VALU_DEP_3)
	v_cndmask_b32_e64 v3, 0, 1, s0
	v_cmp_gt_u32_e64 s0, 30, v6
	v_add_lshl_u32 v4, v4, v6, 2
	s_delay_alu instid0(VALU_DEP_3)
	v_lshlrev_b32_e32 v3, 2, v3
	ds_bpermute_b32 v7, v4, v5
	v_add_lshl_u32 v3, v3, v6, 2
	s_waitcnt lgkmcnt(0)
	v_add_f32_e32 v7, v5, v7
	v_cndmask_b32_e64 v5, 0, 1, s0
	v_cmp_ne_u32_e64 s0, 31, v6
	ds_bpermute_b32 v8, v3, v7
	v_lshlrev_b32_e32 v5, 1, v5
	s_delay_alu instid0(VALU_DEP_1) | instskip(SKIP_2) | instid1(VALU_DEP_1)
	v_add_lshl_u32 v5, v5, v6, 2
	v_add_co_ci_u32_e64 v6, s0, 0, v6, s0
	s_waitcnt lgkmcnt(0)
	v_dual_add_f32 v7, v7, v8 :: v_dual_lshlrev_b32 v6, 2, v6
	ds_bpermute_b32 v8, v5, v7
	s_waitcnt lgkmcnt(0)
	v_add_f32_e32 v7, v7, v8
	ds_bpermute_b32 v8, v6, v7
	v_cmpx_eq_u32_e32 0, v2
	s_cbranch_execz .LBB483_8
; %bb.7:
	v_lshrrev_b32_e32 v2, 3, v0
	s_waitcnt lgkmcnt(0)
	s_delay_alu instid0(VALU_DEP_1)
	v_dual_add_f32 v7, v7, v8 :: v_dual_and_b32 v2, 60, v2
	ds_store_b32 v2, v7
.LBB483_8:
	s_or_b32 exec_lo, exec_lo, s1
	v_mov_b32_e32 v2, 0
	s_mov_b32 s1, exec_lo
	s_waitcnt lgkmcnt(0)
	s_barrier
	buffer_gl0_inv
	v_cmpx_gt_u32_e32 16, v0
	s_cbranch_execz .LBB483_10
; %bb.9:
	ds_load_b32 v2, v1
.LBB483_10:
	s_or_b32 exec_lo, exec_lo, s1
	s_and_saveexec_b32 s0, vcc_lo
	s_cbranch_execz .LBB483_12
; %bb.11:
	s_waitcnt lgkmcnt(0)
	ds_bpermute_b32 v1, v4, v2
	s_waitcnt lgkmcnt(0)
	v_add_f32_e32 v1, v2, v1
	ds_bpermute_b32 v2, v3, v1
	s_waitcnt lgkmcnt(0)
	v_add_f32_e32 v1, v1, v2
	;; [unrolled: 3-line block ×4, first 2 shown]
.LBB483_12:
	s_or_b32 exec_lo, exec_lo, s0
	s_delay_alu instid0(SALU_CYCLE_1)
	s_mov_b32 s0, exec_lo
	v_cmpx_eq_u32_e32 0, v0
	s_cbranch_execz .LBB483_17
; %bb.13:
	s_cmp_lg_u32 s10, 1
	s_mov_b32 s15, -1
	s_cbranch_scc0 .LBB483_15
; %bb.14:
	s_mul_hi_u32 s1, s10, s2
	s_mul_i32 s0, s10, s2
	s_mov_b32 s15, 0
	s_lshl_b64 s[0:1], s[0:1], 2
	v_mov_b32_e32 v0, 0
	s_add_u32 s4, s4, s0
	s_addc_u32 s5, s5, s1
	s_lshl_b64 s[0:1], s[14:15], 2
	s_delay_alu instid0(SALU_CYCLE_1)
	s_add_u32 s0, s4, s0
	s_addc_u32 s1, s5, s1
	s_waitcnt lgkmcnt(0)
	global_store_b32 v0, v2, s[0:1]
.LBB483_15:
	s_and_not1_b32 vcc_lo, exec_lo, s15
	s_cbranch_vccnz .LBB483_17
; %bb.16:
	s_waitcnt lgkmcnt(0)
	v_cvt_f16_f32_e32 v0, v2
	s_lshl_b64 s[0:1], s[2:3], 1
	v_mov_b32_e32 v1, 0
	s_add_u32 s0, s6, s0
	s_addc_u32 s1, s7, s1
	global_store_b16 v1, v0, s[0:1]
.LBB483_17:
	s_nop 0
	s_sendmsg sendmsg(MSG_DEALLOC_VGPRS)
	s_endpgm
	.section	.rodata,"a",@progbits
	.p2align	6, 0x0
	.amdhsa_kernel _ZL24rocblas_dot_kernel_magsqIiLb0ELi512ELi8ELb1EDF16_PKPKDF16_fEviT5_lT_liPT6_PT4_
		.amdhsa_group_segment_fixed_size 128
		.amdhsa_private_segment_fixed_size 0
		.amdhsa_kernarg_size 320
		.amdhsa_user_sgpr_count 14
		.amdhsa_user_sgpr_dispatch_ptr 0
		.amdhsa_user_sgpr_queue_ptr 0
		.amdhsa_user_sgpr_kernarg_segment_ptr 1
		.amdhsa_user_sgpr_dispatch_id 0
		.amdhsa_user_sgpr_private_segment_size 0
		.amdhsa_wavefront_size32 1
		.amdhsa_uses_dynamic_stack 0
		.amdhsa_enable_private_segment 0
		.amdhsa_system_sgpr_workgroup_id_x 1
		.amdhsa_system_sgpr_workgroup_id_y 0
		.amdhsa_system_sgpr_workgroup_id_z 1
		.amdhsa_system_sgpr_workgroup_info 0
		.amdhsa_system_vgpr_workitem_id 0
		.amdhsa_next_free_vgpr 9
		.amdhsa_next_free_sgpr 20
		.amdhsa_reserve_vcc 1
		.amdhsa_float_round_mode_32 0
		.amdhsa_float_round_mode_16_64 0
		.amdhsa_float_denorm_mode_32 3
		.amdhsa_float_denorm_mode_16_64 3
		.amdhsa_dx10_clamp 1
		.amdhsa_ieee_mode 1
		.amdhsa_fp16_overflow 0
		.amdhsa_workgroup_processor_mode 1
		.amdhsa_memory_ordered 1
		.amdhsa_forward_progress 0
		.amdhsa_shared_vgpr_count 0
		.amdhsa_exception_fp_ieee_invalid_op 0
		.amdhsa_exception_fp_denorm_src 0
		.amdhsa_exception_fp_ieee_div_zero 0
		.amdhsa_exception_fp_ieee_overflow 0
		.amdhsa_exception_fp_ieee_underflow 0
		.amdhsa_exception_fp_ieee_inexact 0
		.amdhsa_exception_int_div_zero 0
	.end_amdhsa_kernel
	.section	.text._ZL24rocblas_dot_kernel_magsqIiLb0ELi512ELi8ELb1EDF16_PKPKDF16_fEviT5_lT_liPT6_PT4_,"axG",@progbits,_ZL24rocblas_dot_kernel_magsqIiLb0ELi512ELi8ELb1EDF16_PKPKDF16_fEviT5_lT_liPT6_PT4_,comdat
.Lfunc_end483:
	.size	_ZL24rocblas_dot_kernel_magsqIiLb0ELi512ELi8ELb1EDF16_PKPKDF16_fEviT5_lT_liPT6_PT4_, .Lfunc_end483-_ZL24rocblas_dot_kernel_magsqIiLb0ELi512ELi8ELb1EDF16_PKPKDF16_fEviT5_lT_liPT6_PT4_
                                        ; -- End function
	.section	.AMDGPU.csdata,"",@progbits
; Kernel info:
; codeLenInByte = 876
; NumSgprs: 22
; NumVgprs: 9
; ScratchSize: 0
; MemoryBound: 0
; FloatMode: 240
; IeeeMode: 1
; LDSByteSize: 128 bytes/workgroup (compile time only)
; SGPRBlocks: 2
; VGPRBlocks: 1
; NumSGPRsForWavesPerEU: 22
; NumVGPRsForWavesPerEU: 9
; Occupancy: 16
; WaveLimiterHint : 0
; COMPUTE_PGM_RSRC2:SCRATCH_EN: 0
; COMPUTE_PGM_RSRC2:USER_SGPR: 14
; COMPUTE_PGM_RSRC2:TRAP_HANDLER: 0
; COMPUTE_PGM_RSRC2:TGID_X_EN: 1
; COMPUTE_PGM_RSRC2:TGID_Y_EN: 0
; COMPUTE_PGM_RSRC2:TGID_Z_EN: 1
; COMPUTE_PGM_RSRC2:TIDIG_COMP_CNT: 0
	.section	.text._ZL28rocblas_dot_batched_4_kernelIiLi32ELi4ELb1EffPKPKDF16_EviT5_lT_lS4_lS5_liPT4_,"axG",@progbits,_ZL28rocblas_dot_batched_4_kernelIiLi32ELi4ELb1EffPKPKDF16_EviT5_lT_lS4_lS5_liPT4_,comdat
	.globl	_ZL28rocblas_dot_batched_4_kernelIiLi32ELi4ELb1EffPKPKDF16_EviT5_lT_lS4_lS5_liPT4_ ; -- Begin function _ZL28rocblas_dot_batched_4_kernelIiLi32ELi4ELb1EffPKPKDF16_EviT5_lT_lS4_lS5_liPT4_
	.p2align	8
	.type	_ZL28rocblas_dot_batched_4_kernelIiLi32ELi4ELb1EffPKPKDF16_EviT5_lT_lS4_lS5_liPT4_,@function
_ZL28rocblas_dot_batched_4_kernelIiLi32ELi4ELb1EffPKPKDF16_EviT5_lT_lS4_lS5_liPT4_: ; @_ZL28rocblas_dot_batched_4_kernelIiLi32ELi4ELb1EffPKPKDF16_EviT5_lT_lS4_lS5_liPT4_
; %bb.0:
	s_load_b32 s2, s[0:1], 0x48
	v_bfe_u32 v1, v0, 10, 10
	s_delay_alu instid0(VALU_DEP_1) | instskip(SKIP_1) | instid1(VALU_DEP_1)
	v_lshl_add_u32 v1, s15, 2, v1
	s_waitcnt lgkmcnt(0)
	v_cmp_gt_u32_e32 vcc_lo, s2, v1
	s_and_saveexec_b32 s2, vcc_lo
	s_cbranch_execz .LBB484_7
; %bb.1:
	s_clause 0x1
	s_load_b32 s12, s[0:1], 0x0
	s_load_b64 s[2:3], s[0:1], 0x50
	v_mov_b32_e32 v2, 0
	v_and_b32_e32 v0, 0x3ff, v0
	s_mov_b32 s13, exec_lo
	s_delay_alu instid0(VALU_DEP_2) | instskip(SKIP_1) | instid1(VALU_DEP_2)
	v_mov_b32_e32 v7, v2
	s_waitcnt lgkmcnt(0)
	v_cmpx_gt_i32_e64 s12, v0
	s_cbranch_execz .LBB484_5
; %bb.2:
	s_clause 0x1
	s_load_b128 s[4:7], s[0:1], 0x8
	s_load_b128 s[8:11], s[0:1], 0x28
	v_lshlrev_b64 v[3:4], 3, v[1:2]
	s_clause 0x1
	s_load_b32 s14, s[0:1], 0x18
	s_load_b32 s0, s[0:1], 0x38
	v_mov_b32_e32 v7, 0
	s_waitcnt lgkmcnt(0)
	v_add_co_u32 v5, vcc_lo, s4, v3
	v_add_co_ci_u32_e32 v6, vcc_lo, s5, v4, vcc_lo
	v_add_co_u32 v3, vcc_lo, s8, v3
	v_add_co_ci_u32_e32 v4, vcc_lo, s9, v4, vcc_lo
	v_mad_i64_i32 v[10:11], null, s0, v0, 0
	global_load_b64 v[5:6], v[5:6], off
	global_load_b64 v[8:9], v[3:4], off
	v_mad_i64_i32 v[3:4], null, s14, v0, 0
	s_lshl_b64 s[4:5], s[6:7], 1
	s_lshl_b64 s[6:7], s[10:11], 1
	s_ashr_i32 s15, s14, 31
	v_lshlrev_b64 v[10:11], 1, v[10:11]
	s_ashr_i32 s1, s0, 31
	s_delay_alu instid0(VALU_DEP_2) | instskip(NEXT) | instid1(VALU_DEP_1)
	v_lshlrev_b64 v[3:4], 1, v[3:4]
	v_add_co_u32 v3, vcc_lo, v3, s4
	s_delay_alu instid0(VALU_DEP_2) | instskip(NEXT) | instid1(VALU_DEP_4)
	v_add_co_ci_u32_e32 v4, vcc_lo, s5, v4, vcc_lo
	v_add_co_u32 v10, vcc_lo, v10, s6
	v_add_co_ci_u32_e32 v11, vcc_lo, s7, v11, vcc_lo
	s_lshl_b64 s[4:5], s[14:15], 6
	s_lshl_b64 s[6:7], s[0:1], 6
	s_mov_b32 s1, 0
	s_waitcnt vmcnt(1)
	v_add_co_u32 v3, vcc_lo, v5, v3
	v_add_co_ci_u32_e32 v4, vcc_lo, v6, v4, vcc_lo
	s_waitcnt vmcnt(0)
	v_add_co_u32 v5, vcc_lo, v8, v10
	v_mov_b32_e32 v8, v0
	v_add_co_ci_u32_e32 v6, vcc_lo, v9, v11, vcc_lo
	.p2align	6
.LBB484_3:                              ; =>This Inner Loop Header: Depth=1
	global_load_u16 v9, v[3:4], off
	global_load_u16 v10, v[5:6], off
	v_add_nc_u32_e32 v8, 32, v8
	v_add_co_u32 v3, vcc_lo, v3, s4
	v_add_co_ci_u32_e32 v4, vcc_lo, s5, v4, vcc_lo
	v_add_co_u32 v5, vcc_lo, v5, s6
	s_delay_alu instid0(VALU_DEP_4) | instskip(SKIP_1) | instid1(VALU_DEP_2)
	v_cmp_le_i32_e64 s0, s12, v8
	v_add_co_ci_u32_e32 v6, vcc_lo, s7, v6, vcc_lo
	s_or_b32 s1, s0, s1
	s_waitcnt vmcnt(0)
	v_fma_mix_f32 v7, v9, v10, v7 op_sel_hi:[1,1,0]
	s_and_not1_b32 exec_lo, exec_lo, s1
	s_cbranch_execnz .LBB484_3
; %bb.4:
	s_or_b32 exec_lo, exec_lo, s1
.LBB484_5:
	s_delay_alu instid0(SALU_CYCLE_1)
	s_or_b32 exec_lo, exec_lo, s13
	v_mbcnt_lo_u32_b32 v3, -1, 0
	s_barrier
	buffer_gl0_inv
	v_cmp_gt_u32_e32 vcc_lo, 16, v3
	v_cndmask_b32_e64 v4, 0, 1, vcc_lo
	v_cmp_gt_u32_e32 vcc_lo, 24, v3
	s_delay_alu instid0(VALU_DEP_2) | instskip(SKIP_2) | instid1(VALU_DEP_3)
	v_lshlrev_b32_e32 v4, 4, v4
	v_cndmask_b32_e64 v5, 0, 1, vcc_lo
	v_cmp_gt_u32_e32 vcc_lo, 28, v3
	v_add_lshl_u32 v4, v4, v3, 2
	v_cndmask_b32_e64 v6, 0, 1, vcc_lo
	v_cmp_gt_u32_e32 vcc_lo, 30, v3
	ds_bpermute_b32 v4, v4, v7
	v_lshlrev_b32_e32 v5, 3, v5
	v_lshlrev_b32_e32 v6, 2, v6
	s_delay_alu instid0(VALU_DEP_1)
	v_add_lshl_u32 v6, v6, v3, 2
	s_waitcnt lgkmcnt(0)
	v_add_f32_e32 v4, v7, v4
	v_add_lshl_u32 v5, v5, v3, 2
	ds_bpermute_b32 v5, v5, v4
	s_waitcnt lgkmcnt(0)
	v_add_f32_e32 v4, v4, v5
	ds_bpermute_b32 v5, v6, v4
	v_cndmask_b32_e64 v6, 0, 1, vcc_lo
	v_cmp_ne_u32_e32 vcc_lo, 31, v3
	s_delay_alu instid0(VALU_DEP_2) | instskip(NEXT) | instid1(VALU_DEP_1)
	v_lshlrev_b32_e32 v6, 1, v6
	v_add_lshl_u32 v6, v6, v3, 2
	s_waitcnt lgkmcnt(0)
	v_add_f32_e32 v4, v4, v5
	ds_bpermute_b32 v5, v6, v4
	v_add_co_ci_u32_e32 v6, vcc_lo, 0, v3, vcc_lo
	v_cmp_eq_u32_e32 vcc_lo, 0, v0
	s_waitcnt lgkmcnt(0)
	s_delay_alu instid0(VALU_DEP_2)
	v_dual_add_f32 v3, v4, v5 :: v_dual_lshlrev_b32 v4, 2, v6
	ds_bpermute_b32 v4, v4, v3
	s_and_b32 exec_lo, exec_lo, vcc_lo
	s_cbranch_execz .LBB484_7
; %bb.6:
	v_lshlrev_b64 v[0:1], 2, v[1:2]
	s_waitcnt lgkmcnt(0)
	v_add_f32_e32 v2, v3, v4
	s_delay_alu instid0(VALU_DEP_2) | instskip(NEXT) | instid1(VALU_DEP_3)
	v_add_co_u32 v0, vcc_lo, s2, v0
	v_add_co_ci_u32_e32 v1, vcc_lo, s3, v1, vcc_lo
	global_store_b32 v[0:1], v2, off
.LBB484_7:
	s_nop 0
	s_sendmsg sendmsg(MSG_DEALLOC_VGPRS)
	s_endpgm
	.section	.rodata,"a",@progbits
	.p2align	6, 0x0
	.amdhsa_kernel _ZL28rocblas_dot_batched_4_kernelIiLi32ELi4ELb1EffPKPKDF16_EviT5_lT_lS4_lS5_liPT4_
		.amdhsa_group_segment_fixed_size 0
		.amdhsa_private_segment_fixed_size 0
		.amdhsa_kernarg_size 88
		.amdhsa_user_sgpr_count 15
		.amdhsa_user_sgpr_dispatch_ptr 0
		.amdhsa_user_sgpr_queue_ptr 0
		.amdhsa_user_sgpr_kernarg_segment_ptr 1
		.amdhsa_user_sgpr_dispatch_id 0
		.amdhsa_user_sgpr_private_segment_size 0
		.amdhsa_wavefront_size32 1
		.amdhsa_uses_dynamic_stack 0
		.amdhsa_enable_private_segment 0
		.amdhsa_system_sgpr_workgroup_id_x 1
		.amdhsa_system_sgpr_workgroup_id_y 0
		.amdhsa_system_sgpr_workgroup_id_z 0
		.amdhsa_system_sgpr_workgroup_info 0
		.amdhsa_system_vgpr_workitem_id 1
		.amdhsa_next_free_vgpr 12
		.amdhsa_next_free_sgpr 16
		.amdhsa_reserve_vcc 1
		.amdhsa_float_round_mode_32 0
		.amdhsa_float_round_mode_16_64 0
		.amdhsa_float_denorm_mode_32 3
		.amdhsa_float_denorm_mode_16_64 3
		.amdhsa_dx10_clamp 1
		.amdhsa_ieee_mode 1
		.amdhsa_fp16_overflow 0
		.amdhsa_workgroup_processor_mode 1
		.amdhsa_memory_ordered 1
		.amdhsa_forward_progress 0
		.amdhsa_shared_vgpr_count 0
		.amdhsa_exception_fp_ieee_invalid_op 0
		.amdhsa_exception_fp_denorm_src 0
		.amdhsa_exception_fp_ieee_div_zero 0
		.amdhsa_exception_fp_ieee_overflow 0
		.amdhsa_exception_fp_ieee_underflow 0
		.amdhsa_exception_fp_ieee_inexact 0
		.amdhsa_exception_int_div_zero 0
	.end_amdhsa_kernel
	.section	.text._ZL28rocblas_dot_batched_4_kernelIiLi32ELi4ELb1EffPKPKDF16_EviT5_lT_lS4_lS5_liPT4_,"axG",@progbits,_ZL28rocblas_dot_batched_4_kernelIiLi32ELi4ELb1EffPKPKDF16_EviT5_lT_lS4_lS5_liPT4_,comdat
.Lfunc_end484:
	.size	_ZL28rocblas_dot_batched_4_kernelIiLi32ELi4ELb1EffPKPKDF16_EviT5_lT_lS4_lS5_liPT4_, .Lfunc_end484-_ZL28rocblas_dot_batched_4_kernelIiLi32ELi4ELb1EffPKPKDF16_EviT5_lT_lS4_lS5_liPT4_
                                        ; -- End function
	.section	.AMDGPU.csdata,"",@progbits
; Kernel info:
; codeLenInByte = 700
; NumSgprs: 18
; NumVgprs: 12
; ScratchSize: 0
; MemoryBound: 0
; FloatMode: 240
; IeeeMode: 1
; LDSByteSize: 0 bytes/workgroup (compile time only)
; SGPRBlocks: 2
; VGPRBlocks: 1
; NumSGPRsForWavesPerEU: 18
; NumVGPRsForWavesPerEU: 12
; Occupancy: 16
; WaveLimiterHint : 0
; COMPUTE_PGM_RSRC2:SCRATCH_EN: 0
; COMPUTE_PGM_RSRC2:USER_SGPR: 15
; COMPUTE_PGM_RSRC2:TRAP_HANDLER: 0
; COMPUTE_PGM_RSRC2:TGID_X_EN: 1
; COMPUTE_PGM_RSRC2:TGID_Y_EN: 0
; COMPUTE_PGM_RSRC2:TGID_Z_EN: 0
; COMPUTE_PGM_RSRC2:TIDIG_COMP_CNT: 1
	.section	.text._ZL28rocblas_dot_batched_4_kernelIiLi64ELi4ELb1EffPKPKDF16_EviT5_lT_lS4_lS5_liPT4_,"axG",@progbits,_ZL28rocblas_dot_batched_4_kernelIiLi64ELi4ELb1EffPKPKDF16_EviT5_lT_lS4_lS5_liPT4_,comdat
	.globl	_ZL28rocblas_dot_batched_4_kernelIiLi64ELi4ELb1EffPKPKDF16_EviT5_lT_lS4_lS5_liPT4_ ; -- Begin function _ZL28rocblas_dot_batched_4_kernelIiLi64ELi4ELb1EffPKPKDF16_EviT5_lT_lS4_lS5_liPT4_
	.p2align	8
	.type	_ZL28rocblas_dot_batched_4_kernelIiLi64ELi4ELb1EffPKPKDF16_EviT5_lT_lS4_lS5_liPT4_,@function
_ZL28rocblas_dot_batched_4_kernelIiLi64ELi4ELb1EffPKPKDF16_EviT5_lT_lS4_lS5_liPT4_: ; @_ZL28rocblas_dot_batched_4_kernelIiLi64ELi4ELb1EffPKPKDF16_EviT5_lT_lS4_lS5_liPT4_
; %bb.0:
	s_load_b32 s2, s[0:1], 0x48
	v_bfe_u32 v1, v0, 10, 10
	s_delay_alu instid0(VALU_DEP_1) | instskip(SKIP_1) | instid1(VALU_DEP_1)
	v_lshl_add_u32 v1, s15, 2, v1
	s_waitcnt lgkmcnt(0)
	v_cmp_gt_u32_e32 vcc_lo, s2, v1
	s_and_saveexec_b32 s2, vcc_lo
	s_cbranch_execz .LBB485_7
; %bb.1:
	s_clause 0x1
	s_load_b32 s12, s[0:1], 0x0
	s_load_b64 s[2:3], s[0:1], 0x50
	v_mov_b32_e32 v2, 0
	v_and_b32_e32 v0, 0x3ff, v0
	s_mov_b32 s13, exec_lo
	s_delay_alu instid0(VALU_DEP_2) | instskip(SKIP_1) | instid1(VALU_DEP_2)
	v_mov_b32_e32 v7, v2
	s_waitcnt lgkmcnt(0)
	v_cmpx_gt_i32_e64 s12, v0
	s_cbranch_execz .LBB485_5
; %bb.2:
	s_clause 0x1
	s_load_b128 s[4:7], s[0:1], 0x8
	s_load_b128 s[8:11], s[0:1], 0x28
	v_lshlrev_b64 v[3:4], 3, v[1:2]
	s_clause 0x1
	s_load_b32 s14, s[0:1], 0x18
	s_load_b32 s0, s[0:1], 0x38
	v_mov_b32_e32 v7, 0
	s_waitcnt lgkmcnt(0)
	v_add_co_u32 v5, vcc_lo, s4, v3
	v_add_co_ci_u32_e32 v6, vcc_lo, s5, v4, vcc_lo
	v_add_co_u32 v3, vcc_lo, s8, v3
	v_add_co_ci_u32_e32 v4, vcc_lo, s9, v4, vcc_lo
	v_mad_i64_i32 v[10:11], null, s0, v0, 0
	global_load_b64 v[5:6], v[5:6], off
	global_load_b64 v[8:9], v[3:4], off
	v_mad_i64_i32 v[3:4], null, s14, v0, 0
	s_lshl_b64 s[4:5], s[6:7], 1
	s_lshl_b64 s[6:7], s[10:11], 1
	s_ashr_i32 s15, s14, 31
	v_lshlrev_b64 v[10:11], 1, v[10:11]
	s_ashr_i32 s1, s0, 31
	s_delay_alu instid0(VALU_DEP_2) | instskip(NEXT) | instid1(VALU_DEP_1)
	v_lshlrev_b64 v[3:4], 1, v[3:4]
	v_add_co_u32 v3, vcc_lo, v3, s4
	s_delay_alu instid0(VALU_DEP_2) | instskip(NEXT) | instid1(VALU_DEP_4)
	v_add_co_ci_u32_e32 v4, vcc_lo, s5, v4, vcc_lo
	v_add_co_u32 v10, vcc_lo, v10, s6
	v_add_co_ci_u32_e32 v11, vcc_lo, s7, v11, vcc_lo
	s_lshl_b64 s[4:5], s[14:15], 7
	s_lshl_b64 s[6:7], s[0:1], 7
	s_mov_b32 s1, 0
	s_waitcnt vmcnt(1)
	v_add_co_u32 v3, vcc_lo, v5, v3
	v_add_co_ci_u32_e32 v4, vcc_lo, v6, v4, vcc_lo
	s_waitcnt vmcnt(0)
	v_add_co_u32 v5, vcc_lo, v8, v10
	v_mov_b32_e32 v8, v0
	v_add_co_ci_u32_e32 v6, vcc_lo, v9, v11, vcc_lo
	.p2align	6
.LBB485_3:                              ; =>This Inner Loop Header: Depth=1
	global_load_u16 v9, v[3:4], off
	global_load_u16 v10, v[5:6], off
	v_add_nc_u32_e32 v8, 64, v8
	v_add_co_u32 v3, vcc_lo, v3, s4
	v_add_co_ci_u32_e32 v4, vcc_lo, s5, v4, vcc_lo
	v_add_co_u32 v5, vcc_lo, v5, s6
	s_delay_alu instid0(VALU_DEP_4) | instskip(SKIP_1) | instid1(VALU_DEP_2)
	v_cmp_le_i32_e64 s0, s12, v8
	v_add_co_ci_u32_e32 v6, vcc_lo, s7, v6, vcc_lo
	s_or_b32 s1, s0, s1
	s_waitcnt vmcnt(0)
	v_fma_mix_f32 v7, v9, v10, v7 op_sel_hi:[1,1,0]
	s_and_not1_b32 exec_lo, exec_lo, s1
	s_cbranch_execnz .LBB485_3
; %bb.4:
	s_or_b32 exec_lo, exec_lo, s1
.LBB485_5:
	s_delay_alu instid0(SALU_CYCLE_1)
	s_or_b32 exec_lo, exec_lo, s13
	v_mbcnt_lo_u32_b32 v3, -1, 0
	s_barrier
	buffer_gl0_inv
	v_lshlrev_b32_e32 v4, 2, v3
	v_cmp_gt_u32_e32 vcc_lo, 16, v3
	ds_bpermute_b32 v4, v4, v7
	v_cndmask_b32_e64 v5, 0, 1, vcc_lo
	v_cmp_gt_u32_e32 vcc_lo, 24, v3
	s_delay_alu instid0(VALU_DEP_2) | instskip(SKIP_2) | instid1(VALU_DEP_2)
	v_lshlrev_b32_e32 v5, 4, v5
	v_cndmask_b32_e64 v6, 0, 1, vcc_lo
	v_cmp_gt_u32_e32 vcc_lo, 28, v3
	v_lshlrev_b32_e32 v6, 3, v6
	s_delay_alu instid0(VALU_DEP_1)
	v_add_lshl_u32 v6, v6, v3, 2
	s_waitcnt lgkmcnt(0)
	v_add_f32_e32 v4, v7, v4
	v_add_lshl_u32 v5, v5, v3, 2
	ds_bpermute_b32 v5, v5, v4
	s_waitcnt lgkmcnt(0)
	v_add_f32_e32 v4, v4, v5
	ds_bpermute_b32 v5, v6, v4
	v_cndmask_b32_e64 v6, 0, 1, vcc_lo
	v_cmp_gt_u32_e32 vcc_lo, 30, v3
	s_delay_alu instid0(VALU_DEP_2) | instskip(NEXT) | instid1(VALU_DEP_1)
	v_lshlrev_b32_e32 v6, 2, v6
	v_add_lshl_u32 v6, v6, v3, 2
	s_waitcnt lgkmcnt(0)
	v_add_f32_e32 v4, v4, v5
	ds_bpermute_b32 v5, v6, v4
	v_cndmask_b32_e64 v6, 0, 1, vcc_lo
	v_cmp_ne_u32_e32 vcc_lo, 31, v3
	s_delay_alu instid0(VALU_DEP_2) | instskip(NEXT) | instid1(VALU_DEP_1)
	v_lshlrev_b32_e32 v6, 1, v6
	v_add_lshl_u32 v6, v6, v3, 2
	s_waitcnt lgkmcnt(0)
	v_add_f32_e32 v4, v4, v5
	ds_bpermute_b32 v5, v6, v4
	v_add_co_ci_u32_e32 v6, vcc_lo, 0, v3, vcc_lo
	v_cmp_eq_u32_e32 vcc_lo, 0, v0
	s_waitcnt lgkmcnt(0)
	s_delay_alu instid0(VALU_DEP_2)
	v_dual_add_f32 v3, v4, v5 :: v_dual_lshlrev_b32 v4, 2, v6
	ds_bpermute_b32 v4, v4, v3
	s_and_b32 exec_lo, exec_lo, vcc_lo
	s_cbranch_execz .LBB485_7
; %bb.6:
	v_lshlrev_b64 v[0:1], 2, v[1:2]
	s_waitcnt lgkmcnt(0)
	v_add_f32_e32 v2, v3, v4
	s_delay_alu instid0(VALU_DEP_2) | instskip(NEXT) | instid1(VALU_DEP_3)
	v_add_co_u32 v0, vcc_lo, s2, v0
	v_add_co_ci_u32_e32 v1, vcc_lo, s3, v1, vcc_lo
	global_store_b32 v[0:1], v2, off
.LBB485_7:
	s_nop 0
	s_sendmsg sendmsg(MSG_DEALLOC_VGPRS)
	s_endpgm
	.section	.rodata,"a",@progbits
	.p2align	6, 0x0
	.amdhsa_kernel _ZL28rocblas_dot_batched_4_kernelIiLi64ELi4ELb1EffPKPKDF16_EviT5_lT_lS4_lS5_liPT4_
		.amdhsa_group_segment_fixed_size 0
		.amdhsa_private_segment_fixed_size 0
		.amdhsa_kernarg_size 88
		.amdhsa_user_sgpr_count 15
		.amdhsa_user_sgpr_dispatch_ptr 0
		.amdhsa_user_sgpr_queue_ptr 0
		.amdhsa_user_sgpr_kernarg_segment_ptr 1
		.amdhsa_user_sgpr_dispatch_id 0
		.amdhsa_user_sgpr_private_segment_size 0
		.amdhsa_wavefront_size32 1
		.amdhsa_uses_dynamic_stack 0
		.amdhsa_enable_private_segment 0
		.amdhsa_system_sgpr_workgroup_id_x 1
		.amdhsa_system_sgpr_workgroup_id_y 0
		.amdhsa_system_sgpr_workgroup_id_z 0
		.amdhsa_system_sgpr_workgroup_info 0
		.amdhsa_system_vgpr_workitem_id 1
		.amdhsa_next_free_vgpr 12
		.amdhsa_next_free_sgpr 16
		.amdhsa_reserve_vcc 1
		.amdhsa_float_round_mode_32 0
		.amdhsa_float_round_mode_16_64 0
		.amdhsa_float_denorm_mode_32 3
		.amdhsa_float_denorm_mode_16_64 3
		.amdhsa_dx10_clamp 1
		.amdhsa_ieee_mode 1
		.amdhsa_fp16_overflow 0
		.amdhsa_workgroup_processor_mode 1
		.amdhsa_memory_ordered 1
		.amdhsa_forward_progress 0
		.amdhsa_shared_vgpr_count 0
		.amdhsa_exception_fp_ieee_invalid_op 0
		.amdhsa_exception_fp_denorm_src 0
		.amdhsa_exception_fp_ieee_div_zero 0
		.amdhsa_exception_fp_ieee_overflow 0
		.amdhsa_exception_fp_ieee_underflow 0
		.amdhsa_exception_fp_ieee_inexact 0
		.amdhsa_exception_int_div_zero 0
	.end_amdhsa_kernel
	.section	.text._ZL28rocblas_dot_batched_4_kernelIiLi64ELi4ELb1EffPKPKDF16_EviT5_lT_lS4_lS5_liPT4_,"axG",@progbits,_ZL28rocblas_dot_batched_4_kernelIiLi64ELi4ELb1EffPKPKDF16_EviT5_lT_lS4_lS5_liPT4_,comdat
.Lfunc_end485:
	.size	_ZL28rocblas_dot_batched_4_kernelIiLi64ELi4ELb1EffPKPKDF16_EviT5_lT_lS4_lS5_liPT4_, .Lfunc_end485-_ZL28rocblas_dot_batched_4_kernelIiLi64ELi4ELb1EffPKPKDF16_EviT5_lT_lS4_lS5_liPT4_
                                        ; -- End function
	.section	.AMDGPU.csdata,"",@progbits
; Kernel info:
; codeLenInByte = 724
; NumSgprs: 18
; NumVgprs: 12
; ScratchSize: 0
; MemoryBound: 0
; FloatMode: 240
; IeeeMode: 1
; LDSByteSize: 0 bytes/workgroup (compile time only)
; SGPRBlocks: 2
; VGPRBlocks: 1
; NumSGPRsForWavesPerEU: 18
; NumVGPRsForWavesPerEU: 12
; Occupancy: 16
; WaveLimiterHint : 0
; COMPUTE_PGM_RSRC2:SCRATCH_EN: 0
; COMPUTE_PGM_RSRC2:USER_SGPR: 15
; COMPUTE_PGM_RSRC2:TRAP_HANDLER: 0
; COMPUTE_PGM_RSRC2:TGID_X_EN: 1
; COMPUTE_PGM_RSRC2:TGID_Y_EN: 0
; COMPUTE_PGM_RSRC2:TGID_Z_EN: 0
; COMPUTE_PGM_RSRC2:TIDIG_COMP_CNT: 1
	.section	.text._ZL18rocblas_dot_kernelIiLb1ELi1024ELi32ELb1EfPKPKDF16_fEviT5_lT_lS4_lS5_liPT6_PT4_,"axG",@progbits,_ZL18rocblas_dot_kernelIiLb1ELi1024ELi32ELb1EfPKPKDF16_fEviT5_lT_lS4_lS5_liPT6_PT4_,comdat
	.globl	_ZL18rocblas_dot_kernelIiLb1ELi1024ELi32ELb1EfPKPKDF16_fEviT5_lT_lS4_lS5_liPT6_PT4_ ; -- Begin function _ZL18rocblas_dot_kernelIiLb1ELi1024ELi32ELb1EfPKPKDF16_fEviT5_lT_lS4_lS5_liPT6_PT4_
	.p2align	8
	.type	_ZL18rocblas_dot_kernelIiLb1ELi1024ELi32ELb1EfPKPKDF16_fEviT5_lT_lS4_lS5_liPT6_PT4_,@function
_ZL18rocblas_dot_kernelIiLb1ELi1024ELi32ELb1EfPKPKDF16_fEviT5_lT_lS4_lS5_liPT6_PT4_: ; @_ZL18rocblas_dot_kernelIiLb1ELi1024ELi32ELb1EfPKPKDF16_fEviT5_lT_lS4_lS5_liPT6_PT4_
; %bb.0:
	s_clause 0x1
	s_load_b32 s10, s[0:1], 0x0
	s_load_b64 s[2:3], s[0:1], 0x58
	v_mov_b32_e32 v5, 0
	s_mov_b32 s8, s15
	s_mov_b32 s9, 0
	s_mov_b32 s11, exec_lo
	s_waitcnt lgkmcnt(0)
	v_cmpx_gt_i32_e64 s10, v0
	s_cbranch_execz .LBB486_4
; %bb.1:
	s_clause 0x4
	s_load_b128 s[12:15], s[0:1], 0x8
	s_load_b128 s[4:7], s[0:1], 0x28
	s_load_b32 s18, s[0:1], 0x18
	s_load_b32 s20, s[0:1], 0x38
	s_load_b32 s19, s[0:1], 0x60
	s_lshl_b64 s[0:1], s[8:9], 3
	v_mov_b32_e32 v5, 0
	s_waitcnt lgkmcnt(0)
	s_add_u32 s12, s12, s0
	s_addc_u32 s13, s13, s1
	s_add_u32 s0, s4, s0
	s_load_b64 s[12:13], s[12:13], 0x0
	s_addc_u32 s1, s5, s1
	v_mad_i64_i32 v[1:2], null, s18, v0, 0
	s_load_b64 s[16:17], s[0:1], 0x0
	v_mad_i64_i32 v[3:4], null, s20, v0, 0
	s_lshl_b32 s1, s19, 10
	s_lshl_b64 s[4:5], s[14:15], 1
	s_mul_hi_i32 s15, s18, s1
	s_delay_alu instid0(VALU_DEP_2) | instskip(SKIP_2) | instid1(VALU_DEP_3)
	v_lshlrev_b64 v[1:2], 1, v[1:2]
	s_mul_i32 s14, s18, s1
	v_or_b32_e32 v6, s1, v0
	v_lshlrev_b64 v[3:4], 1, v[3:4]
	s_mul_hi_i32 s19, s20, s1
	s_mul_i32 s18, s20, s1
	s_waitcnt lgkmcnt(0)
	s_add_u32 s0, s12, s4
	s_addc_u32 s12, s13, s5
	s_lshl_b64 s[6:7], s[6:7], 1
	s_lshl_b64 s[4:5], s[14:15], 1
	v_add_co_u32 v1, vcc_lo, s0, v1
	s_add_u32 s0, s16, s6
	v_add_co_ci_u32_e32 v2, vcc_lo, s12, v2, vcc_lo
	s_addc_u32 s6, s17, s7
	v_add_co_u32 v3, vcc_lo, s0, v3
	v_add_co_ci_u32_e32 v4, vcc_lo, s6, v4, vcc_lo
	s_lshl_b64 s[6:7], s[18:19], 1
	s_mov_b32 s12, s9
	s_mov_b32 s13, s9
	.p2align	6
.LBB486_2:                              ; =>This Inner Loop Header: Depth=1
	global_load_u16 v7, v[3:4], off
	global_load_u16 v8, v[1:2], off
	v_add_co_u32 v1, s0, v1, s4
	s_delay_alu instid0(VALU_DEP_1)
	v_add_co_ci_u32_e64 v2, s0, s5, v2, s0
	s_add_i32 s14, s13, 1
	v_cmp_le_i32_e32 vcc_lo, s10, v6
	v_add_co_u32 v3, s0, v3, s6
	s_cmp_gt_u32 s13, 30
	v_add_co_ci_u32_e64 v4, s0, s7, v4, s0
	s_cselect_b32 s0, -1, 0
	v_add_nc_u32_e32 v6, s1, v6
	s_or_b32 s0, s0, vcc_lo
	s_mov_b32 s13, s14
	s_and_b32 s0, exec_lo, s0
	s_delay_alu instid0(SALU_CYCLE_1)
	s_or_b32 s12, s0, s12
	s_waitcnt vmcnt(0)
	v_fma_mix_f32 v5, v7, v8, v5 op_sel_hi:[1,1,0]
	s_and_not1_b32 exec_lo, exec_lo, s12
	s_cbranch_execnz .LBB486_2
; %bb.3:
	s_or_b32 exec_lo, exec_lo, s12
.LBB486_4:
	s_delay_alu instid0(SALU_CYCLE_1) | instskip(SKIP_2) | instid1(VALU_DEP_2)
	s_or_b32 exec_lo, exec_lo, s11
	v_and_b32_e32 v7, 31, v0
	v_cmp_gt_u32_e32 vcc_lo, 32, v0
	v_lshlrev_b32_e32 v1, 2, v7
	s_and_saveexec_b32 s0, vcc_lo
	s_cbranch_execz .LBB486_6
; %bb.5:
	v_mov_b32_e32 v2, 0
	ds_store_b32 v1, v2
.LBB486_6:
	s_or_b32 exec_lo, exec_lo, s0
	v_mbcnt_lo_u32_b32 v6, -1, 0
	s_mov_b32 s1, exec_lo
	s_waitcnt lgkmcnt(0)
	s_barrier
	buffer_gl0_inv
	v_cmp_gt_u32_e64 s0, 16, v6
	s_delay_alu instid0(VALU_DEP_1) | instskip(SKIP_1) | instid1(VALU_DEP_2)
	v_cndmask_b32_e64 v2, 0, 1, s0
	v_cmp_gt_u32_e64 s0, 24, v6
	v_lshlrev_b32_e32 v2, 4, v2
	s_delay_alu instid0(VALU_DEP_2) | instskip(SKIP_1) | instid1(VALU_DEP_3)
	v_cndmask_b32_e64 v3, 0, 1, s0
	v_cmp_gt_u32_e64 s0, 28, v6
	v_add_lshl_u32 v2, v2, v6, 2
	ds_bpermute_b32 v4, v2, v5
	s_waitcnt lgkmcnt(0)
	v_add_f32_e32 v5, v5, v4
	v_lshlrev_b32_e32 v3, 3, v3
	v_cndmask_b32_e64 v4, 0, 1, s0
	v_cmp_gt_u32_e64 s0, 30, v6
	s_delay_alu instid0(VALU_DEP_3) | instskip(NEXT) | instid1(VALU_DEP_3)
	v_add_lshl_u32 v3, v3, v6, 2
	v_lshlrev_b32_e32 v4, 2, v4
	ds_bpermute_b32 v8, v3, v5
	v_add_lshl_u32 v4, v4, v6, 2
	s_waitcnt lgkmcnt(0)
	v_add_f32_e32 v8, v5, v8
	v_cndmask_b32_e64 v5, 0, 1, s0
	v_cmp_ne_u32_e64 s0, 31, v6
	ds_bpermute_b32 v9, v4, v8
	v_lshlrev_b32_e32 v5, 1, v5
	s_delay_alu instid0(VALU_DEP_1) | instskip(SKIP_1) | instid1(VALU_DEP_1)
	v_add_lshl_u32 v5, v5, v6, 2
	v_add_co_ci_u32_e64 v6, s0, 0, v6, s0
	v_lshlrev_b32_e32 v6, 2, v6
	s_waitcnt lgkmcnt(0)
	v_add_f32_e32 v8, v8, v9
	ds_bpermute_b32 v9, v5, v8
	s_waitcnt lgkmcnt(0)
	v_add_f32_e32 v8, v8, v9
	ds_bpermute_b32 v9, v6, v8
	v_cmpx_eq_u32_e32 0, v7
	s_cbranch_execz .LBB486_8
; %bb.7:
	v_lshrrev_b32_e32 v7, 3, v0
	s_waitcnt lgkmcnt(0)
	s_delay_alu instid0(VALU_DEP_1)
	v_dual_add_f32 v8, v8, v9 :: v_dual_and_b32 v7, 0x7c, v7
	ds_store_b32 v7, v8
.LBB486_8:
	s_or_b32 exec_lo, exec_lo, s1
	v_mov_b32_e32 v7, 0
	s_waitcnt lgkmcnt(0)
	s_barrier
	buffer_gl0_inv
	s_and_saveexec_b32 s0, vcc_lo
	s_cbranch_execz .LBB486_10
; %bb.9:
	ds_load_b32 v7, v1
.LBB486_10:
	s_or_b32 exec_lo, exec_lo, s0
	s_and_saveexec_b32 s0, vcc_lo
	s_cbranch_execz .LBB486_12
; %bb.11:
	s_waitcnt lgkmcnt(0)
	ds_bpermute_b32 v1, v2, v7
	s_waitcnt lgkmcnt(0)
	v_add_f32_e32 v1, v7, v1
	ds_bpermute_b32 v2, v3, v1
	s_waitcnt lgkmcnt(0)
	v_add_f32_e32 v1, v1, v2
	;; [unrolled: 3-line block ×5, first 2 shown]
.LBB486_12:
	s_or_b32 exec_lo, exec_lo, s0
	s_delay_alu instid0(SALU_CYCLE_1)
	s_mov_b32 s0, exec_lo
	v_cmpx_eq_u32_e32 0, v0
	s_cbranch_execz .LBB486_14
; %bb.13:
	s_lshl_b64 s[0:1], s[8:9], 2
	v_mov_b32_e32 v0, 0
	s_add_u32 s0, s2, s0
	s_addc_u32 s1, s3, s1
	s_waitcnt lgkmcnt(0)
	global_store_b32 v0, v7, s[0:1]
.LBB486_14:
	s_nop 0
	s_sendmsg sendmsg(MSG_DEALLOC_VGPRS)
	s_endpgm
	.section	.rodata,"a",@progbits
	.p2align	6, 0x0
	.amdhsa_kernel _ZL18rocblas_dot_kernelIiLb1ELi1024ELi32ELb1EfPKPKDF16_fEviT5_lT_lS4_lS5_liPT6_PT4_
		.amdhsa_group_segment_fixed_size 128
		.amdhsa_private_segment_fixed_size 0
		.amdhsa_kernarg_size 352
		.amdhsa_user_sgpr_count 14
		.amdhsa_user_sgpr_dispatch_ptr 0
		.amdhsa_user_sgpr_queue_ptr 0
		.amdhsa_user_sgpr_kernarg_segment_ptr 1
		.amdhsa_user_sgpr_dispatch_id 0
		.amdhsa_user_sgpr_private_segment_size 0
		.amdhsa_wavefront_size32 1
		.amdhsa_uses_dynamic_stack 0
		.amdhsa_enable_private_segment 0
		.amdhsa_system_sgpr_workgroup_id_x 1
		.amdhsa_system_sgpr_workgroup_id_y 0
		.amdhsa_system_sgpr_workgroup_id_z 1
		.amdhsa_system_sgpr_workgroup_info 0
		.amdhsa_system_vgpr_workitem_id 0
		.amdhsa_next_free_vgpr 10
		.amdhsa_next_free_sgpr 21
		.amdhsa_reserve_vcc 1
		.amdhsa_float_round_mode_32 0
		.amdhsa_float_round_mode_16_64 0
		.amdhsa_float_denorm_mode_32 3
		.amdhsa_float_denorm_mode_16_64 3
		.amdhsa_dx10_clamp 1
		.amdhsa_ieee_mode 1
		.amdhsa_fp16_overflow 0
		.amdhsa_workgroup_processor_mode 1
		.amdhsa_memory_ordered 1
		.amdhsa_forward_progress 0
		.amdhsa_shared_vgpr_count 0
		.amdhsa_exception_fp_ieee_invalid_op 0
		.amdhsa_exception_fp_denorm_src 0
		.amdhsa_exception_fp_ieee_div_zero 0
		.amdhsa_exception_fp_ieee_overflow 0
		.amdhsa_exception_fp_ieee_underflow 0
		.amdhsa_exception_fp_ieee_inexact 0
		.amdhsa_exception_int_div_zero 0
	.end_amdhsa_kernel
	.section	.text._ZL18rocblas_dot_kernelIiLb1ELi1024ELi32ELb1EfPKPKDF16_fEviT5_lT_lS4_lS5_liPT6_PT4_,"axG",@progbits,_ZL18rocblas_dot_kernelIiLb1ELi1024ELi32ELb1EfPKPKDF16_fEviT5_lT_lS4_lS5_liPT6_PT4_,comdat
.Lfunc_end486:
	.size	_ZL18rocblas_dot_kernelIiLb1ELi1024ELi32ELb1EfPKPKDF16_fEviT5_lT_lS4_lS5_liPT6_PT4_, .Lfunc_end486-_ZL18rocblas_dot_kernelIiLb1ELi1024ELi32ELb1EfPKPKDF16_fEviT5_lT_lS4_lS5_liPT6_PT4_
                                        ; -- End function
	.section	.AMDGPU.csdata,"",@progbits
; Kernel info:
; codeLenInByte = 912
; NumSgprs: 23
; NumVgprs: 10
; ScratchSize: 0
; MemoryBound: 0
; FloatMode: 240
; IeeeMode: 1
; LDSByteSize: 128 bytes/workgroup (compile time only)
; SGPRBlocks: 2
; VGPRBlocks: 1
; NumSGPRsForWavesPerEU: 23
; NumVGPRsForWavesPerEU: 10
; Occupancy: 16
; WaveLimiterHint : 0
; COMPUTE_PGM_RSRC2:SCRATCH_EN: 0
; COMPUTE_PGM_RSRC2:USER_SGPR: 14
; COMPUTE_PGM_RSRC2:TRAP_HANDLER: 0
; COMPUTE_PGM_RSRC2:TGID_X_EN: 1
; COMPUTE_PGM_RSRC2:TGID_Y_EN: 0
; COMPUTE_PGM_RSRC2:TGID_Z_EN: 1
; COMPUTE_PGM_RSRC2:TIDIG_COMP_CNT: 0
	.section	.text._ZL24rocblas_dot_kernel_magsqIiLb1ELi1024ELi32ELb1EfPKPKDF16_fEviT5_lT_liPT6_PT4_,"axG",@progbits,_ZL24rocblas_dot_kernel_magsqIiLb1ELi1024ELi32ELb1EfPKPKDF16_fEviT5_lT_liPT6_PT4_,comdat
	.globl	_ZL24rocblas_dot_kernel_magsqIiLb1ELi1024ELi32ELb1EfPKPKDF16_fEviT5_lT_liPT6_PT4_ ; -- Begin function _ZL24rocblas_dot_kernel_magsqIiLb1ELi1024ELi32ELb1EfPKPKDF16_fEviT5_lT_liPT6_PT4_
	.p2align	8
	.type	_ZL24rocblas_dot_kernel_magsqIiLb1ELi1024ELi32ELb1EfPKPKDF16_fEviT5_lT_liPT6_PT4_,@function
_ZL24rocblas_dot_kernel_magsqIiLb1ELi1024ELi32ELb1EfPKPKDF16_fEviT5_lT_liPT6_PT4_: ; @_ZL24rocblas_dot_kernel_magsqIiLb1ELi1024ELi32ELb1EfPKPKDF16_fEviT5_lT_liPT6_PT4_
; %bb.0:
	s_clause 0x1
	s_load_b32 s8, s[0:1], 0x0
	s_load_b64 s[2:3], s[0:1], 0x38
	v_mov_b32_e32 v3, 0
	s_mov_b32 s4, s15
	s_mov_b32 s5, 0
	s_mov_b32 s9, exec_lo
	s_waitcnt lgkmcnt(0)
	v_cmpx_gt_i32_e64 s8, v0
	s_cbranch_execz .LBB487_4
; %bb.1:
	s_clause 0x2
	s_load_b128 s[12:15], s[0:1], 0x8
	s_load_b32 s16, s[0:1], 0x18
	s_load_b32 s10, s[0:1], 0x40
	s_lshl_b64 s[0:1], s[4:5], 3
	v_mov_b32_e32 v3, 0
	s_waitcnt lgkmcnt(0)
	s_add_u32 s0, s12, s0
	s_addc_u32 s1, s13, s1
	v_mad_i64_i32 v[1:2], null, s16, v0, 0
	s_load_b64 s[6:7], s[0:1], 0x0
	s_lshl_b32 s1, s10, 10
	s_lshl_b64 s[10:11], s[14:15], 1
	v_or_b32_e32 v4, s1, v0
	s_mul_hi_i32 s13, s16, s1
	s_mul_i32 s12, s16, s1
	s_delay_alu instid0(VALU_DEP_2) | instskip(SKIP_3) | instid1(VALU_DEP_1)
	v_lshlrev_b64 v[1:2], 1, v[1:2]
	s_waitcnt lgkmcnt(0)
	s_add_u32 s0, s6, s10
	s_addc_u32 s6, s7, s11
	v_add_co_u32 v1, vcc_lo, s0, v1
	s_delay_alu instid0(VALU_DEP_2)
	v_add_co_ci_u32_e32 v2, vcc_lo, s6, v2, vcc_lo
	s_lshl_b64 s[6:7], s[12:13], 1
	s_mov_b32 s10, s5
	s_mov_b32 s11, s5
	.p2align	6
.LBB487_2:                              ; =>This Inner Loop Header: Depth=1
	global_load_u16 v5, v[1:2], off
	s_add_i32 s12, s11, 1
	v_cmp_le_i32_e32 vcc_lo, s8, v4
	v_add_co_u32 v1, s0, v1, s6
	s_cmp_gt_u32 s11, 30
	v_add_co_ci_u32_e64 v2, s0, s7, v2, s0
	s_cselect_b32 s0, -1, 0
	v_add_nc_u32_e32 v4, s1, v4
	s_or_b32 s0, s0, vcc_lo
	s_mov_b32 s11, s12
	s_and_b32 s0, exec_lo, s0
	s_delay_alu instid0(SALU_CYCLE_1)
	s_or_b32 s10, s0, s10
	s_waitcnt vmcnt(0)
	v_fma_mix_f32 v3, v5, v5, v3 op_sel_hi:[1,1,0]
	s_and_not1_b32 exec_lo, exec_lo, s10
	s_cbranch_execnz .LBB487_2
; %bb.3:
	s_or_b32 exec_lo, exec_lo, s10
.LBB487_4:
	s_delay_alu instid0(SALU_CYCLE_1) | instskip(SKIP_2) | instid1(VALU_DEP_2)
	s_or_b32 exec_lo, exec_lo, s9
	v_and_b32_e32 v7, 31, v0
	v_cmp_gt_u32_e32 vcc_lo, 32, v0
	v_lshlrev_b32_e32 v1, 2, v7
	s_and_saveexec_b32 s0, vcc_lo
	s_cbranch_execz .LBB487_6
; %bb.5:
	v_mov_b32_e32 v2, 0
	ds_store_b32 v1, v2
.LBB487_6:
	s_or_b32 exec_lo, exec_lo, s0
	v_mbcnt_lo_u32_b32 v6, -1, 0
	s_mov_b32 s1, exec_lo
	s_waitcnt lgkmcnt(0)
	s_barrier
	buffer_gl0_inv
	v_cmp_gt_u32_e64 s0, 16, v6
	s_delay_alu instid0(VALU_DEP_1) | instskip(SKIP_1) | instid1(VALU_DEP_2)
	v_cndmask_b32_e64 v2, 0, 1, s0
	v_cmp_gt_u32_e64 s0, 24, v6
	v_lshlrev_b32_e32 v2, 4, v2
	s_delay_alu instid0(VALU_DEP_2) | instskip(SKIP_1) | instid1(VALU_DEP_3)
	v_cndmask_b32_e64 v4, 0, 1, s0
	v_cmp_gt_u32_e64 s0, 28, v6
	v_add_lshl_u32 v2, v2, v6, 2
	s_delay_alu instid0(VALU_DEP_3)
	v_lshlrev_b32_e32 v4, 3, v4
	ds_bpermute_b32 v5, v2, v3
	v_add_lshl_u32 v4, v4, v6, 2
	s_waitcnt lgkmcnt(0)
	v_add_f32_e32 v5, v3, v5
	v_cndmask_b32_e64 v3, 0, 1, s0
	v_cmp_gt_u32_e64 s0, 30, v6
	ds_bpermute_b32 v8, v4, v5
	s_waitcnt lgkmcnt(0)
	v_dual_add_f32 v8, v5, v8 :: v_dual_lshlrev_b32 v3, 2, v3
	s_delay_alu instid0(VALU_DEP_1) | instskip(SKIP_4) | instid1(VALU_DEP_1)
	v_add_lshl_u32 v3, v3, v6, 2
	v_cndmask_b32_e64 v5, 0, 1, s0
	v_cmp_ne_u32_e64 s0, 31, v6
	ds_bpermute_b32 v9, v3, v8
	v_lshlrev_b32_e32 v5, 1, v5
	v_add_lshl_u32 v5, v5, v6, 2
	v_add_co_ci_u32_e64 v6, s0, 0, v6, s0
	s_delay_alu instid0(VALU_DEP_1)
	v_lshlrev_b32_e32 v6, 2, v6
	s_waitcnt lgkmcnt(0)
	v_add_f32_e32 v8, v8, v9
	ds_bpermute_b32 v9, v5, v8
	s_waitcnt lgkmcnt(0)
	v_add_f32_e32 v8, v8, v9
	ds_bpermute_b32 v9, v6, v8
	v_cmpx_eq_u32_e32 0, v7
	s_cbranch_execz .LBB487_8
; %bb.7:
	v_lshrrev_b32_e32 v7, 3, v0
	s_waitcnt lgkmcnt(0)
	s_delay_alu instid0(VALU_DEP_1)
	v_dual_add_f32 v8, v8, v9 :: v_dual_and_b32 v7, 0x7c, v7
	ds_store_b32 v7, v8
.LBB487_8:
	s_or_b32 exec_lo, exec_lo, s1
	v_mov_b32_e32 v7, 0
	s_waitcnt lgkmcnt(0)
	s_barrier
	buffer_gl0_inv
	s_and_saveexec_b32 s0, vcc_lo
	s_cbranch_execz .LBB487_10
; %bb.9:
	ds_load_b32 v7, v1
.LBB487_10:
	s_or_b32 exec_lo, exec_lo, s0
	s_and_saveexec_b32 s0, vcc_lo
	s_cbranch_execz .LBB487_12
; %bb.11:
	s_waitcnt lgkmcnt(0)
	ds_bpermute_b32 v1, v2, v7
	s_waitcnt lgkmcnt(0)
	v_add_f32_e32 v1, v7, v1
	ds_bpermute_b32 v2, v4, v1
	s_waitcnt lgkmcnt(0)
	v_add_f32_e32 v1, v1, v2
	;; [unrolled: 3-line block ×5, first 2 shown]
.LBB487_12:
	s_or_b32 exec_lo, exec_lo, s0
	s_delay_alu instid0(SALU_CYCLE_1)
	s_mov_b32 s0, exec_lo
	v_cmpx_eq_u32_e32 0, v0
	s_cbranch_execz .LBB487_14
; %bb.13:
	s_lshl_b64 s[0:1], s[4:5], 2
	v_mov_b32_e32 v0, 0
	s_add_u32 s0, s2, s0
	s_addc_u32 s1, s3, s1
	s_waitcnt lgkmcnt(0)
	global_store_b32 v0, v7, s[0:1]
.LBB487_14:
	s_nop 0
	s_sendmsg sendmsg(MSG_DEALLOC_VGPRS)
	s_endpgm
	.section	.rodata,"a",@progbits
	.p2align	6, 0x0
	.amdhsa_kernel _ZL24rocblas_dot_kernel_magsqIiLb1ELi1024ELi32ELb1EfPKPKDF16_fEviT5_lT_liPT6_PT4_
		.amdhsa_group_segment_fixed_size 128
		.amdhsa_private_segment_fixed_size 0
		.amdhsa_kernarg_size 320
		.amdhsa_user_sgpr_count 14
		.amdhsa_user_sgpr_dispatch_ptr 0
		.amdhsa_user_sgpr_queue_ptr 0
		.amdhsa_user_sgpr_kernarg_segment_ptr 1
		.amdhsa_user_sgpr_dispatch_id 0
		.amdhsa_user_sgpr_private_segment_size 0
		.amdhsa_wavefront_size32 1
		.amdhsa_uses_dynamic_stack 0
		.amdhsa_enable_private_segment 0
		.amdhsa_system_sgpr_workgroup_id_x 1
		.amdhsa_system_sgpr_workgroup_id_y 0
		.amdhsa_system_sgpr_workgroup_id_z 1
		.amdhsa_system_sgpr_workgroup_info 0
		.amdhsa_system_vgpr_workitem_id 0
		.amdhsa_next_free_vgpr 10
		.amdhsa_next_free_sgpr 17
		.amdhsa_reserve_vcc 1
		.amdhsa_float_round_mode_32 0
		.amdhsa_float_round_mode_16_64 0
		.amdhsa_float_denorm_mode_32 3
		.amdhsa_float_denorm_mode_16_64 3
		.amdhsa_dx10_clamp 1
		.amdhsa_ieee_mode 1
		.amdhsa_fp16_overflow 0
		.amdhsa_workgroup_processor_mode 1
		.amdhsa_memory_ordered 1
		.amdhsa_forward_progress 0
		.amdhsa_shared_vgpr_count 0
		.amdhsa_exception_fp_ieee_invalid_op 0
		.amdhsa_exception_fp_denorm_src 0
		.amdhsa_exception_fp_ieee_div_zero 0
		.amdhsa_exception_fp_ieee_overflow 0
		.amdhsa_exception_fp_ieee_underflow 0
		.amdhsa_exception_fp_ieee_inexact 0
		.amdhsa_exception_int_div_zero 0
	.end_amdhsa_kernel
	.section	.text._ZL24rocblas_dot_kernel_magsqIiLb1ELi1024ELi32ELb1EfPKPKDF16_fEviT5_lT_liPT6_PT4_,"axG",@progbits,_ZL24rocblas_dot_kernel_magsqIiLb1ELi1024ELi32ELb1EfPKPKDF16_fEviT5_lT_liPT6_PT4_,comdat
.Lfunc_end487:
	.size	_ZL24rocblas_dot_kernel_magsqIiLb1ELi1024ELi32ELb1EfPKPKDF16_fEviT5_lT_liPT6_PT4_, .Lfunc_end487-_ZL24rocblas_dot_kernel_magsqIiLb1ELi1024ELi32ELb1EfPKPKDF16_fEviT5_lT_liPT6_PT4_
                                        ; -- End function
	.section	.AMDGPU.csdata,"",@progbits
; Kernel info:
; codeLenInByte = 808
; NumSgprs: 19
; NumVgprs: 10
; ScratchSize: 0
; MemoryBound: 0
; FloatMode: 240
; IeeeMode: 1
; LDSByteSize: 128 bytes/workgroup (compile time only)
; SGPRBlocks: 2
; VGPRBlocks: 1
; NumSGPRsForWavesPerEU: 19
; NumVGPRsForWavesPerEU: 10
; Occupancy: 16
; WaveLimiterHint : 0
; COMPUTE_PGM_RSRC2:SCRATCH_EN: 0
; COMPUTE_PGM_RSRC2:USER_SGPR: 14
; COMPUTE_PGM_RSRC2:TRAP_HANDLER: 0
; COMPUTE_PGM_RSRC2:TGID_X_EN: 1
; COMPUTE_PGM_RSRC2:TGID_Y_EN: 0
; COMPUTE_PGM_RSRC2:TGID_Z_EN: 1
; COMPUTE_PGM_RSRC2:TIDIG_COMP_CNT: 0
	.section	.text._ZL18rocblas_dot_kernelIiLb0ELi512ELi4ELb1EfPKPKDF16_fEviT5_lT_lS4_lS5_liPT6_PT4_,"axG",@progbits,_ZL18rocblas_dot_kernelIiLb0ELi512ELi4ELb1EfPKPKDF16_fEviT5_lT_lS4_lS5_liPT6_PT4_,comdat
	.globl	_ZL18rocblas_dot_kernelIiLb0ELi512ELi4ELb1EfPKPKDF16_fEviT5_lT_lS4_lS5_liPT6_PT4_ ; -- Begin function _ZL18rocblas_dot_kernelIiLb0ELi512ELi4ELb1EfPKPKDF16_fEviT5_lT_lS4_lS5_liPT6_PT4_
	.p2align	8
	.type	_ZL18rocblas_dot_kernelIiLb0ELi512ELi4ELb1EfPKPKDF16_fEviT5_lT_lS4_lS5_liPT6_PT4_,@function
_ZL18rocblas_dot_kernelIiLb0ELi512ELi4ELb1EfPKPKDF16_fEviT5_lT_lS4_lS5_liPT6_PT4_: ; @_ZL18rocblas_dot_kernelIiLb0ELi512ELi4ELb1EfPKPKDF16_fEviT5_lT_lS4_lS5_liPT6_PT4_
; %bb.0:
	s_clause 0x2
	s_load_b32 s12, s[0:1], 0x60
	s_load_b32 s13, s[0:1], 0x0
	s_load_b128 s[4:7], s[0:1], 0x50
	v_lshl_or_b32 v1, s14, 9, v0
	v_mov_b32_e32 v5, 0
	s_mov_b32 s2, s15
	s_mov_b32 s3, 0
	s_mov_b32 s15, exec_lo
	s_waitcnt lgkmcnt(0)
	v_cmpx_gt_i32_e64 s13, v1
	s_cbranch_execz .LBB488_4
; %bb.1:
	s_clause 0x3
	s_load_b128 s[16:19], s[0:1], 0x8
	s_load_b128 s[8:11], s[0:1], 0x28
	s_load_b32 s22, s[0:1], 0x18
	s_load_b32 s24, s[0:1], 0x38
	s_lshl_b64 s[0:1], s[2:3], 3
	s_waitcnt lgkmcnt(0)
	s_add_u32 s16, s16, s0
	s_addc_u32 s17, s17, s1
	s_add_u32 s0, s8, s0
	s_load_b64 s[16:17], s[16:17], 0x0
	s_addc_u32 s1, s9, s1
	v_mad_i64_i32 v[2:3], null, s22, v1, 0
	s_load_b64 s[20:21], s[0:1], 0x0
	v_mad_i64_i32 v[4:5], null, s24, v1, 0
	s_lshl_b32 s1, s12, 9
	s_lshl_b64 s[8:9], s[18:19], 1
	v_add_nc_u32_e32 v6, s1, v1
	s_delay_alu instid0(VALU_DEP_3) | instskip(SKIP_2) | instid1(VALU_DEP_3)
	v_lshlrev_b64 v[1:2], 1, v[2:3]
	s_mul_hi_i32 s19, s22, s1
	s_mul_i32 s18, s22, s1
	v_lshlrev_b64 v[3:4], 1, v[4:5]
	v_mov_b32_e32 v5, 0
	s_mul_hi_i32 s23, s24, s1
	s_mul_i32 s22, s24, s1
	s_waitcnt lgkmcnt(0)
	s_add_u32 s0, s16, s8
	s_addc_u32 s16, s17, s9
	s_lshl_b64 s[10:11], s[10:11], 1
	s_lshl_b64 s[8:9], s[18:19], 1
	v_add_co_u32 v1, vcc_lo, s0, v1
	s_add_u32 s0, s20, s10
	v_add_co_ci_u32_e32 v2, vcc_lo, s16, v2, vcc_lo
	s_addc_u32 s10, s21, s11
	v_add_co_u32 v3, vcc_lo, s0, v3
	v_add_co_ci_u32_e32 v4, vcc_lo, s10, v4, vcc_lo
	s_lshl_b64 s[10:11], s[22:23], 1
	s_mov_b32 s16, s3
	s_mov_b32 s17, s3
	.p2align	6
.LBB488_2:                              ; =>This Inner Loop Header: Depth=1
	global_load_u16 v7, v[3:4], off
	global_load_u16 v8, v[1:2], off
	v_add_co_u32 v1, s0, v1, s8
	s_delay_alu instid0(VALU_DEP_1)
	v_add_co_ci_u32_e64 v2, s0, s9, v2, s0
	s_add_i32 s18, s17, 1
	v_cmp_le_i32_e32 vcc_lo, s13, v6
	v_add_co_u32 v3, s0, v3, s10
	s_cmp_gt_u32 s17, 2
	v_add_co_ci_u32_e64 v4, s0, s11, v4, s0
	s_cselect_b32 s0, -1, 0
	v_add_nc_u32_e32 v6, s1, v6
	s_or_b32 s0, s0, vcc_lo
	s_mov_b32 s17, s18
	s_and_b32 s0, exec_lo, s0
	s_delay_alu instid0(SALU_CYCLE_1)
	s_or_b32 s16, s0, s16
	s_waitcnt vmcnt(0)
	v_fma_mix_f32 v5, v7, v8, v5 op_sel_hi:[1,1,0]
	s_and_not1_b32 exec_lo, exec_lo, s16
	s_cbranch_execnz .LBB488_2
; %bb.3:
	s_or_b32 exec_lo, exec_lo, s16
.LBB488_4:
	s_delay_alu instid0(SALU_CYCLE_1) | instskip(SKIP_2) | instid1(VALU_DEP_2)
	s_or_b32 exec_lo, exec_lo, s15
	v_and_b32_e32 v2, 31, v0
	v_cmp_gt_u32_e32 vcc_lo, 32, v0
	v_lshlrev_b32_e32 v1, 2, v2
	s_and_saveexec_b32 s0, vcc_lo
	s_cbranch_execz .LBB488_6
; %bb.5:
	v_mov_b32_e32 v3, 0
	ds_store_b32 v1, v3
.LBB488_6:
	s_or_b32 exec_lo, exec_lo, s0
	v_mbcnt_lo_u32_b32 v6, -1, 0
	s_mov_b32 s1, exec_lo
	s_waitcnt lgkmcnt(0)
	s_barrier
	buffer_gl0_inv
	v_cmp_gt_u32_e64 s0, 16, v6
	s_delay_alu instid0(VALU_DEP_1) | instskip(SKIP_1) | instid1(VALU_DEP_2)
	v_cndmask_b32_e64 v3, 0, 1, s0
	v_cmp_gt_u32_e64 s0, 24, v6
	v_lshlrev_b32_e32 v3, 4, v3
	s_delay_alu instid0(VALU_DEP_1) | instskip(SKIP_3) | instid1(VALU_DEP_2)
	v_add_lshl_u32 v3, v3, v6, 2
	ds_bpermute_b32 v4, v3, v5
	v_cndmask_b32_e64 v3, 0, 1, s0
	v_cmp_gt_u32_e64 s0, 28, v6
	v_lshlrev_b32_e32 v3, 3, v3
	s_delay_alu instid0(VALU_DEP_1)
	v_add_lshl_u32 v3, v3, v6, 2
	s_waitcnt lgkmcnt(0)
	v_add_f32_e32 v5, v5, v4
	v_cndmask_b32_e64 v4, 0, 1, s0
	v_cmp_gt_u32_e64 s0, 30, v6
	ds_bpermute_b32 v7, v3, v5
	s_waitcnt lgkmcnt(0)
	v_dual_add_f32 v7, v5, v7 :: v_dual_lshlrev_b32 v4, 2, v4
	s_delay_alu instid0(VALU_DEP_1) | instskip(SKIP_4) | instid1(VALU_DEP_1)
	v_add_lshl_u32 v4, v4, v6, 2
	v_cndmask_b32_e64 v5, 0, 1, s0
	v_cmp_ne_u32_e64 s0, 31, v6
	ds_bpermute_b32 v8, v4, v7
	v_lshlrev_b32_e32 v5, 1, v5
	v_add_lshl_u32 v5, v5, v6, 2
	v_add_co_ci_u32_e64 v6, s0, 0, v6, s0
	s_waitcnt lgkmcnt(0)
	s_delay_alu instid0(VALU_DEP_1)
	v_dual_add_f32 v7, v7, v8 :: v_dual_lshlrev_b32 v6, 2, v6
	ds_bpermute_b32 v8, v5, v7
	s_waitcnt lgkmcnt(0)
	v_add_f32_e32 v7, v7, v8
	ds_bpermute_b32 v8, v6, v7
	v_cmpx_eq_u32_e32 0, v2
	s_cbranch_execz .LBB488_8
; %bb.7:
	v_lshrrev_b32_e32 v2, 3, v0
	s_waitcnt lgkmcnt(0)
	s_delay_alu instid0(VALU_DEP_1)
	v_dual_add_f32 v7, v7, v8 :: v_dual_and_b32 v2, 60, v2
	ds_store_b32 v2, v7
.LBB488_8:
	s_or_b32 exec_lo, exec_lo, s1
	v_mov_b32_e32 v2, 0
	s_mov_b32 s1, exec_lo
	s_waitcnt lgkmcnt(0)
	s_barrier
	buffer_gl0_inv
	v_cmpx_gt_u32_e32 16, v0
	s_cbranch_execz .LBB488_10
; %bb.9:
	ds_load_b32 v2, v1
.LBB488_10:
	s_or_b32 exec_lo, exec_lo, s1
	s_and_saveexec_b32 s0, vcc_lo
	s_cbranch_execz .LBB488_12
; %bb.11:
	s_waitcnt lgkmcnt(0)
	ds_bpermute_b32 v1, v3, v2
	s_waitcnt lgkmcnt(0)
	v_add_f32_e32 v1, v2, v1
	ds_bpermute_b32 v2, v4, v1
	s_waitcnt lgkmcnt(0)
	v_add_f32_e32 v1, v1, v2
	;; [unrolled: 3-line block ×4, first 2 shown]
.LBB488_12:
	s_or_b32 exec_lo, exec_lo, s0
	s_delay_alu instid0(SALU_CYCLE_1)
	s_mov_b32 s0, exec_lo
	v_cmpx_eq_u32_e32 0, v0
	s_cbranch_execz .LBB488_18
; %bb.13:
	s_cmp_lg_u32 s12, 1
	s_cbranch_scc0 .LBB488_15
; %bb.14:
	s_mul_hi_u32 s1, s12, s2
	s_mul_i32 s0, s12, s2
	s_mov_b32 s15, 0
	s_lshl_b64 s[0:1], s[0:1], 2
	s_delay_alu instid0(SALU_CYCLE_1) | instskip(SKIP_2) | instid1(SALU_CYCLE_1)
	s_add_u32 s4, s4, s0
	s_addc_u32 s5, s5, s1
	s_lshl_b64 s[0:1], s[14:15], 2
	s_add_u32 s0, s4, s0
	s_addc_u32 s1, s5, s1
	s_cbranch_execz .LBB488_16
	s_branch .LBB488_17
.LBB488_15:
                                        ; implicit-def: $sgpr0_sgpr1
.LBB488_16:
	s_lshl_b64 s[0:1], s[2:3], 2
	s_delay_alu instid0(SALU_CYCLE_1)
	s_add_u32 s0, s6, s0
	s_addc_u32 s1, s7, s1
.LBB488_17:
	v_mov_b32_e32 v0, 0
	s_waitcnt lgkmcnt(0)
	global_store_b32 v0, v2, s[0:1]
.LBB488_18:
	s_nop 0
	s_sendmsg sendmsg(MSG_DEALLOC_VGPRS)
	s_endpgm
	.section	.rodata,"a",@progbits
	.p2align	6, 0x0
	.amdhsa_kernel _ZL18rocblas_dot_kernelIiLb0ELi512ELi4ELb1EfPKPKDF16_fEviT5_lT_lS4_lS5_liPT6_PT4_
		.amdhsa_group_segment_fixed_size 128
		.amdhsa_private_segment_fixed_size 0
		.amdhsa_kernarg_size 352
		.amdhsa_user_sgpr_count 14
		.amdhsa_user_sgpr_dispatch_ptr 0
		.amdhsa_user_sgpr_queue_ptr 0
		.amdhsa_user_sgpr_kernarg_segment_ptr 1
		.amdhsa_user_sgpr_dispatch_id 0
		.amdhsa_user_sgpr_private_segment_size 0
		.amdhsa_wavefront_size32 1
		.amdhsa_uses_dynamic_stack 0
		.amdhsa_enable_private_segment 0
		.amdhsa_system_sgpr_workgroup_id_x 1
		.amdhsa_system_sgpr_workgroup_id_y 0
		.amdhsa_system_sgpr_workgroup_id_z 1
		.amdhsa_system_sgpr_workgroup_info 0
		.amdhsa_system_vgpr_workitem_id 0
		.amdhsa_next_free_vgpr 9
		.amdhsa_next_free_sgpr 25
		.amdhsa_reserve_vcc 1
		.amdhsa_float_round_mode_32 0
		.amdhsa_float_round_mode_16_64 0
		.amdhsa_float_denorm_mode_32 3
		.amdhsa_float_denorm_mode_16_64 3
		.amdhsa_dx10_clamp 1
		.amdhsa_ieee_mode 1
		.amdhsa_fp16_overflow 0
		.amdhsa_workgroup_processor_mode 1
		.amdhsa_memory_ordered 1
		.amdhsa_forward_progress 0
		.amdhsa_shared_vgpr_count 0
		.amdhsa_exception_fp_ieee_invalid_op 0
		.amdhsa_exception_fp_denorm_src 0
		.amdhsa_exception_fp_ieee_div_zero 0
		.amdhsa_exception_fp_ieee_overflow 0
		.amdhsa_exception_fp_ieee_underflow 0
		.amdhsa_exception_fp_ieee_inexact 0
		.amdhsa_exception_int_div_zero 0
	.end_amdhsa_kernel
	.section	.text._ZL18rocblas_dot_kernelIiLb0ELi512ELi4ELb1EfPKPKDF16_fEviT5_lT_lS4_lS5_liPT6_PT4_,"axG",@progbits,_ZL18rocblas_dot_kernelIiLb0ELi512ELi4ELb1EfPKPKDF16_fEviT5_lT_lS4_lS5_liPT6_PT4_,comdat
.Lfunc_end488:
	.size	_ZL18rocblas_dot_kernelIiLb0ELi512ELi4ELb1EfPKPKDF16_fEviT5_lT_lS4_lS5_liPT6_PT4_, .Lfunc_end488-_ZL18rocblas_dot_kernelIiLb0ELi512ELi4ELb1EfPKPKDF16_fEviT5_lT_lS4_lS5_liPT6_PT4_
                                        ; -- End function
	.section	.AMDGPU.csdata,"",@progbits
; Kernel info:
; codeLenInByte = 968
; NumSgprs: 27
; NumVgprs: 9
; ScratchSize: 0
; MemoryBound: 0
; FloatMode: 240
; IeeeMode: 1
; LDSByteSize: 128 bytes/workgroup (compile time only)
; SGPRBlocks: 3
; VGPRBlocks: 1
; NumSGPRsForWavesPerEU: 27
; NumVGPRsForWavesPerEU: 9
; Occupancy: 16
; WaveLimiterHint : 0
; COMPUTE_PGM_RSRC2:SCRATCH_EN: 0
; COMPUTE_PGM_RSRC2:USER_SGPR: 14
; COMPUTE_PGM_RSRC2:TRAP_HANDLER: 0
; COMPUTE_PGM_RSRC2:TGID_X_EN: 1
; COMPUTE_PGM_RSRC2:TGID_Y_EN: 0
; COMPUTE_PGM_RSRC2:TGID_Z_EN: 1
; COMPUTE_PGM_RSRC2:TIDIG_COMP_CNT: 0
	.section	.text._ZL24rocblas_dot_kernel_magsqIiLb0ELi512ELi4ELb1EfPKPKDF16_fEviT5_lT_liPT6_PT4_,"axG",@progbits,_ZL24rocblas_dot_kernel_magsqIiLb0ELi512ELi4ELb1EfPKPKDF16_fEviT5_lT_liPT6_PT4_,comdat
	.globl	_ZL24rocblas_dot_kernel_magsqIiLb0ELi512ELi4ELb1EfPKPKDF16_fEviT5_lT_liPT6_PT4_ ; -- Begin function _ZL24rocblas_dot_kernel_magsqIiLb0ELi512ELi4ELb1EfPKPKDF16_fEviT5_lT_liPT6_PT4_
	.p2align	8
	.type	_ZL24rocblas_dot_kernel_magsqIiLb0ELi512ELi4ELb1EfPKPKDF16_fEviT5_lT_liPT6_PT4_,@function
_ZL24rocblas_dot_kernel_magsqIiLb0ELi512ELi4ELb1EfPKPKDF16_fEviT5_lT_liPT6_PT4_: ; @_ZL24rocblas_dot_kernel_magsqIiLb0ELi512ELi4ELb1EfPKPKDF16_fEviT5_lT_liPT6_PT4_
; %bb.0:
	s_clause 0x2
	s_load_b32 s11, s[0:1], 0x0
	s_load_b128 s[4:7], s[0:1], 0x30
	s_load_b32 s10, s[0:1], 0x40
	v_lshl_or_b32 v1, s14, 9, v0
	v_mov_b32_e32 v3, 0
	s_mov_b32 s2, s15
	s_mov_b32 s3, 0
	s_mov_b32 s12, exec_lo
	s_waitcnt lgkmcnt(0)
	v_cmpx_gt_i32_e64 s11, v1
	s_cbranch_execz .LBB489_4
; %bb.1:
	s_clause 0x1
	s_load_b128 s[16:19], s[0:1], 0x8
	s_load_b32 s13, s[0:1], 0x18
	s_lshl_b64 s[0:1], s[2:3], 3
	s_mov_b32 s15, s3
	s_waitcnt lgkmcnt(0)
	s_add_u32 s0, s16, s0
	s_addc_u32 s1, s17, s1
	v_mad_i64_i32 v[2:3], null, s13, v1, 0
	s_load_b64 s[8:9], s[0:1], 0x0
	s_lshl_b32 s1, s10, 9
	s_lshl_b64 s[16:17], s[18:19], 1
	v_add_nc_u32_e32 v4, s1, v1
	s_mul_hi_i32 s19, s13, s1
	s_mul_i32 s18, s13, s1
	s_delay_alu instid0(VALU_DEP_2)
	v_lshlrev_b64 v[1:2], 1, v[2:3]
	v_mov_b32_e32 v3, 0
	s_mov_b32 s13, s3
	s_waitcnt lgkmcnt(0)
	s_add_u32 s0, s8, s16
	s_addc_u32 s8, s9, s17
	v_add_co_u32 v1, vcc_lo, s0, v1
	v_add_co_ci_u32_e32 v2, vcc_lo, s8, v2, vcc_lo
	s_lshl_b64 s[8:9], s[18:19], 1
	.p2align	6
.LBB489_2:                              ; =>This Inner Loop Header: Depth=1
	global_load_u16 v5, v[1:2], off
	s_add_i32 s16, s15, 1
	v_cmp_le_i32_e32 vcc_lo, s11, v4
	v_add_co_u32 v1, s0, v1, s8
	s_cmp_gt_u32 s15, 2
	v_add_co_ci_u32_e64 v2, s0, s9, v2, s0
	s_cselect_b32 s0, -1, 0
	v_add_nc_u32_e32 v4, s1, v4
	s_or_b32 s0, s0, vcc_lo
	s_mov_b32 s15, s16
	s_and_b32 s0, exec_lo, s0
	s_delay_alu instid0(SALU_CYCLE_1)
	s_or_b32 s13, s0, s13
	s_waitcnt vmcnt(0)
	v_fma_mix_f32 v3, v5, v5, v3 op_sel_hi:[1,1,0]
	s_and_not1_b32 exec_lo, exec_lo, s13
	s_cbranch_execnz .LBB489_2
; %bb.3:
	s_or_b32 exec_lo, exec_lo, s13
.LBB489_4:
	s_delay_alu instid0(SALU_CYCLE_1) | instskip(SKIP_2) | instid1(VALU_DEP_2)
	s_or_b32 exec_lo, exec_lo, s12
	v_and_b32_e32 v2, 31, v0
	v_cmp_gt_u32_e32 vcc_lo, 32, v0
	v_lshlrev_b32_e32 v1, 2, v2
	s_and_saveexec_b32 s0, vcc_lo
	s_cbranch_execz .LBB489_6
; %bb.5:
	v_mov_b32_e32 v4, 0
	ds_store_b32 v1, v4
.LBB489_6:
	s_or_b32 exec_lo, exec_lo, s0
	v_mbcnt_lo_u32_b32 v6, -1, 0
	s_mov_b32 s1, exec_lo
	s_waitcnt lgkmcnt(0)
	s_barrier
	buffer_gl0_inv
	v_cmp_gt_u32_e64 s0, 16, v6
	s_delay_alu instid0(VALU_DEP_1) | instskip(SKIP_1) | instid1(VALU_DEP_2)
	v_cndmask_b32_e64 v4, 0, 1, s0
	v_cmp_gt_u32_e64 s0, 24, v6
	v_lshlrev_b32_e32 v4, 4, v4
	s_delay_alu instid0(VALU_DEP_1) | instskip(SKIP_4) | instid1(VALU_DEP_2)
	v_add_lshl_u32 v4, v4, v6, 2
	ds_bpermute_b32 v5, v4, v3
	v_cndmask_b32_e64 v4, 0, 1, s0
	v_cmp_gt_u32_e64 s0, 28, v6
	s_waitcnt lgkmcnt(0)
	v_dual_add_f32 v5, v3, v5 :: v_dual_lshlrev_b32 v4, 3, v4
	s_delay_alu instid0(VALU_DEP_2) | instskip(SKIP_1) | instid1(VALU_DEP_3)
	v_cndmask_b32_e64 v3, 0, 1, s0
	v_cmp_gt_u32_e64 s0, 30, v6
	v_add_lshl_u32 v4, v4, v6, 2
	s_delay_alu instid0(VALU_DEP_3)
	v_lshlrev_b32_e32 v3, 2, v3
	ds_bpermute_b32 v7, v4, v5
	v_add_lshl_u32 v3, v3, v6, 2
	s_waitcnt lgkmcnt(0)
	v_add_f32_e32 v7, v5, v7
	v_cndmask_b32_e64 v5, 0, 1, s0
	v_cmp_ne_u32_e64 s0, 31, v6
	ds_bpermute_b32 v8, v3, v7
	v_lshlrev_b32_e32 v5, 1, v5
	s_delay_alu instid0(VALU_DEP_1) | instskip(SKIP_2) | instid1(VALU_DEP_1)
	v_add_lshl_u32 v5, v5, v6, 2
	v_add_co_ci_u32_e64 v6, s0, 0, v6, s0
	s_waitcnt lgkmcnt(0)
	v_dual_add_f32 v7, v7, v8 :: v_dual_lshlrev_b32 v6, 2, v6
	ds_bpermute_b32 v8, v5, v7
	s_waitcnt lgkmcnt(0)
	v_add_f32_e32 v7, v7, v8
	ds_bpermute_b32 v8, v6, v7
	v_cmpx_eq_u32_e32 0, v2
	s_cbranch_execz .LBB489_8
; %bb.7:
	v_lshrrev_b32_e32 v2, 3, v0
	s_waitcnt lgkmcnt(0)
	s_delay_alu instid0(VALU_DEP_1)
	v_dual_add_f32 v7, v7, v8 :: v_dual_and_b32 v2, 60, v2
	ds_store_b32 v2, v7
.LBB489_8:
	s_or_b32 exec_lo, exec_lo, s1
	v_mov_b32_e32 v2, 0
	s_mov_b32 s1, exec_lo
	s_waitcnt lgkmcnt(0)
	s_barrier
	buffer_gl0_inv
	v_cmpx_gt_u32_e32 16, v0
	s_cbranch_execz .LBB489_10
; %bb.9:
	ds_load_b32 v2, v1
.LBB489_10:
	s_or_b32 exec_lo, exec_lo, s1
	s_and_saveexec_b32 s0, vcc_lo
	s_cbranch_execz .LBB489_12
; %bb.11:
	s_waitcnt lgkmcnt(0)
	ds_bpermute_b32 v1, v4, v2
	s_waitcnt lgkmcnt(0)
	v_add_f32_e32 v1, v2, v1
	ds_bpermute_b32 v2, v3, v1
	s_waitcnt lgkmcnt(0)
	v_add_f32_e32 v1, v1, v2
	;; [unrolled: 3-line block ×4, first 2 shown]
.LBB489_12:
	s_or_b32 exec_lo, exec_lo, s0
	s_delay_alu instid0(SALU_CYCLE_1)
	s_mov_b32 s0, exec_lo
	v_cmpx_eq_u32_e32 0, v0
	s_cbranch_execz .LBB489_18
; %bb.13:
	s_cmp_lg_u32 s10, 1
	s_cbranch_scc0 .LBB489_15
; %bb.14:
	s_mul_hi_u32 s1, s10, s2
	s_mul_i32 s0, s10, s2
	s_mov_b32 s15, 0
	s_lshl_b64 s[0:1], s[0:1], 2
	s_delay_alu instid0(SALU_CYCLE_1) | instskip(SKIP_2) | instid1(SALU_CYCLE_1)
	s_add_u32 s4, s4, s0
	s_addc_u32 s5, s5, s1
	s_lshl_b64 s[0:1], s[14:15], 2
	s_add_u32 s0, s4, s0
	s_addc_u32 s1, s5, s1
	s_cbranch_execz .LBB489_16
	s_branch .LBB489_17
.LBB489_15:
                                        ; implicit-def: $sgpr0_sgpr1
.LBB489_16:
	s_lshl_b64 s[0:1], s[2:3], 2
	s_delay_alu instid0(SALU_CYCLE_1)
	s_add_u32 s0, s6, s0
	s_addc_u32 s1, s7, s1
.LBB489_17:
	v_mov_b32_e32 v0, 0
	s_waitcnt lgkmcnt(0)
	global_store_b32 v0, v2, s[0:1]
.LBB489_18:
	s_nop 0
	s_sendmsg sendmsg(MSG_DEALLOC_VGPRS)
	s_endpgm
	.section	.rodata,"a",@progbits
	.p2align	6, 0x0
	.amdhsa_kernel _ZL24rocblas_dot_kernel_magsqIiLb0ELi512ELi4ELb1EfPKPKDF16_fEviT5_lT_liPT6_PT4_
		.amdhsa_group_segment_fixed_size 128
		.amdhsa_private_segment_fixed_size 0
		.amdhsa_kernarg_size 320
		.amdhsa_user_sgpr_count 14
		.amdhsa_user_sgpr_dispatch_ptr 0
		.amdhsa_user_sgpr_queue_ptr 0
		.amdhsa_user_sgpr_kernarg_segment_ptr 1
		.amdhsa_user_sgpr_dispatch_id 0
		.amdhsa_user_sgpr_private_segment_size 0
		.amdhsa_wavefront_size32 1
		.amdhsa_uses_dynamic_stack 0
		.amdhsa_enable_private_segment 0
		.amdhsa_system_sgpr_workgroup_id_x 1
		.amdhsa_system_sgpr_workgroup_id_y 0
		.amdhsa_system_sgpr_workgroup_id_z 1
		.amdhsa_system_sgpr_workgroup_info 0
		.amdhsa_system_vgpr_workitem_id 0
		.amdhsa_next_free_vgpr 9
		.amdhsa_next_free_sgpr 20
		.amdhsa_reserve_vcc 1
		.amdhsa_float_round_mode_32 0
		.amdhsa_float_round_mode_16_64 0
		.amdhsa_float_denorm_mode_32 3
		.amdhsa_float_denorm_mode_16_64 3
		.amdhsa_dx10_clamp 1
		.amdhsa_ieee_mode 1
		.amdhsa_fp16_overflow 0
		.amdhsa_workgroup_processor_mode 1
		.amdhsa_memory_ordered 1
		.amdhsa_forward_progress 0
		.amdhsa_shared_vgpr_count 0
		.amdhsa_exception_fp_ieee_invalid_op 0
		.amdhsa_exception_fp_denorm_src 0
		.amdhsa_exception_fp_ieee_div_zero 0
		.amdhsa_exception_fp_ieee_overflow 0
		.amdhsa_exception_fp_ieee_underflow 0
		.amdhsa_exception_fp_ieee_inexact 0
		.amdhsa_exception_int_div_zero 0
	.end_amdhsa_kernel
	.section	.text._ZL24rocblas_dot_kernel_magsqIiLb0ELi512ELi4ELb1EfPKPKDF16_fEviT5_lT_liPT6_PT4_,"axG",@progbits,_ZL24rocblas_dot_kernel_magsqIiLb0ELi512ELi4ELb1EfPKPKDF16_fEviT5_lT_liPT6_PT4_,comdat
.Lfunc_end489:
	.size	_ZL24rocblas_dot_kernel_magsqIiLb0ELi512ELi4ELb1EfPKPKDF16_fEviT5_lT_liPT6_PT4_, .Lfunc_end489-_ZL24rocblas_dot_kernel_magsqIiLb0ELi512ELi4ELb1EfPKPKDF16_fEviT5_lT_liPT6_PT4_
                                        ; -- End function
	.section	.AMDGPU.csdata,"",@progbits
; Kernel info:
; codeLenInByte = 856
; NumSgprs: 22
; NumVgprs: 9
; ScratchSize: 0
; MemoryBound: 0
; FloatMode: 240
; IeeeMode: 1
; LDSByteSize: 128 bytes/workgroup (compile time only)
; SGPRBlocks: 2
; VGPRBlocks: 1
; NumSGPRsForWavesPerEU: 22
; NumVGPRsForWavesPerEU: 9
; Occupancy: 16
; WaveLimiterHint : 0
; COMPUTE_PGM_RSRC2:SCRATCH_EN: 0
; COMPUTE_PGM_RSRC2:USER_SGPR: 14
; COMPUTE_PGM_RSRC2:TRAP_HANDLER: 0
; COMPUTE_PGM_RSRC2:TGID_X_EN: 1
; COMPUTE_PGM_RSRC2:TGID_Y_EN: 0
; COMPUTE_PGM_RSRC2:TGID_Z_EN: 1
; COMPUTE_PGM_RSRC2:TIDIG_COMP_CNT: 0
	.section	.text._ZL28rocblas_dot_batched_4_kernelIlLi32ELi4ELb1EfDF16_PKPKDF16_EviT5_lT_lS4_lS5_liPT4_,"axG",@progbits,_ZL28rocblas_dot_batched_4_kernelIlLi32ELi4ELb1EfDF16_PKPKDF16_EviT5_lT_lS4_lS5_liPT4_,comdat
	.globl	_ZL28rocblas_dot_batched_4_kernelIlLi32ELi4ELb1EfDF16_PKPKDF16_EviT5_lT_lS4_lS5_liPT4_ ; -- Begin function _ZL28rocblas_dot_batched_4_kernelIlLi32ELi4ELb1EfDF16_PKPKDF16_EviT5_lT_lS4_lS5_liPT4_
	.p2align	8
	.type	_ZL28rocblas_dot_batched_4_kernelIlLi32ELi4ELb1EfDF16_PKPKDF16_EviT5_lT_lS4_lS5_liPT4_,@function
_ZL28rocblas_dot_batched_4_kernelIlLi32ELi4ELb1EfDF16_PKPKDF16_EviT5_lT_lS4_lS5_liPT4_: ; @_ZL28rocblas_dot_batched_4_kernelIlLi32ELi4ELb1EfDF16_PKPKDF16_EviT5_lT_lS4_lS5_liPT4_
; %bb.0:
	s_load_b32 s2, s[0:1], 0x48
	v_bfe_u32 v1, v0, 10, 10
	s_delay_alu instid0(VALU_DEP_1) | instskip(SKIP_1) | instid1(VALU_DEP_1)
	v_lshl_add_u32 v1, s15, 2, v1
	s_waitcnt lgkmcnt(0)
	v_cmp_gt_u32_e32 vcc_lo, s2, v1
	s_and_saveexec_b32 s2, vcc_lo
	s_cbranch_execz .LBB490_7
; %bb.1:
	s_clause 0x1
	s_load_b32 s10, s[0:1], 0x0
	s_load_b64 s[8:9], s[0:1], 0x50
	v_mov_b32_e32 v2, 0
	v_and_b32_e32 v0, 0x3ff, v0
	s_mov_b32 s11, exec_lo
	s_delay_alu instid0(VALU_DEP_2) | instskip(SKIP_1) | instid1(VALU_DEP_2)
	v_mov_b32_e32 v7, v2
	s_waitcnt lgkmcnt(0)
	v_cmpx_gt_i32_e64 s10, v0
	s_cbranch_execz .LBB490_5
; %bb.2:
	s_clause 0x1
	s_load_b64 s[12:13], s[0:1], 0x8
	s_load_b64 s[14:15], s[0:1], 0x28
	v_lshlrev_b64 v[3:4], 3, v[1:2]
	s_clause 0x1
	s_load_b128 s[4:7], s[0:1], 0x10
	s_load_b128 s[0:3], s[0:1], 0x30
	s_waitcnt lgkmcnt(0)
	s_delay_alu instid0(VALU_DEP_1)
	v_add_co_u32 v5, vcc_lo, s12, v3
	v_add_co_ci_u32_e32 v6, vcc_lo, s13, v4, vcc_lo
	v_add_co_u32 v3, vcc_lo, s14, v3
	v_add_co_ci_u32_e32 v4, vcc_lo, s15, v4, vcc_lo
	v_mad_u64_u32 v[10:11], null, s2, v0, 0
	global_load_b64 v[5:6], v[5:6], off
	global_load_b64 v[8:9], v[3:4], off
	v_mad_u64_u32 v[3:4], null, s6, v0, 0
	s_lshl_b64 s[4:5], s[4:5], 1
	s_lshl_b64 s[0:1], s[0:1], 1
	v_mov_b32_e32 v7, v11
	s_waitcnt vmcnt(1)
	s_delay_alu instid0(VALU_DEP_2) | instskip(SKIP_1) | instid1(VALU_DEP_2)
	v_mad_u64_u32 v[11:12], null, s7, v0, v[4:5]
	s_waitcnt vmcnt(0)
	v_mad_u64_u32 v[12:13], null, s3, v0, v[7:8]
	v_mov_b32_e32 v7, 0
	s_lshl_b64 s[2:3], s[2:3], 6
	s_delay_alu instid0(VALU_DEP_2) | instskip(NEXT) | instid1(VALU_DEP_1)
	v_dual_mov_b32 v4, v11 :: v_dual_mov_b32 v11, v12
	v_lshlrev_b64 v[3:4], 1, v[3:4]
	s_delay_alu instid0(VALU_DEP_2) | instskip(NEXT) | instid1(VALU_DEP_2)
	v_lshlrev_b64 v[10:11], 1, v[10:11]
	v_add_co_u32 v3, vcc_lo, v3, s4
	s_delay_alu instid0(VALU_DEP_3) | instskip(NEXT) | instid1(VALU_DEP_3)
	v_add_co_ci_u32_e32 v4, vcc_lo, s5, v4, vcc_lo
	v_add_co_u32 v10, vcc_lo, v10, s0
	s_delay_alu instid0(VALU_DEP_4) | instskip(NEXT) | instid1(VALU_DEP_4)
	v_add_co_ci_u32_e32 v11, vcc_lo, s1, v11, vcc_lo
	v_add_co_u32 v3, vcc_lo, v5, v3
	s_delay_alu instid0(VALU_DEP_4) | instskip(NEXT) | instid1(VALU_DEP_4)
	v_add_co_ci_u32_e32 v4, vcc_lo, v6, v4, vcc_lo
	v_add_co_u32 v5, vcc_lo, v8, v10
	s_delay_alu instid0(VALU_DEP_4)
	v_add_co_ci_u32_e32 v6, vcc_lo, v9, v11, vcc_lo
	v_mov_b32_e32 v8, v0
	s_lshl_b64 s[4:5], s[6:7], 6
	s_mov_b32 s1, 0
	.p2align	6
.LBB490_3:                              ; =>This Inner Loop Header: Depth=1
	global_load_u16 v9, v[3:4], off
	global_load_u16 v10, v[5:6], off
	v_add_nc_u32_e32 v8, 32, v8
	v_add_co_u32 v3, vcc_lo, v3, s4
	v_add_co_ci_u32_e32 v4, vcc_lo, s5, v4, vcc_lo
	v_add_co_u32 v5, vcc_lo, v5, s2
	s_delay_alu instid0(VALU_DEP_4) | instskip(SKIP_1) | instid1(VALU_DEP_2)
	v_cmp_le_i32_e64 s0, s10, v8
	v_add_co_ci_u32_e32 v6, vcc_lo, s3, v6, vcc_lo
	s_or_b32 s1, s0, s1
	s_waitcnt vmcnt(0)
	v_fma_mix_f32 v7, v9, v10, v7 op_sel_hi:[1,1,0]
	s_and_not1_b32 exec_lo, exec_lo, s1
	s_cbranch_execnz .LBB490_3
; %bb.4:
	s_or_b32 exec_lo, exec_lo, s1
.LBB490_5:
	s_delay_alu instid0(SALU_CYCLE_1)
	s_or_b32 exec_lo, exec_lo, s11
	v_mbcnt_lo_u32_b32 v3, -1, 0
	s_barrier
	buffer_gl0_inv
	v_cmp_gt_u32_e32 vcc_lo, 16, v3
	v_cndmask_b32_e64 v4, 0, 1, vcc_lo
	v_cmp_gt_u32_e32 vcc_lo, 24, v3
	s_delay_alu instid0(VALU_DEP_2) | instskip(SKIP_2) | instid1(VALU_DEP_3)
	v_lshlrev_b32_e32 v4, 4, v4
	v_cndmask_b32_e64 v5, 0, 1, vcc_lo
	v_cmp_gt_u32_e32 vcc_lo, 28, v3
	v_add_lshl_u32 v4, v4, v3, 2
	v_cndmask_b32_e64 v6, 0, 1, vcc_lo
	v_cmp_gt_u32_e32 vcc_lo, 30, v3
	ds_bpermute_b32 v4, v4, v7
	v_lshlrev_b32_e32 v5, 3, v5
	v_lshlrev_b32_e32 v6, 2, v6
	s_delay_alu instid0(VALU_DEP_1)
	v_add_lshl_u32 v6, v6, v3, 2
	s_waitcnt lgkmcnt(0)
	v_add_f32_e32 v4, v7, v4
	v_add_lshl_u32 v5, v5, v3, 2
	ds_bpermute_b32 v5, v5, v4
	s_waitcnt lgkmcnt(0)
	v_add_f32_e32 v4, v4, v5
	ds_bpermute_b32 v5, v6, v4
	v_cndmask_b32_e64 v6, 0, 1, vcc_lo
	v_cmp_ne_u32_e32 vcc_lo, 31, v3
	s_delay_alu instid0(VALU_DEP_2) | instskip(NEXT) | instid1(VALU_DEP_1)
	v_lshlrev_b32_e32 v6, 1, v6
	v_add_lshl_u32 v6, v6, v3, 2
	s_waitcnt lgkmcnt(0)
	v_add_f32_e32 v4, v4, v5
	ds_bpermute_b32 v5, v6, v4
	v_add_co_ci_u32_e32 v6, vcc_lo, 0, v3, vcc_lo
	v_cmp_eq_u32_e32 vcc_lo, 0, v0
	s_waitcnt lgkmcnt(0)
	s_delay_alu instid0(VALU_DEP_2)
	v_dual_add_f32 v3, v4, v5 :: v_dual_lshlrev_b32 v4, 2, v6
	ds_bpermute_b32 v4, v4, v3
	s_and_b32 exec_lo, exec_lo, vcc_lo
	s_cbranch_execz .LBB490_7
; %bb.6:
	v_lshlrev_b64 v[0:1], 1, v[1:2]
	s_waitcnt lgkmcnt(0)
	v_add_f32_e32 v2, v3, v4
	s_delay_alu instid0(VALU_DEP_1) | instskip(NEXT) | instid1(VALU_DEP_3)
	v_cvt_f16_f32_e32 v2, v2
	v_add_co_u32 v0, vcc_lo, s8, v0
	s_delay_alu instid0(VALU_DEP_4)
	v_add_co_ci_u32_e32 v1, vcc_lo, s9, v1, vcc_lo
	global_store_b16 v[0:1], v2, off
.LBB490_7:
	s_nop 0
	s_sendmsg sendmsg(MSG_DEALLOC_VGPRS)
	s_endpgm
	.section	.rodata,"a",@progbits
	.p2align	6, 0x0
	.amdhsa_kernel _ZL28rocblas_dot_batched_4_kernelIlLi32ELi4ELb1EfDF16_PKPKDF16_EviT5_lT_lS4_lS5_liPT4_
		.amdhsa_group_segment_fixed_size 0
		.amdhsa_private_segment_fixed_size 0
		.amdhsa_kernarg_size 88
		.amdhsa_user_sgpr_count 15
		.amdhsa_user_sgpr_dispatch_ptr 0
		.amdhsa_user_sgpr_queue_ptr 0
		.amdhsa_user_sgpr_kernarg_segment_ptr 1
		.amdhsa_user_sgpr_dispatch_id 0
		.amdhsa_user_sgpr_private_segment_size 0
		.amdhsa_wavefront_size32 1
		.amdhsa_uses_dynamic_stack 0
		.amdhsa_enable_private_segment 0
		.amdhsa_system_sgpr_workgroup_id_x 1
		.amdhsa_system_sgpr_workgroup_id_y 0
		.amdhsa_system_sgpr_workgroup_id_z 0
		.amdhsa_system_sgpr_workgroup_info 0
		.amdhsa_system_vgpr_workitem_id 1
		.amdhsa_next_free_vgpr 14
		.amdhsa_next_free_sgpr 16
		.amdhsa_reserve_vcc 1
		.amdhsa_float_round_mode_32 0
		.amdhsa_float_round_mode_16_64 0
		.amdhsa_float_denorm_mode_32 3
		.amdhsa_float_denorm_mode_16_64 3
		.amdhsa_dx10_clamp 1
		.amdhsa_ieee_mode 1
		.amdhsa_fp16_overflow 0
		.amdhsa_workgroup_processor_mode 1
		.amdhsa_memory_ordered 1
		.amdhsa_forward_progress 0
		.amdhsa_shared_vgpr_count 0
		.amdhsa_exception_fp_ieee_invalid_op 0
		.amdhsa_exception_fp_denorm_src 0
		.amdhsa_exception_fp_ieee_div_zero 0
		.amdhsa_exception_fp_ieee_overflow 0
		.amdhsa_exception_fp_ieee_underflow 0
		.amdhsa_exception_fp_ieee_inexact 0
		.amdhsa_exception_int_div_zero 0
	.end_amdhsa_kernel
	.section	.text._ZL28rocblas_dot_batched_4_kernelIlLi32ELi4ELb1EfDF16_PKPKDF16_EviT5_lT_lS4_lS5_liPT4_,"axG",@progbits,_ZL28rocblas_dot_batched_4_kernelIlLi32ELi4ELb1EfDF16_PKPKDF16_EviT5_lT_lS4_lS5_liPT4_,comdat
.Lfunc_end490:
	.size	_ZL28rocblas_dot_batched_4_kernelIlLi32ELi4ELb1EfDF16_PKPKDF16_EviT5_lT_lS4_lS5_liPT4_, .Lfunc_end490-_ZL28rocblas_dot_batched_4_kernelIlLi32ELi4ELb1EfDF16_PKPKDF16_EviT5_lT_lS4_lS5_liPT4_
                                        ; -- End function
	.section	.AMDGPU.csdata,"",@progbits
; Kernel info:
; codeLenInByte = 752
; NumSgprs: 18
; NumVgprs: 14
; ScratchSize: 0
; MemoryBound: 0
; FloatMode: 240
; IeeeMode: 1
; LDSByteSize: 0 bytes/workgroup (compile time only)
; SGPRBlocks: 2
; VGPRBlocks: 1
; NumSGPRsForWavesPerEU: 18
; NumVGPRsForWavesPerEU: 14
; Occupancy: 16
; WaveLimiterHint : 0
; COMPUTE_PGM_RSRC2:SCRATCH_EN: 0
; COMPUTE_PGM_RSRC2:USER_SGPR: 15
; COMPUTE_PGM_RSRC2:TRAP_HANDLER: 0
; COMPUTE_PGM_RSRC2:TGID_X_EN: 1
; COMPUTE_PGM_RSRC2:TGID_Y_EN: 0
; COMPUTE_PGM_RSRC2:TGID_Z_EN: 0
; COMPUTE_PGM_RSRC2:TIDIG_COMP_CNT: 1
	.section	.text._ZL28rocblas_dot_batched_4_kernelIlLi64ELi4ELb1EfDF16_PKPKDF16_EviT5_lT_lS4_lS5_liPT4_,"axG",@progbits,_ZL28rocblas_dot_batched_4_kernelIlLi64ELi4ELb1EfDF16_PKPKDF16_EviT5_lT_lS4_lS5_liPT4_,comdat
	.globl	_ZL28rocblas_dot_batched_4_kernelIlLi64ELi4ELb1EfDF16_PKPKDF16_EviT5_lT_lS4_lS5_liPT4_ ; -- Begin function _ZL28rocblas_dot_batched_4_kernelIlLi64ELi4ELb1EfDF16_PKPKDF16_EviT5_lT_lS4_lS5_liPT4_
	.p2align	8
	.type	_ZL28rocblas_dot_batched_4_kernelIlLi64ELi4ELb1EfDF16_PKPKDF16_EviT5_lT_lS4_lS5_liPT4_,@function
_ZL28rocblas_dot_batched_4_kernelIlLi64ELi4ELb1EfDF16_PKPKDF16_EviT5_lT_lS4_lS5_liPT4_: ; @_ZL28rocblas_dot_batched_4_kernelIlLi64ELi4ELb1EfDF16_PKPKDF16_EviT5_lT_lS4_lS5_liPT4_
; %bb.0:
	s_load_b32 s2, s[0:1], 0x48
	v_bfe_u32 v1, v0, 10, 10
	s_delay_alu instid0(VALU_DEP_1) | instskip(SKIP_1) | instid1(VALU_DEP_1)
	v_lshl_add_u32 v1, s15, 2, v1
	s_waitcnt lgkmcnt(0)
	v_cmp_gt_u32_e32 vcc_lo, s2, v1
	s_and_saveexec_b32 s2, vcc_lo
	s_cbranch_execz .LBB491_7
; %bb.1:
	s_clause 0x1
	s_load_b32 s10, s[0:1], 0x0
	s_load_b64 s[8:9], s[0:1], 0x50
	v_mov_b32_e32 v2, 0
	v_and_b32_e32 v0, 0x3ff, v0
	s_mov_b32 s11, exec_lo
	s_delay_alu instid0(VALU_DEP_2) | instskip(SKIP_1) | instid1(VALU_DEP_2)
	v_mov_b32_e32 v7, v2
	s_waitcnt lgkmcnt(0)
	v_cmpx_gt_i32_e64 s10, v0
	s_cbranch_execz .LBB491_5
; %bb.2:
	s_clause 0x1
	s_load_b64 s[12:13], s[0:1], 0x8
	s_load_b64 s[14:15], s[0:1], 0x28
	v_lshlrev_b64 v[3:4], 3, v[1:2]
	s_clause 0x1
	s_load_b128 s[4:7], s[0:1], 0x10
	s_load_b128 s[0:3], s[0:1], 0x30
	s_waitcnt lgkmcnt(0)
	s_delay_alu instid0(VALU_DEP_1)
	v_add_co_u32 v5, vcc_lo, s12, v3
	v_add_co_ci_u32_e32 v6, vcc_lo, s13, v4, vcc_lo
	v_add_co_u32 v3, vcc_lo, s14, v3
	v_add_co_ci_u32_e32 v4, vcc_lo, s15, v4, vcc_lo
	v_mad_u64_u32 v[10:11], null, s2, v0, 0
	global_load_b64 v[5:6], v[5:6], off
	global_load_b64 v[8:9], v[3:4], off
	v_mad_u64_u32 v[3:4], null, s6, v0, 0
	s_lshl_b64 s[4:5], s[4:5], 1
	s_lshl_b64 s[0:1], s[0:1], 1
	v_mov_b32_e32 v7, v11
	s_waitcnt vmcnt(1)
	s_delay_alu instid0(VALU_DEP_2) | instskip(SKIP_1) | instid1(VALU_DEP_2)
	v_mad_u64_u32 v[11:12], null, s7, v0, v[4:5]
	s_waitcnt vmcnt(0)
	v_mad_u64_u32 v[12:13], null, s3, v0, v[7:8]
	v_mov_b32_e32 v7, 0
	s_lshl_b64 s[2:3], s[2:3], 7
	s_delay_alu instid0(VALU_DEP_2) | instskip(NEXT) | instid1(VALU_DEP_1)
	v_dual_mov_b32 v4, v11 :: v_dual_mov_b32 v11, v12
	v_lshlrev_b64 v[3:4], 1, v[3:4]
	s_delay_alu instid0(VALU_DEP_2) | instskip(NEXT) | instid1(VALU_DEP_2)
	v_lshlrev_b64 v[10:11], 1, v[10:11]
	v_add_co_u32 v3, vcc_lo, v3, s4
	s_delay_alu instid0(VALU_DEP_3) | instskip(NEXT) | instid1(VALU_DEP_3)
	v_add_co_ci_u32_e32 v4, vcc_lo, s5, v4, vcc_lo
	v_add_co_u32 v10, vcc_lo, v10, s0
	s_delay_alu instid0(VALU_DEP_4) | instskip(NEXT) | instid1(VALU_DEP_4)
	v_add_co_ci_u32_e32 v11, vcc_lo, s1, v11, vcc_lo
	v_add_co_u32 v3, vcc_lo, v5, v3
	s_delay_alu instid0(VALU_DEP_4) | instskip(NEXT) | instid1(VALU_DEP_4)
	v_add_co_ci_u32_e32 v4, vcc_lo, v6, v4, vcc_lo
	v_add_co_u32 v5, vcc_lo, v8, v10
	s_delay_alu instid0(VALU_DEP_4)
	v_add_co_ci_u32_e32 v6, vcc_lo, v9, v11, vcc_lo
	v_mov_b32_e32 v8, v0
	s_lshl_b64 s[4:5], s[6:7], 7
	s_mov_b32 s1, 0
	.p2align	6
.LBB491_3:                              ; =>This Inner Loop Header: Depth=1
	global_load_u16 v9, v[3:4], off
	global_load_u16 v10, v[5:6], off
	v_add_nc_u32_e32 v8, 64, v8
	v_add_co_u32 v3, vcc_lo, v3, s4
	v_add_co_ci_u32_e32 v4, vcc_lo, s5, v4, vcc_lo
	v_add_co_u32 v5, vcc_lo, v5, s2
	s_delay_alu instid0(VALU_DEP_4) | instskip(SKIP_1) | instid1(VALU_DEP_2)
	v_cmp_le_i32_e64 s0, s10, v8
	v_add_co_ci_u32_e32 v6, vcc_lo, s3, v6, vcc_lo
	s_or_b32 s1, s0, s1
	s_waitcnt vmcnt(0)
	v_fma_mix_f32 v7, v9, v10, v7 op_sel_hi:[1,1,0]
	s_and_not1_b32 exec_lo, exec_lo, s1
	s_cbranch_execnz .LBB491_3
; %bb.4:
	s_or_b32 exec_lo, exec_lo, s1
.LBB491_5:
	s_delay_alu instid0(SALU_CYCLE_1)
	s_or_b32 exec_lo, exec_lo, s11
	v_mbcnt_lo_u32_b32 v3, -1, 0
	s_barrier
	buffer_gl0_inv
	v_lshlrev_b32_e32 v4, 2, v3
	v_cmp_gt_u32_e32 vcc_lo, 16, v3
	ds_bpermute_b32 v4, v4, v7
	v_cndmask_b32_e64 v5, 0, 1, vcc_lo
	v_cmp_gt_u32_e32 vcc_lo, 24, v3
	s_delay_alu instid0(VALU_DEP_2) | instskip(SKIP_2) | instid1(VALU_DEP_2)
	v_lshlrev_b32_e32 v5, 4, v5
	v_cndmask_b32_e64 v6, 0, 1, vcc_lo
	v_cmp_gt_u32_e32 vcc_lo, 28, v3
	v_lshlrev_b32_e32 v6, 3, v6
	s_delay_alu instid0(VALU_DEP_1)
	v_add_lshl_u32 v6, v6, v3, 2
	s_waitcnt lgkmcnt(0)
	v_add_f32_e32 v4, v7, v4
	v_add_lshl_u32 v5, v5, v3, 2
	ds_bpermute_b32 v5, v5, v4
	s_waitcnt lgkmcnt(0)
	v_add_f32_e32 v4, v4, v5
	ds_bpermute_b32 v5, v6, v4
	v_cndmask_b32_e64 v6, 0, 1, vcc_lo
	v_cmp_gt_u32_e32 vcc_lo, 30, v3
	s_delay_alu instid0(VALU_DEP_2) | instskip(NEXT) | instid1(VALU_DEP_1)
	v_lshlrev_b32_e32 v6, 2, v6
	v_add_lshl_u32 v6, v6, v3, 2
	s_waitcnt lgkmcnt(0)
	v_add_f32_e32 v4, v4, v5
	ds_bpermute_b32 v5, v6, v4
	v_cndmask_b32_e64 v6, 0, 1, vcc_lo
	v_cmp_ne_u32_e32 vcc_lo, 31, v3
	s_delay_alu instid0(VALU_DEP_2) | instskip(NEXT) | instid1(VALU_DEP_1)
	v_lshlrev_b32_e32 v6, 1, v6
	v_add_lshl_u32 v6, v6, v3, 2
	s_waitcnt lgkmcnt(0)
	v_add_f32_e32 v4, v4, v5
	ds_bpermute_b32 v5, v6, v4
	v_add_co_ci_u32_e32 v6, vcc_lo, 0, v3, vcc_lo
	v_cmp_eq_u32_e32 vcc_lo, 0, v0
	s_waitcnt lgkmcnt(0)
	s_delay_alu instid0(VALU_DEP_2)
	v_dual_add_f32 v3, v4, v5 :: v_dual_lshlrev_b32 v4, 2, v6
	ds_bpermute_b32 v4, v4, v3
	s_and_b32 exec_lo, exec_lo, vcc_lo
	s_cbranch_execz .LBB491_7
; %bb.6:
	v_lshlrev_b64 v[0:1], 1, v[1:2]
	s_waitcnt lgkmcnt(0)
	v_add_f32_e32 v2, v3, v4
	s_delay_alu instid0(VALU_DEP_1) | instskip(NEXT) | instid1(VALU_DEP_3)
	v_cvt_f16_f32_e32 v2, v2
	v_add_co_u32 v0, vcc_lo, s8, v0
	s_delay_alu instid0(VALU_DEP_4)
	v_add_co_ci_u32_e32 v1, vcc_lo, s9, v1, vcc_lo
	global_store_b16 v[0:1], v2, off
.LBB491_7:
	s_nop 0
	s_sendmsg sendmsg(MSG_DEALLOC_VGPRS)
	s_endpgm
	.section	.rodata,"a",@progbits
	.p2align	6, 0x0
	.amdhsa_kernel _ZL28rocblas_dot_batched_4_kernelIlLi64ELi4ELb1EfDF16_PKPKDF16_EviT5_lT_lS4_lS5_liPT4_
		.amdhsa_group_segment_fixed_size 0
		.amdhsa_private_segment_fixed_size 0
		.amdhsa_kernarg_size 88
		.amdhsa_user_sgpr_count 15
		.amdhsa_user_sgpr_dispatch_ptr 0
		.amdhsa_user_sgpr_queue_ptr 0
		.amdhsa_user_sgpr_kernarg_segment_ptr 1
		.amdhsa_user_sgpr_dispatch_id 0
		.amdhsa_user_sgpr_private_segment_size 0
		.amdhsa_wavefront_size32 1
		.amdhsa_uses_dynamic_stack 0
		.amdhsa_enable_private_segment 0
		.amdhsa_system_sgpr_workgroup_id_x 1
		.amdhsa_system_sgpr_workgroup_id_y 0
		.amdhsa_system_sgpr_workgroup_id_z 0
		.amdhsa_system_sgpr_workgroup_info 0
		.amdhsa_system_vgpr_workitem_id 1
		.amdhsa_next_free_vgpr 14
		.amdhsa_next_free_sgpr 16
		.amdhsa_reserve_vcc 1
		.amdhsa_float_round_mode_32 0
		.amdhsa_float_round_mode_16_64 0
		.amdhsa_float_denorm_mode_32 3
		.amdhsa_float_denorm_mode_16_64 3
		.amdhsa_dx10_clamp 1
		.amdhsa_ieee_mode 1
		.amdhsa_fp16_overflow 0
		.amdhsa_workgroup_processor_mode 1
		.amdhsa_memory_ordered 1
		.amdhsa_forward_progress 0
		.amdhsa_shared_vgpr_count 0
		.amdhsa_exception_fp_ieee_invalid_op 0
		.amdhsa_exception_fp_denorm_src 0
		.amdhsa_exception_fp_ieee_div_zero 0
		.amdhsa_exception_fp_ieee_overflow 0
		.amdhsa_exception_fp_ieee_underflow 0
		.amdhsa_exception_fp_ieee_inexact 0
		.amdhsa_exception_int_div_zero 0
	.end_amdhsa_kernel
	.section	.text._ZL28rocblas_dot_batched_4_kernelIlLi64ELi4ELb1EfDF16_PKPKDF16_EviT5_lT_lS4_lS5_liPT4_,"axG",@progbits,_ZL28rocblas_dot_batched_4_kernelIlLi64ELi4ELb1EfDF16_PKPKDF16_EviT5_lT_lS4_lS5_liPT4_,comdat
.Lfunc_end491:
	.size	_ZL28rocblas_dot_batched_4_kernelIlLi64ELi4ELb1EfDF16_PKPKDF16_EviT5_lT_lS4_lS5_liPT4_, .Lfunc_end491-_ZL28rocblas_dot_batched_4_kernelIlLi64ELi4ELb1EfDF16_PKPKDF16_EviT5_lT_lS4_lS5_liPT4_
                                        ; -- End function
	.section	.AMDGPU.csdata,"",@progbits
; Kernel info:
; codeLenInByte = 776
; NumSgprs: 18
; NumVgprs: 14
; ScratchSize: 0
; MemoryBound: 0
; FloatMode: 240
; IeeeMode: 1
; LDSByteSize: 0 bytes/workgroup (compile time only)
; SGPRBlocks: 2
; VGPRBlocks: 1
; NumSGPRsForWavesPerEU: 18
; NumVGPRsForWavesPerEU: 14
; Occupancy: 16
; WaveLimiterHint : 0
; COMPUTE_PGM_RSRC2:SCRATCH_EN: 0
; COMPUTE_PGM_RSRC2:USER_SGPR: 15
; COMPUTE_PGM_RSRC2:TRAP_HANDLER: 0
; COMPUTE_PGM_RSRC2:TGID_X_EN: 1
; COMPUTE_PGM_RSRC2:TGID_Y_EN: 0
; COMPUTE_PGM_RSRC2:TGID_Z_EN: 0
; COMPUTE_PGM_RSRC2:TIDIG_COMP_CNT: 1
	.section	.text._ZL18rocblas_dot_kernelIlLb1ELi1024ELi32ELb1EDF16_PKPKDF16_fEviT5_lT_lS4_lS5_liPT6_PT4_,"axG",@progbits,_ZL18rocblas_dot_kernelIlLb1ELi1024ELi32ELb1EDF16_PKPKDF16_fEviT5_lT_lS4_lS5_liPT6_PT4_,comdat
	.globl	_ZL18rocblas_dot_kernelIlLb1ELi1024ELi32ELb1EDF16_PKPKDF16_fEviT5_lT_lS4_lS5_liPT6_PT4_ ; -- Begin function _ZL18rocblas_dot_kernelIlLb1ELi1024ELi32ELb1EDF16_PKPKDF16_fEviT5_lT_lS4_lS5_liPT6_PT4_
	.p2align	8
	.type	_ZL18rocblas_dot_kernelIlLb1ELi1024ELi32ELb1EDF16_PKPKDF16_fEviT5_lT_lS4_lS5_liPT6_PT4_,@function
_ZL18rocblas_dot_kernelIlLb1ELi1024ELi32ELb1EDF16_PKPKDF16_fEviT5_lT_lS4_lS5_liPT6_PT4_: ; @_ZL18rocblas_dot_kernelIlLb1ELi1024ELi32ELb1EDF16_PKPKDF16_fEviT5_lT_lS4_lS5_liPT6_PT4_
; %bb.0:
	s_clause 0x1
	s_load_b32 s14, s[0:1], 0x0
	s_load_b64 s[2:3], s[0:1], 0x58
	v_mov_b32_e32 v5, 0
	s_mov_b32 s12, s15
	s_mov_b32 s13, 0
	s_mov_b32 s15, exec_lo
	s_waitcnt lgkmcnt(0)
	v_cmpx_gt_i32_e64 s14, v0
	s_cbranch_execz .LBB492_4
; %bb.1:
	s_clause 0x4
	s_load_b64 s[16:17], s[0:1], 0x8
	s_load_b128 s[8:11], s[0:1], 0x10
	s_load_b128 s[4:7], s[0:1], 0x30
	s_load_b64 s[18:19], s[0:1], 0x28
	s_load_b32 s20, s[0:1], 0x60
	s_lshl_b64 s[0:1], s[12:13], 3
	s_waitcnt lgkmcnt(0)
	s_add_u32 s16, s16, s0
	v_mad_u64_u32 v[1:2], null, s10, v0, 0
	v_mad_u64_u32 v[3:4], null, s6, v0, 0
	s_addc_u32 s17, s17, s1
	s_add_u32 s18, s18, s0
	s_load_b64 s[16:17], s[16:17], 0x0
	s_addc_u32 s19, s19, s1
	s_lshl_b64 s[8:9], s[8:9], 1
	s_load_b64 s[18:19], s[18:19], 0x0
	s_delay_alu instid0(VALU_DEP_1) | instskip(SKIP_2) | instid1(SALU_CYCLE_1)
	v_mad_u64_u32 v[7:8], null, s11, v0, v[2:3]
	v_mov_b32_e32 v5, 0
	s_lshl_b32 s1, s20, 10
	s_mul_hi_u32 s0, s10, s1
	s_mul_i32 s11, s11, s1
	s_mul_i32 s20, s10, s1
	s_delay_alu instid0(VALU_DEP_2) | instskip(SKIP_3) | instid1(VALU_DEP_2)
	v_mov_b32_e32 v2, v7
	v_mad_u64_u32 v[8:9], null, s7, v0, v[4:5]
	s_mul_hi_u32 s23, s6, s1
	s_mul_i32 s22, s6, s1
	v_lshlrev_b64 v[1:2], 1, v[1:2]
	s_mul_i32 s7, s7, s1
	v_or_b32_e32 v6, s1, v0
	s_waitcnt lgkmcnt(0)
	s_add_u32 s16, s16, s8
	v_mov_b32_e32 v4, v8
	s_addc_u32 s17, s17, s9
	s_ashr_i32 s24, s1, 31
	s_lshl_b64 s[8:9], s[4:5], 1
	s_mul_i32 s4, s10, s24
	v_lshlrev_b64 v[3:4], 1, v[3:4]
	s_add_i32 s0, s0, s4
	v_add_co_u32 v1, vcc_lo, s16, v1
	s_add_i32 s21, s0, s11
	s_mul_i32 s0, s6, s24
	s_lshl_b64 s[4:5], s[20:21], 1
	s_add_u32 s6, s18, s8
	v_add_co_ci_u32_e32 v2, vcc_lo, s17, v2, vcc_lo
	s_addc_u32 s8, s19, s9
	v_add_co_u32 v3, vcc_lo, s6, v3
	s_add_i32 s0, s23, s0
	v_add_co_ci_u32_e32 v4, vcc_lo, s8, v4, vcc_lo
	s_add_i32 s23, s0, s7
	s_mov_b32 s8, s13
	s_lshl_b64 s[6:7], s[22:23], 1
	s_mov_b32 s9, s13
	.p2align	6
.LBB492_2:                              ; =>This Inner Loop Header: Depth=1
	global_load_u16 v7, v[3:4], off
	global_load_u16 v8, v[1:2], off
	v_add_co_u32 v1, s0, v1, s4
	s_delay_alu instid0(VALU_DEP_1)
	v_add_co_ci_u32_e64 v2, s0, s5, v2, s0
	s_add_i32 s10, s9, 1
	v_cmp_le_i32_e32 vcc_lo, s14, v6
	v_add_co_u32 v3, s0, v3, s6
	s_cmp_gt_u32 s9, 30
	v_add_co_ci_u32_e64 v4, s0, s7, v4, s0
	s_cselect_b32 s0, -1, 0
	v_add_nc_u32_e32 v6, s1, v6
	s_or_b32 s0, s0, vcc_lo
	s_mov_b32 s9, s10
	s_and_b32 s0, exec_lo, s0
	s_delay_alu instid0(SALU_CYCLE_1)
	s_or_b32 s8, s0, s8
	s_waitcnt vmcnt(0)
	v_fma_mix_f32 v5, v7, v8, v5 op_sel_hi:[1,1,0]
	s_and_not1_b32 exec_lo, exec_lo, s8
	s_cbranch_execnz .LBB492_2
; %bb.3:
	s_or_b32 exec_lo, exec_lo, s8
.LBB492_4:
	s_delay_alu instid0(SALU_CYCLE_1) | instskip(SKIP_2) | instid1(VALU_DEP_2)
	s_or_b32 exec_lo, exec_lo, s15
	v_and_b32_e32 v7, 31, v0
	v_cmp_gt_u32_e32 vcc_lo, 32, v0
	v_lshlrev_b32_e32 v1, 2, v7
	s_and_saveexec_b32 s0, vcc_lo
	s_cbranch_execz .LBB492_6
; %bb.5:
	v_mov_b32_e32 v2, 0
	ds_store_b32 v1, v2
.LBB492_6:
	s_or_b32 exec_lo, exec_lo, s0
	v_mbcnt_lo_u32_b32 v6, -1, 0
	s_mov_b32 s1, exec_lo
	s_waitcnt lgkmcnt(0)
	s_barrier
	buffer_gl0_inv
	v_cmp_gt_u32_e64 s0, 16, v6
	s_delay_alu instid0(VALU_DEP_1) | instskip(SKIP_1) | instid1(VALU_DEP_2)
	v_cndmask_b32_e64 v2, 0, 1, s0
	v_cmp_gt_u32_e64 s0, 24, v6
	v_lshlrev_b32_e32 v2, 4, v2
	s_delay_alu instid0(VALU_DEP_2) | instskip(SKIP_1) | instid1(VALU_DEP_3)
	v_cndmask_b32_e64 v3, 0, 1, s0
	v_cmp_gt_u32_e64 s0, 28, v6
	v_add_lshl_u32 v2, v2, v6, 2
	ds_bpermute_b32 v4, v2, v5
	s_waitcnt lgkmcnt(0)
	v_add_f32_e32 v5, v5, v4
	v_lshlrev_b32_e32 v3, 3, v3
	v_cndmask_b32_e64 v4, 0, 1, s0
	v_cmp_gt_u32_e64 s0, 30, v6
	s_delay_alu instid0(VALU_DEP_3) | instskip(NEXT) | instid1(VALU_DEP_3)
	v_add_lshl_u32 v3, v3, v6, 2
	v_lshlrev_b32_e32 v4, 2, v4
	ds_bpermute_b32 v8, v3, v5
	v_add_lshl_u32 v4, v4, v6, 2
	s_waitcnt lgkmcnt(0)
	v_add_f32_e32 v8, v5, v8
	v_cndmask_b32_e64 v5, 0, 1, s0
	v_cmp_ne_u32_e64 s0, 31, v6
	ds_bpermute_b32 v9, v4, v8
	v_lshlrev_b32_e32 v5, 1, v5
	s_delay_alu instid0(VALU_DEP_1) | instskip(SKIP_1) | instid1(VALU_DEP_1)
	v_add_lshl_u32 v5, v5, v6, 2
	v_add_co_ci_u32_e64 v6, s0, 0, v6, s0
	v_lshlrev_b32_e32 v6, 2, v6
	s_waitcnt lgkmcnt(0)
	v_add_f32_e32 v8, v8, v9
	ds_bpermute_b32 v9, v5, v8
	s_waitcnt lgkmcnt(0)
	v_add_f32_e32 v8, v8, v9
	ds_bpermute_b32 v9, v6, v8
	v_cmpx_eq_u32_e32 0, v7
	s_cbranch_execz .LBB492_8
; %bb.7:
	v_lshrrev_b32_e32 v7, 3, v0
	s_waitcnt lgkmcnt(0)
	s_delay_alu instid0(VALU_DEP_1)
	v_dual_add_f32 v8, v8, v9 :: v_dual_and_b32 v7, 0x7c, v7
	ds_store_b32 v7, v8
.LBB492_8:
	s_or_b32 exec_lo, exec_lo, s1
	v_mov_b32_e32 v7, 0
	s_waitcnt lgkmcnt(0)
	s_barrier
	buffer_gl0_inv
	s_and_saveexec_b32 s0, vcc_lo
	s_cbranch_execz .LBB492_10
; %bb.9:
	ds_load_b32 v7, v1
.LBB492_10:
	s_or_b32 exec_lo, exec_lo, s0
	s_and_saveexec_b32 s0, vcc_lo
	s_cbranch_execz .LBB492_12
; %bb.11:
	s_waitcnt lgkmcnt(0)
	ds_bpermute_b32 v1, v2, v7
	s_waitcnt lgkmcnt(0)
	v_add_f32_e32 v1, v7, v1
	ds_bpermute_b32 v2, v3, v1
	s_waitcnt lgkmcnt(0)
	v_add_f32_e32 v1, v1, v2
	;; [unrolled: 3-line block ×5, first 2 shown]
.LBB492_12:
	s_or_b32 exec_lo, exec_lo, s0
	s_delay_alu instid0(SALU_CYCLE_1)
	s_mov_b32 s0, exec_lo
	v_cmpx_eq_u32_e32 0, v0
	s_cbranch_execz .LBB492_14
; %bb.13:
	s_waitcnt lgkmcnt(0)
	v_cvt_f16_f32_e32 v0, v7
	s_lshl_b64 s[0:1], s[12:13], 1
	v_mov_b32_e32 v1, 0
	s_add_u32 s0, s2, s0
	s_addc_u32 s1, s3, s1
	global_store_b16 v1, v0, s[0:1]
.LBB492_14:
	s_nop 0
	s_sendmsg sendmsg(MSG_DEALLOC_VGPRS)
	s_endpgm
	.section	.rodata,"a",@progbits
	.p2align	6, 0x0
	.amdhsa_kernel _ZL18rocblas_dot_kernelIlLb1ELi1024ELi32ELb1EDF16_PKPKDF16_fEviT5_lT_lS4_lS5_liPT6_PT4_
		.amdhsa_group_segment_fixed_size 128
		.amdhsa_private_segment_fixed_size 0
		.amdhsa_kernarg_size 352
		.amdhsa_user_sgpr_count 14
		.amdhsa_user_sgpr_dispatch_ptr 0
		.amdhsa_user_sgpr_queue_ptr 0
		.amdhsa_user_sgpr_kernarg_segment_ptr 1
		.amdhsa_user_sgpr_dispatch_id 0
		.amdhsa_user_sgpr_private_segment_size 0
		.amdhsa_wavefront_size32 1
		.amdhsa_uses_dynamic_stack 0
		.amdhsa_enable_private_segment 0
		.amdhsa_system_sgpr_workgroup_id_x 1
		.amdhsa_system_sgpr_workgroup_id_y 0
		.amdhsa_system_sgpr_workgroup_id_z 1
		.amdhsa_system_sgpr_workgroup_info 0
		.amdhsa_system_vgpr_workitem_id 0
		.amdhsa_next_free_vgpr 10
		.amdhsa_next_free_sgpr 25
		.amdhsa_reserve_vcc 1
		.amdhsa_float_round_mode_32 0
		.amdhsa_float_round_mode_16_64 0
		.amdhsa_float_denorm_mode_32 3
		.amdhsa_float_denorm_mode_16_64 3
		.amdhsa_dx10_clamp 1
		.amdhsa_ieee_mode 1
		.amdhsa_fp16_overflow 0
		.amdhsa_workgroup_processor_mode 1
		.amdhsa_memory_ordered 1
		.amdhsa_forward_progress 0
		.amdhsa_shared_vgpr_count 0
		.amdhsa_exception_fp_ieee_invalid_op 0
		.amdhsa_exception_fp_denorm_src 0
		.amdhsa_exception_fp_ieee_div_zero 0
		.amdhsa_exception_fp_ieee_overflow 0
		.amdhsa_exception_fp_ieee_underflow 0
		.amdhsa_exception_fp_ieee_inexact 0
		.amdhsa_exception_int_div_zero 0
	.end_amdhsa_kernel
	.section	.text._ZL18rocblas_dot_kernelIlLb1ELi1024ELi32ELb1EDF16_PKPKDF16_fEviT5_lT_lS4_lS5_liPT6_PT4_,"axG",@progbits,_ZL18rocblas_dot_kernelIlLb1ELi1024ELi32ELb1EDF16_PKPKDF16_fEviT5_lT_lS4_lS5_liPT6_PT4_,comdat
.Lfunc_end492:
	.size	_ZL18rocblas_dot_kernelIlLb1ELi1024ELi32ELb1EDF16_PKPKDF16_fEviT5_lT_lS4_lS5_liPT6_PT4_, .Lfunc_end492-_ZL18rocblas_dot_kernelIlLb1ELi1024ELi32ELb1EDF16_PKPKDF16_fEviT5_lT_lS4_lS5_liPT6_PT4_
                                        ; -- End function
	.section	.AMDGPU.csdata,"",@progbits
; Kernel info:
; codeLenInByte = 980
; NumSgprs: 27
; NumVgprs: 10
; ScratchSize: 0
; MemoryBound: 0
; FloatMode: 240
; IeeeMode: 1
; LDSByteSize: 128 bytes/workgroup (compile time only)
; SGPRBlocks: 3
; VGPRBlocks: 1
; NumSGPRsForWavesPerEU: 27
; NumVGPRsForWavesPerEU: 10
; Occupancy: 16
; WaveLimiterHint : 0
; COMPUTE_PGM_RSRC2:SCRATCH_EN: 0
; COMPUTE_PGM_RSRC2:USER_SGPR: 14
; COMPUTE_PGM_RSRC2:TRAP_HANDLER: 0
; COMPUTE_PGM_RSRC2:TGID_X_EN: 1
; COMPUTE_PGM_RSRC2:TGID_Y_EN: 0
; COMPUTE_PGM_RSRC2:TGID_Z_EN: 1
; COMPUTE_PGM_RSRC2:TIDIG_COMP_CNT: 0
	.section	.text._ZL24rocblas_dot_kernel_magsqIlLb1ELi1024ELi32ELb1EDF16_PKPKDF16_fEviT5_lT_liPT6_PT4_,"axG",@progbits,_ZL24rocblas_dot_kernel_magsqIlLb1ELi1024ELi32ELb1EDF16_PKPKDF16_fEviT5_lT_liPT6_PT4_,comdat
	.globl	_ZL24rocblas_dot_kernel_magsqIlLb1ELi1024ELi32ELb1EDF16_PKPKDF16_fEviT5_lT_liPT6_PT4_ ; -- Begin function _ZL24rocblas_dot_kernel_magsqIlLb1ELi1024ELi32ELb1EDF16_PKPKDF16_fEviT5_lT_liPT6_PT4_
	.p2align	8
	.type	_ZL24rocblas_dot_kernel_magsqIlLb1ELi1024ELi32ELb1EDF16_PKPKDF16_fEviT5_lT_liPT6_PT4_,@function
_ZL24rocblas_dot_kernel_magsqIlLb1ELi1024ELi32ELb1EDF16_PKPKDF16_fEviT5_lT_liPT6_PT4_: ; @_ZL24rocblas_dot_kernel_magsqIlLb1ELi1024ELi32ELb1EDF16_PKPKDF16_fEviT5_lT_liPT6_PT4_
; %bb.0:
	s_clause 0x1
	s_load_b32 s8, s[0:1], 0x0
	s_load_b64 s[2:3], s[0:1], 0x38
	v_mov_b32_e32 v3, 0
	s_mov_b32 s4, s15
	s_mov_b32 s5, 0
	s_mov_b32 s9, exec_lo
	s_waitcnt lgkmcnt(0)
	v_cmpx_gt_i32_e64 s8, v0
	s_cbranch_execz .LBB493_4
; %bb.1:
	s_clause 0x1
	s_load_b64 s[6:7], s[0:1], 0x8
	s_load_b128 s[12:15], s[0:1], 0x10
	s_lshl_b64 s[10:11], s[4:5], 3
	s_load_b32 s16, s[0:1], 0x40
	s_waitcnt lgkmcnt(0)
	s_add_u32 s0, s6, s10
	v_mad_u64_u32 v[1:2], null, s14, v0, 0
	s_addc_u32 s1, s7, s11
	s_lshl_b64 s[10:11], s[12:13], 1
	s_load_b64 s[6:7], s[0:1], 0x0
	s_lshl_b32 s1, s16, 10
	s_delay_alu instid0(SALU_CYCLE_1) | instskip(NEXT) | instid1(VALU_DEP_1)
	s_mul_hi_u32 s0, s14, s1
	v_mad_u64_u32 v[3:4], null, s15, v0, v[2:3]
	v_or_b32_e32 v4, s1, v0
	s_delay_alu instid0(VALU_DEP_2) | instskip(NEXT) | instid1(VALU_DEP_1)
	v_dual_mov_b32 v2, v3 :: v_dual_mov_b32 v3, 0
	v_lshlrev_b64 v[1:2], 1, v[1:2]
	s_waitcnt lgkmcnt(0)
	s_add_u32 s10, s6, s10
	s_addc_u32 s11, s7, s11
	s_ashr_i32 s6, s1, 31
	s_delay_alu instid0(VALU_DEP_1)
	v_add_co_u32 v1, vcc_lo, s10, v1
	s_mul_i32 s6, s14, s6
	s_mul_i32 s7, s15, s1
	s_add_i32 s0, s0, s6
	v_add_co_ci_u32_e32 v2, vcc_lo, s11, v2, vcc_lo
	s_mul_i32 s6, s14, s1
	s_add_i32 s7, s0, s7
	s_mov_b32 s10, s5
	s_lshl_b64 s[6:7], s[6:7], 1
	s_mov_b32 s11, s5
	.p2align	6
.LBB493_2:                              ; =>This Inner Loop Header: Depth=1
	global_load_u16 v5, v[1:2], off
	s_add_i32 s12, s11, 1
	v_cmp_le_i32_e32 vcc_lo, s8, v4
	v_add_co_u32 v1, s0, v1, s6
	s_cmp_gt_u32 s11, 30
	v_add_co_ci_u32_e64 v2, s0, s7, v2, s0
	s_cselect_b32 s0, -1, 0
	v_add_nc_u32_e32 v4, s1, v4
	s_or_b32 s0, s0, vcc_lo
	s_mov_b32 s11, s12
	s_and_b32 s0, exec_lo, s0
	s_delay_alu instid0(SALU_CYCLE_1)
	s_or_b32 s10, s0, s10
	s_waitcnt vmcnt(0)
	v_fma_mix_f32 v3, v5, v5, v3 op_sel_hi:[1,1,0]
	s_and_not1_b32 exec_lo, exec_lo, s10
	s_cbranch_execnz .LBB493_2
; %bb.3:
	s_or_b32 exec_lo, exec_lo, s10
.LBB493_4:
	s_delay_alu instid0(SALU_CYCLE_1) | instskip(SKIP_2) | instid1(VALU_DEP_2)
	s_or_b32 exec_lo, exec_lo, s9
	v_and_b32_e32 v7, 31, v0
	v_cmp_gt_u32_e32 vcc_lo, 32, v0
	v_lshlrev_b32_e32 v1, 2, v7
	s_and_saveexec_b32 s0, vcc_lo
	s_cbranch_execz .LBB493_6
; %bb.5:
	v_mov_b32_e32 v2, 0
	ds_store_b32 v1, v2
.LBB493_6:
	s_or_b32 exec_lo, exec_lo, s0
	v_mbcnt_lo_u32_b32 v6, -1, 0
	s_mov_b32 s1, exec_lo
	s_waitcnt lgkmcnt(0)
	s_barrier
	buffer_gl0_inv
	v_cmp_gt_u32_e64 s0, 16, v6
	s_delay_alu instid0(VALU_DEP_1) | instskip(SKIP_1) | instid1(VALU_DEP_2)
	v_cndmask_b32_e64 v2, 0, 1, s0
	v_cmp_gt_u32_e64 s0, 24, v6
	v_lshlrev_b32_e32 v2, 4, v2
	s_delay_alu instid0(VALU_DEP_2) | instskip(SKIP_1) | instid1(VALU_DEP_3)
	v_cndmask_b32_e64 v4, 0, 1, s0
	v_cmp_gt_u32_e64 s0, 28, v6
	v_add_lshl_u32 v2, v2, v6, 2
	s_delay_alu instid0(VALU_DEP_3)
	v_lshlrev_b32_e32 v4, 3, v4
	ds_bpermute_b32 v5, v2, v3
	v_add_lshl_u32 v4, v4, v6, 2
	s_waitcnt lgkmcnt(0)
	v_add_f32_e32 v5, v3, v5
	v_cndmask_b32_e64 v3, 0, 1, s0
	v_cmp_gt_u32_e64 s0, 30, v6
	ds_bpermute_b32 v8, v4, v5
	s_waitcnt lgkmcnt(0)
	v_dual_add_f32 v8, v5, v8 :: v_dual_lshlrev_b32 v3, 2, v3
	s_delay_alu instid0(VALU_DEP_1) | instskip(SKIP_4) | instid1(VALU_DEP_1)
	v_add_lshl_u32 v3, v3, v6, 2
	v_cndmask_b32_e64 v5, 0, 1, s0
	v_cmp_ne_u32_e64 s0, 31, v6
	ds_bpermute_b32 v9, v3, v8
	v_lshlrev_b32_e32 v5, 1, v5
	v_add_lshl_u32 v5, v5, v6, 2
	v_add_co_ci_u32_e64 v6, s0, 0, v6, s0
	s_delay_alu instid0(VALU_DEP_1)
	v_lshlrev_b32_e32 v6, 2, v6
	s_waitcnt lgkmcnt(0)
	v_add_f32_e32 v8, v8, v9
	ds_bpermute_b32 v9, v5, v8
	s_waitcnt lgkmcnt(0)
	v_add_f32_e32 v8, v8, v9
	ds_bpermute_b32 v9, v6, v8
	v_cmpx_eq_u32_e32 0, v7
	s_cbranch_execz .LBB493_8
; %bb.7:
	v_lshrrev_b32_e32 v7, 3, v0
	s_waitcnt lgkmcnt(0)
	s_delay_alu instid0(VALU_DEP_1)
	v_dual_add_f32 v8, v8, v9 :: v_dual_and_b32 v7, 0x7c, v7
	ds_store_b32 v7, v8
.LBB493_8:
	s_or_b32 exec_lo, exec_lo, s1
	v_mov_b32_e32 v7, 0
	s_waitcnt lgkmcnt(0)
	s_barrier
	buffer_gl0_inv
	s_and_saveexec_b32 s0, vcc_lo
	s_cbranch_execz .LBB493_10
; %bb.9:
	ds_load_b32 v7, v1
.LBB493_10:
	s_or_b32 exec_lo, exec_lo, s0
	s_and_saveexec_b32 s0, vcc_lo
	s_cbranch_execz .LBB493_12
; %bb.11:
	s_waitcnt lgkmcnt(0)
	ds_bpermute_b32 v1, v2, v7
	s_waitcnt lgkmcnt(0)
	v_add_f32_e32 v1, v7, v1
	ds_bpermute_b32 v2, v4, v1
	s_waitcnt lgkmcnt(0)
	v_add_f32_e32 v1, v1, v2
	;; [unrolled: 3-line block ×5, first 2 shown]
.LBB493_12:
	s_or_b32 exec_lo, exec_lo, s0
	s_delay_alu instid0(SALU_CYCLE_1)
	s_mov_b32 s0, exec_lo
	v_cmpx_eq_u32_e32 0, v0
	s_cbranch_execz .LBB493_14
; %bb.13:
	s_waitcnt lgkmcnt(0)
	v_cvt_f16_f32_e32 v0, v7
	s_lshl_b64 s[0:1], s[4:5], 1
	v_mov_b32_e32 v1, 0
	s_add_u32 s0, s2, s0
	s_addc_u32 s1, s3, s1
	global_store_b16 v1, v0, s[0:1]
.LBB493_14:
	s_nop 0
	s_sendmsg sendmsg(MSG_DEALLOC_VGPRS)
	s_endpgm
	.section	.rodata,"a",@progbits
	.p2align	6, 0x0
	.amdhsa_kernel _ZL24rocblas_dot_kernel_magsqIlLb1ELi1024ELi32ELb1EDF16_PKPKDF16_fEviT5_lT_liPT6_PT4_
		.amdhsa_group_segment_fixed_size 128
		.amdhsa_private_segment_fixed_size 0
		.amdhsa_kernarg_size 320
		.amdhsa_user_sgpr_count 14
		.amdhsa_user_sgpr_dispatch_ptr 0
		.amdhsa_user_sgpr_queue_ptr 0
		.amdhsa_user_sgpr_kernarg_segment_ptr 1
		.amdhsa_user_sgpr_dispatch_id 0
		.amdhsa_user_sgpr_private_segment_size 0
		.amdhsa_wavefront_size32 1
		.amdhsa_uses_dynamic_stack 0
		.amdhsa_enable_private_segment 0
		.amdhsa_system_sgpr_workgroup_id_x 1
		.amdhsa_system_sgpr_workgroup_id_y 0
		.amdhsa_system_sgpr_workgroup_id_z 1
		.amdhsa_system_sgpr_workgroup_info 0
		.amdhsa_system_vgpr_workitem_id 0
		.amdhsa_next_free_vgpr 10
		.amdhsa_next_free_sgpr 17
		.amdhsa_reserve_vcc 1
		.amdhsa_float_round_mode_32 0
		.amdhsa_float_round_mode_16_64 0
		.amdhsa_float_denorm_mode_32 3
		.amdhsa_float_denorm_mode_16_64 3
		.amdhsa_dx10_clamp 1
		.amdhsa_ieee_mode 1
		.amdhsa_fp16_overflow 0
		.amdhsa_workgroup_processor_mode 1
		.amdhsa_memory_ordered 1
		.amdhsa_forward_progress 0
		.amdhsa_shared_vgpr_count 0
		.amdhsa_exception_fp_ieee_invalid_op 0
		.amdhsa_exception_fp_denorm_src 0
		.amdhsa_exception_fp_ieee_div_zero 0
		.amdhsa_exception_fp_ieee_overflow 0
		.amdhsa_exception_fp_ieee_underflow 0
		.amdhsa_exception_fp_ieee_inexact 0
		.amdhsa_exception_int_div_zero 0
	.end_amdhsa_kernel
	.section	.text._ZL24rocblas_dot_kernel_magsqIlLb1ELi1024ELi32ELb1EDF16_PKPKDF16_fEviT5_lT_liPT6_PT4_,"axG",@progbits,_ZL24rocblas_dot_kernel_magsqIlLb1ELi1024ELi32ELb1EDF16_PKPKDF16_fEviT5_lT_liPT6_PT4_,comdat
.Lfunc_end493:
	.size	_ZL24rocblas_dot_kernel_magsqIlLb1ELi1024ELi32ELb1EDF16_PKPKDF16_fEviT5_lT_liPT6_PT4_, .Lfunc_end493-_ZL24rocblas_dot_kernel_magsqIlLb1ELi1024ELi32ELb1EDF16_PKPKDF16_fEviT5_lT_liPT6_PT4_
                                        ; -- End function
	.section	.AMDGPU.csdata,"",@progbits
; Kernel info:
; codeLenInByte = 848
; NumSgprs: 19
; NumVgprs: 10
; ScratchSize: 0
; MemoryBound: 0
; FloatMode: 240
; IeeeMode: 1
; LDSByteSize: 128 bytes/workgroup (compile time only)
; SGPRBlocks: 2
; VGPRBlocks: 1
; NumSGPRsForWavesPerEU: 19
; NumVGPRsForWavesPerEU: 10
; Occupancy: 16
; WaveLimiterHint : 0
; COMPUTE_PGM_RSRC2:SCRATCH_EN: 0
; COMPUTE_PGM_RSRC2:USER_SGPR: 14
; COMPUTE_PGM_RSRC2:TRAP_HANDLER: 0
; COMPUTE_PGM_RSRC2:TGID_X_EN: 1
; COMPUTE_PGM_RSRC2:TGID_Y_EN: 0
; COMPUTE_PGM_RSRC2:TGID_Z_EN: 1
; COMPUTE_PGM_RSRC2:TIDIG_COMP_CNT: 0
	.section	.text._ZL18rocblas_dot_kernelIlLb0ELi512ELi8ELb1EDF16_PKPKDF16_fEviT5_lT_lS4_lS5_liPT6_PT4_,"axG",@progbits,_ZL18rocblas_dot_kernelIlLb0ELi512ELi8ELb1EDF16_PKPKDF16_fEviT5_lT_lS4_lS5_liPT6_PT4_,comdat
	.globl	_ZL18rocblas_dot_kernelIlLb0ELi512ELi8ELb1EDF16_PKPKDF16_fEviT5_lT_lS4_lS5_liPT6_PT4_ ; -- Begin function _ZL18rocblas_dot_kernelIlLb0ELi512ELi8ELb1EDF16_PKPKDF16_fEviT5_lT_lS4_lS5_liPT6_PT4_
	.p2align	8
	.type	_ZL18rocblas_dot_kernelIlLb0ELi512ELi8ELb1EDF16_PKPKDF16_fEviT5_lT_lS4_lS5_liPT6_PT4_,@function
_ZL18rocblas_dot_kernelIlLb0ELi512ELi8ELb1EDF16_PKPKDF16_fEviT5_lT_lS4_lS5_liPT6_PT4_: ; @_ZL18rocblas_dot_kernelIlLb0ELi512ELi8ELb1EDF16_PKPKDF16_fEviT5_lT_lS4_lS5_liPT6_PT4_
; %bb.0:
	s_clause 0x2
	s_load_b32 s12, s[0:1], 0x60
	s_load_b32 s13, s[0:1], 0x0
	s_load_b128 s[4:7], s[0:1], 0x50
	v_lshl_or_b32 v1, s14, 9, v0
	v_mov_b32_e32 v5, 0
	s_mov_b32 s2, s15
	s_mov_b32 s3, 0
	s_mov_b32 s15, exec_lo
	s_waitcnt lgkmcnt(0)
	v_cmpx_gt_i32_e64 s13, v1
	s_cbranch_execz .LBB494_4
; %bb.1:
	s_clause 0x3
	s_load_b64 s[20:21], s[0:1], 0x8
	s_load_b128 s[16:19], s[0:1], 0x10
	s_load_b128 s[8:11], s[0:1], 0x30
	s_load_b64 s[0:1], s[0:1], 0x28
	s_lshl_b64 s[22:23], s[2:3], 3
	v_ashrrev_i32_e32 v4, 31, v1
	s_waitcnt lgkmcnt(0)
	s_add_u32 s20, s20, s22
	s_addc_u32 s21, s21, s23
	v_mul_lo_u32 v9, s19, v1
	s_load_b64 s[20:21], s[20:21], 0x0
	s_add_u32 s22, s0, s22
	s_addc_u32 s23, s1, s23
	v_mul_lo_u32 v10, s18, v4
	v_mad_u64_u32 v[2:3], null, s18, v1, 0
	s_load_b64 s[22:23], s[22:23], 0x0
	v_mul_lo_u32 v11, s11, v1
	v_mul_lo_u32 v4, s10, v4
	v_mad_u64_u32 v[7:8], null, s10, v1, 0
	s_lshl_b64 s[16:17], s[16:17], 1
	s_delay_alu instid0(VALU_DEP_4) | instskip(SKIP_1) | instid1(SALU_CYCLE_1)
	v_add3_u32 v3, v3, v10, v9
	s_lshl_b32 s1, s12, 9
	v_dual_mov_b32 v5, 0 :: v_dual_add_nc_u32 v6, s1, v1
	s_mul_hi_u32 s0, s18, s1
	s_delay_alu instid0(VALU_DEP_3)
	v_add3_u32 v8, v8, v4, v11
	v_lshlrev_b64 v[1:2], 1, v[2:3]
	s_mul_i32 s19, s19, s1
	s_waitcnt lgkmcnt(0)
	s_add_u32 s20, s20, s16
	s_addc_u32 s21, s21, s17
	s_ashr_i32 s28, s1, 31
	v_lshlrev_b64 v[3:4], 1, v[7:8]
	s_mul_i32 s16, s18, s28
	s_mul_i32 s24, s18, s1
	s_add_i32 s0, s0, s16
	s_lshl_b64 s[16:17], s[8:9], 1
	s_add_i32 s25, s0, s19
	v_add_co_u32 v1, vcc_lo, s20, v1
	s_lshl_b64 s[8:9], s[24:25], 1
	s_mul_hi_u32 s27, s10, s1
	s_mul_i32 s26, s10, s1
	s_mul_i32 s0, s10, s28
	s_add_u32 s10, s22, s16
	v_add_co_ci_u32_e32 v2, vcc_lo, s21, v2, vcc_lo
	s_addc_u32 s16, s23, s17
	v_add_co_u32 v3, vcc_lo, s10, v3
	s_mul_i32 s11, s11, s1
	s_add_i32 s0, s27, s0
	v_add_co_ci_u32_e32 v4, vcc_lo, s16, v4, vcc_lo
	s_add_i32 s27, s0, s11
	s_mov_b32 s16, s3
	s_lshl_b64 s[10:11], s[26:27], 1
	s_mov_b32 s17, s3
	.p2align	6
.LBB494_2:                              ; =>This Inner Loop Header: Depth=1
	global_load_u16 v7, v[3:4], off
	global_load_u16 v8, v[1:2], off
	v_add_co_u32 v1, s0, v1, s8
	s_delay_alu instid0(VALU_DEP_1)
	v_add_co_ci_u32_e64 v2, s0, s9, v2, s0
	s_add_i32 s18, s17, 1
	v_cmp_le_i32_e32 vcc_lo, s13, v6
	v_add_co_u32 v3, s0, v3, s10
	s_cmp_gt_u32 s17, 6
	v_add_co_ci_u32_e64 v4, s0, s11, v4, s0
	s_cselect_b32 s0, -1, 0
	v_add_nc_u32_e32 v6, s1, v6
	s_or_b32 s0, s0, vcc_lo
	s_mov_b32 s17, s18
	s_and_b32 s0, exec_lo, s0
	s_delay_alu instid0(SALU_CYCLE_1)
	s_or_b32 s16, s0, s16
	s_waitcnt vmcnt(0)
	v_fma_mix_f32 v5, v7, v8, v5 op_sel_hi:[1,1,0]
	s_and_not1_b32 exec_lo, exec_lo, s16
	s_cbranch_execnz .LBB494_2
; %bb.3:
	s_or_b32 exec_lo, exec_lo, s16
.LBB494_4:
	s_delay_alu instid0(SALU_CYCLE_1) | instskip(SKIP_2) | instid1(VALU_DEP_2)
	s_or_b32 exec_lo, exec_lo, s15
	v_and_b32_e32 v2, 31, v0
	v_cmp_gt_u32_e32 vcc_lo, 32, v0
	v_lshlrev_b32_e32 v1, 2, v2
	s_and_saveexec_b32 s0, vcc_lo
	s_cbranch_execz .LBB494_6
; %bb.5:
	v_mov_b32_e32 v3, 0
	ds_store_b32 v1, v3
.LBB494_6:
	s_or_b32 exec_lo, exec_lo, s0
	v_mbcnt_lo_u32_b32 v6, -1, 0
	s_mov_b32 s1, exec_lo
	s_waitcnt lgkmcnt(0)
	s_barrier
	buffer_gl0_inv
	v_cmp_gt_u32_e64 s0, 16, v6
	s_delay_alu instid0(VALU_DEP_1) | instskip(SKIP_1) | instid1(VALU_DEP_2)
	v_cndmask_b32_e64 v3, 0, 1, s0
	v_cmp_gt_u32_e64 s0, 24, v6
	v_lshlrev_b32_e32 v3, 4, v3
	s_delay_alu instid0(VALU_DEP_1) | instskip(SKIP_3) | instid1(VALU_DEP_2)
	v_add_lshl_u32 v3, v3, v6, 2
	ds_bpermute_b32 v4, v3, v5
	v_cndmask_b32_e64 v3, 0, 1, s0
	v_cmp_gt_u32_e64 s0, 28, v6
	v_lshlrev_b32_e32 v3, 3, v3
	s_delay_alu instid0(VALU_DEP_1)
	v_add_lshl_u32 v3, v3, v6, 2
	s_waitcnt lgkmcnt(0)
	v_add_f32_e32 v5, v5, v4
	v_cndmask_b32_e64 v4, 0, 1, s0
	v_cmp_gt_u32_e64 s0, 30, v6
	ds_bpermute_b32 v7, v3, v5
	s_waitcnt lgkmcnt(0)
	v_dual_add_f32 v7, v5, v7 :: v_dual_lshlrev_b32 v4, 2, v4
	s_delay_alu instid0(VALU_DEP_1) | instskip(SKIP_4) | instid1(VALU_DEP_1)
	v_add_lshl_u32 v4, v4, v6, 2
	v_cndmask_b32_e64 v5, 0, 1, s0
	v_cmp_ne_u32_e64 s0, 31, v6
	ds_bpermute_b32 v8, v4, v7
	v_lshlrev_b32_e32 v5, 1, v5
	v_add_lshl_u32 v5, v5, v6, 2
	v_add_co_ci_u32_e64 v6, s0, 0, v6, s0
	s_waitcnt lgkmcnt(0)
	s_delay_alu instid0(VALU_DEP_1)
	v_dual_add_f32 v7, v7, v8 :: v_dual_lshlrev_b32 v6, 2, v6
	ds_bpermute_b32 v8, v5, v7
	s_waitcnt lgkmcnt(0)
	v_add_f32_e32 v7, v7, v8
	ds_bpermute_b32 v8, v6, v7
	v_cmpx_eq_u32_e32 0, v2
	s_cbranch_execz .LBB494_8
; %bb.7:
	v_lshrrev_b32_e32 v2, 3, v0
	s_waitcnt lgkmcnt(0)
	s_delay_alu instid0(VALU_DEP_1)
	v_dual_add_f32 v7, v7, v8 :: v_dual_and_b32 v2, 60, v2
	ds_store_b32 v2, v7
.LBB494_8:
	s_or_b32 exec_lo, exec_lo, s1
	v_mov_b32_e32 v2, 0
	s_mov_b32 s1, exec_lo
	s_waitcnt lgkmcnt(0)
	s_barrier
	buffer_gl0_inv
	v_cmpx_gt_u32_e32 16, v0
	s_cbranch_execz .LBB494_10
; %bb.9:
	ds_load_b32 v2, v1
.LBB494_10:
	s_or_b32 exec_lo, exec_lo, s1
	s_and_saveexec_b32 s0, vcc_lo
	s_cbranch_execz .LBB494_12
; %bb.11:
	s_waitcnt lgkmcnt(0)
	ds_bpermute_b32 v1, v3, v2
	s_waitcnt lgkmcnt(0)
	v_add_f32_e32 v1, v2, v1
	ds_bpermute_b32 v2, v4, v1
	s_waitcnt lgkmcnt(0)
	v_add_f32_e32 v1, v1, v2
	;; [unrolled: 3-line block ×4, first 2 shown]
.LBB494_12:
	s_or_b32 exec_lo, exec_lo, s0
	s_delay_alu instid0(SALU_CYCLE_1)
	s_mov_b32 s0, exec_lo
	v_cmpx_eq_u32_e32 0, v0
	s_cbranch_execz .LBB494_17
; %bb.13:
	s_cmp_lg_u32 s12, 1
	s_mov_b32 s15, -1
	s_cbranch_scc0 .LBB494_15
; %bb.14:
	s_mul_hi_u32 s1, s12, s2
	s_mul_i32 s0, s12, s2
	s_mov_b32 s15, 0
	s_lshl_b64 s[0:1], s[0:1], 2
	v_mov_b32_e32 v0, 0
	s_add_u32 s4, s4, s0
	s_addc_u32 s5, s5, s1
	s_lshl_b64 s[0:1], s[14:15], 2
	s_delay_alu instid0(SALU_CYCLE_1)
	s_add_u32 s0, s4, s0
	s_addc_u32 s1, s5, s1
	s_waitcnt lgkmcnt(0)
	global_store_b32 v0, v2, s[0:1]
.LBB494_15:
	s_and_not1_b32 vcc_lo, exec_lo, s15
	s_cbranch_vccnz .LBB494_17
; %bb.16:
	s_waitcnt lgkmcnt(0)
	v_cvt_f16_f32_e32 v0, v2
	s_lshl_b64 s[0:1], s[2:3], 1
	v_mov_b32_e32 v1, 0
	s_add_u32 s0, s6, s0
	s_addc_u32 s1, s7, s1
	global_store_b16 v1, v0, s[0:1]
.LBB494_17:
	s_nop 0
	s_sendmsg sendmsg(MSG_DEALLOC_VGPRS)
	s_endpgm
	.section	.rodata,"a",@progbits
	.p2align	6, 0x0
	.amdhsa_kernel _ZL18rocblas_dot_kernelIlLb0ELi512ELi8ELb1EDF16_PKPKDF16_fEviT5_lT_lS4_lS5_liPT6_PT4_
		.amdhsa_group_segment_fixed_size 128
		.amdhsa_private_segment_fixed_size 0
		.amdhsa_kernarg_size 352
		.amdhsa_user_sgpr_count 14
		.amdhsa_user_sgpr_dispatch_ptr 0
		.amdhsa_user_sgpr_queue_ptr 0
		.amdhsa_user_sgpr_kernarg_segment_ptr 1
		.amdhsa_user_sgpr_dispatch_id 0
		.amdhsa_user_sgpr_private_segment_size 0
		.amdhsa_wavefront_size32 1
		.amdhsa_uses_dynamic_stack 0
		.amdhsa_enable_private_segment 0
		.amdhsa_system_sgpr_workgroup_id_x 1
		.amdhsa_system_sgpr_workgroup_id_y 0
		.amdhsa_system_sgpr_workgroup_id_z 1
		.amdhsa_system_sgpr_workgroup_info 0
		.amdhsa_system_vgpr_workitem_id 0
		.amdhsa_next_free_vgpr 12
		.amdhsa_next_free_sgpr 29
		.amdhsa_reserve_vcc 1
		.amdhsa_float_round_mode_32 0
		.amdhsa_float_round_mode_16_64 0
		.amdhsa_float_denorm_mode_32 3
		.amdhsa_float_denorm_mode_16_64 3
		.amdhsa_dx10_clamp 1
		.amdhsa_ieee_mode 1
		.amdhsa_fp16_overflow 0
		.amdhsa_workgroup_processor_mode 1
		.amdhsa_memory_ordered 1
		.amdhsa_forward_progress 0
		.amdhsa_shared_vgpr_count 0
		.amdhsa_exception_fp_ieee_invalid_op 0
		.amdhsa_exception_fp_denorm_src 0
		.amdhsa_exception_fp_ieee_div_zero 0
		.amdhsa_exception_fp_ieee_overflow 0
		.amdhsa_exception_fp_ieee_underflow 0
		.amdhsa_exception_fp_ieee_inexact 0
		.amdhsa_exception_int_div_zero 0
	.end_amdhsa_kernel
	.section	.text._ZL18rocblas_dot_kernelIlLb0ELi512ELi8ELb1EDF16_PKPKDF16_fEviT5_lT_lS4_lS5_liPT6_PT4_,"axG",@progbits,_ZL18rocblas_dot_kernelIlLb0ELi512ELi8ELb1EDF16_PKPKDF16_fEviT5_lT_lS4_lS5_liPT6_PT4_,comdat
.Lfunc_end494:
	.size	_ZL18rocblas_dot_kernelIlLb0ELi512ELi8ELb1EDF16_PKPKDF16_fEviT5_lT_lS4_lS5_liPT6_PT4_, .Lfunc_end494-_ZL18rocblas_dot_kernelIlLb0ELi512ELi8ELb1EDF16_PKPKDF16_fEviT5_lT_lS4_lS5_liPT6_PT4_
                                        ; -- End function
	.section	.AMDGPU.csdata,"",@progbits
; Kernel info:
; codeLenInByte = 1080
; NumSgprs: 31
; NumVgprs: 12
; ScratchSize: 0
; MemoryBound: 0
; FloatMode: 240
; IeeeMode: 1
; LDSByteSize: 128 bytes/workgroup (compile time only)
; SGPRBlocks: 3
; VGPRBlocks: 1
; NumSGPRsForWavesPerEU: 31
; NumVGPRsForWavesPerEU: 12
; Occupancy: 16
; WaveLimiterHint : 0
; COMPUTE_PGM_RSRC2:SCRATCH_EN: 0
; COMPUTE_PGM_RSRC2:USER_SGPR: 14
; COMPUTE_PGM_RSRC2:TRAP_HANDLER: 0
; COMPUTE_PGM_RSRC2:TGID_X_EN: 1
; COMPUTE_PGM_RSRC2:TGID_Y_EN: 0
; COMPUTE_PGM_RSRC2:TGID_Z_EN: 1
; COMPUTE_PGM_RSRC2:TIDIG_COMP_CNT: 0
	.section	.text._ZL24rocblas_dot_kernel_magsqIlLb0ELi512ELi8ELb1EDF16_PKPKDF16_fEviT5_lT_liPT6_PT4_,"axG",@progbits,_ZL24rocblas_dot_kernel_magsqIlLb0ELi512ELi8ELb1EDF16_PKPKDF16_fEviT5_lT_liPT6_PT4_,comdat
	.globl	_ZL24rocblas_dot_kernel_magsqIlLb0ELi512ELi8ELb1EDF16_PKPKDF16_fEviT5_lT_liPT6_PT4_ ; -- Begin function _ZL24rocblas_dot_kernel_magsqIlLb0ELi512ELi8ELb1EDF16_PKPKDF16_fEviT5_lT_liPT6_PT4_
	.p2align	8
	.type	_ZL24rocblas_dot_kernel_magsqIlLb0ELi512ELi8ELb1EDF16_PKPKDF16_fEviT5_lT_liPT6_PT4_,@function
_ZL24rocblas_dot_kernel_magsqIlLb0ELi512ELi8ELb1EDF16_PKPKDF16_fEviT5_lT_liPT6_PT4_: ; @_ZL24rocblas_dot_kernel_magsqIlLb0ELi512ELi8ELb1EDF16_PKPKDF16_fEviT5_lT_liPT6_PT4_
; %bb.0:
	s_clause 0x2
	s_load_b32 s11, s[0:1], 0x0
	s_load_b128 s[4:7], s[0:1], 0x30
	s_load_b32 s10, s[0:1], 0x40
	v_lshl_or_b32 v1, s14, 9, v0
	v_mov_b32_e32 v3, 0
	s_mov_b32 s8, s15
	s_mov_b32 s9, 0
	s_mov_b32 s12, exec_lo
	s_waitcnt lgkmcnt(0)
	v_cmpx_gt_i32_e64 s11, v1
	s_cbranch_execz .LBB495_4
; %bb.1:
	s_clause 0x1
	s_load_b64 s[16:17], s[0:1], 0x8
	s_load_b128 s[0:3], s[0:1], 0x10
	s_lshl_b64 s[18:19], s[8:9], 3
	v_ashrrev_i32_e32 v2, 31, v1
	s_waitcnt lgkmcnt(0)
	s_add_u32 s16, s16, s18
	s_addc_u32 s17, s17, s19
	v_mul_lo_u32 v4, s3, v1
	s_load_b64 s[16:17], s[16:17], 0x0
	v_mul_lo_u32 v2, s2, v2
	v_mad_u64_u32 v[5:6], null, s2, v1, 0
	s_lshl_b32 s13, s10, 9
	v_mov_b32_e32 v3, 0
	s_lshl_b64 s[0:1], s[0:1], 1
	s_mul_hi_u32 s15, s2, s13
	s_mul_i32 s3, s3, s13
	s_delay_alu instid0(VALU_DEP_2) | instskip(SKIP_1) | instid1(VALU_DEP_2)
	v_add3_u32 v6, v6, v2, v4
	v_add_nc_u32_e32 v4, s13, v1
	v_lshlrev_b64 v[1:2], 1, v[5:6]
	s_waitcnt lgkmcnt(0)
	s_add_u32 s0, s16, s0
	s_addc_u32 s1, s17, s1
	s_ashr_i32 s16, s13, 31
	s_delay_alu instid0(VALU_DEP_1)
	v_add_co_u32 v1, vcc_lo, s0, v1
	s_mul_i32 s16, s2, s16
	v_add_co_ci_u32_e32 v2, vcc_lo, s1, v2, vcc_lo
	s_add_i32 s15, s15, s16
	s_mul_i32 s2, s2, s13
	s_add_i32 s3, s15, s3
	s_mov_b32 s1, s9
	s_lshl_b64 s[2:3], s[2:3], 1
	s_mov_b32 s15, s9
	.p2align	6
.LBB495_2:                              ; =>This Inner Loop Header: Depth=1
	global_load_u16 v5, v[1:2], off
	s_add_i32 s16, s15, 1
	v_cmp_le_i32_e32 vcc_lo, s11, v4
	v_add_co_u32 v1, s0, v1, s2
	s_cmp_gt_u32 s15, 6
	v_add_co_ci_u32_e64 v2, s0, s3, v2, s0
	s_cselect_b32 s0, -1, 0
	v_add_nc_u32_e32 v4, s13, v4
	s_or_b32 s0, s0, vcc_lo
	s_mov_b32 s15, s16
	s_and_b32 s0, exec_lo, s0
	s_delay_alu instid0(SALU_CYCLE_1)
	s_or_b32 s1, s0, s1
	s_waitcnt vmcnt(0)
	v_fma_mix_f32 v3, v5, v5, v3 op_sel_hi:[1,1,0]
	s_and_not1_b32 exec_lo, exec_lo, s1
	s_cbranch_execnz .LBB495_2
; %bb.3:
	s_or_b32 exec_lo, exec_lo, s1
.LBB495_4:
	s_delay_alu instid0(SALU_CYCLE_1) | instskip(SKIP_2) | instid1(VALU_DEP_2)
	s_or_b32 exec_lo, exec_lo, s12
	v_and_b32_e32 v2, 31, v0
	v_cmp_gt_u32_e32 vcc_lo, 32, v0
	v_lshlrev_b32_e32 v1, 2, v2
	s_and_saveexec_b32 s0, vcc_lo
	s_cbranch_execz .LBB495_6
; %bb.5:
	v_mov_b32_e32 v4, 0
	ds_store_b32 v1, v4
.LBB495_6:
	s_or_b32 exec_lo, exec_lo, s0
	v_mbcnt_lo_u32_b32 v6, -1, 0
	s_mov_b32 s1, exec_lo
	s_waitcnt lgkmcnt(0)
	s_barrier
	buffer_gl0_inv
	v_cmp_gt_u32_e64 s0, 16, v6
	s_delay_alu instid0(VALU_DEP_1) | instskip(SKIP_1) | instid1(VALU_DEP_2)
	v_cndmask_b32_e64 v4, 0, 1, s0
	v_cmp_gt_u32_e64 s0, 24, v6
	v_lshlrev_b32_e32 v4, 4, v4
	s_delay_alu instid0(VALU_DEP_1) | instskip(SKIP_4) | instid1(VALU_DEP_2)
	v_add_lshl_u32 v4, v4, v6, 2
	ds_bpermute_b32 v5, v4, v3
	v_cndmask_b32_e64 v4, 0, 1, s0
	v_cmp_gt_u32_e64 s0, 28, v6
	s_waitcnt lgkmcnt(0)
	v_dual_add_f32 v5, v3, v5 :: v_dual_lshlrev_b32 v4, 3, v4
	s_delay_alu instid0(VALU_DEP_2) | instskip(SKIP_1) | instid1(VALU_DEP_3)
	v_cndmask_b32_e64 v3, 0, 1, s0
	v_cmp_gt_u32_e64 s0, 30, v6
	v_add_lshl_u32 v4, v4, v6, 2
	s_delay_alu instid0(VALU_DEP_3)
	v_lshlrev_b32_e32 v3, 2, v3
	ds_bpermute_b32 v7, v4, v5
	v_add_lshl_u32 v3, v3, v6, 2
	s_waitcnt lgkmcnt(0)
	v_add_f32_e32 v7, v5, v7
	v_cndmask_b32_e64 v5, 0, 1, s0
	v_cmp_ne_u32_e64 s0, 31, v6
	ds_bpermute_b32 v8, v3, v7
	v_lshlrev_b32_e32 v5, 1, v5
	s_delay_alu instid0(VALU_DEP_1) | instskip(SKIP_2) | instid1(VALU_DEP_1)
	v_add_lshl_u32 v5, v5, v6, 2
	v_add_co_ci_u32_e64 v6, s0, 0, v6, s0
	s_waitcnt lgkmcnt(0)
	v_dual_add_f32 v7, v7, v8 :: v_dual_lshlrev_b32 v6, 2, v6
	ds_bpermute_b32 v8, v5, v7
	s_waitcnt lgkmcnt(0)
	v_add_f32_e32 v7, v7, v8
	ds_bpermute_b32 v8, v6, v7
	v_cmpx_eq_u32_e32 0, v2
	s_cbranch_execz .LBB495_8
; %bb.7:
	v_lshrrev_b32_e32 v2, 3, v0
	s_waitcnt lgkmcnt(0)
	s_delay_alu instid0(VALU_DEP_1)
	v_dual_add_f32 v7, v7, v8 :: v_dual_and_b32 v2, 60, v2
	ds_store_b32 v2, v7
.LBB495_8:
	s_or_b32 exec_lo, exec_lo, s1
	v_mov_b32_e32 v2, 0
	s_mov_b32 s1, exec_lo
	s_waitcnt lgkmcnt(0)
	s_barrier
	buffer_gl0_inv
	v_cmpx_gt_u32_e32 16, v0
	s_cbranch_execz .LBB495_10
; %bb.9:
	ds_load_b32 v2, v1
.LBB495_10:
	s_or_b32 exec_lo, exec_lo, s1
	s_and_saveexec_b32 s0, vcc_lo
	s_cbranch_execz .LBB495_12
; %bb.11:
	s_waitcnt lgkmcnt(0)
	ds_bpermute_b32 v1, v4, v2
	s_waitcnt lgkmcnt(0)
	v_add_f32_e32 v1, v2, v1
	ds_bpermute_b32 v2, v3, v1
	s_waitcnt lgkmcnt(0)
	v_add_f32_e32 v1, v1, v2
	;; [unrolled: 3-line block ×4, first 2 shown]
.LBB495_12:
	s_or_b32 exec_lo, exec_lo, s0
	s_delay_alu instid0(SALU_CYCLE_1)
	s_mov_b32 s0, exec_lo
	v_cmpx_eq_u32_e32 0, v0
	s_cbranch_execz .LBB495_17
; %bb.13:
	s_cmp_lg_u32 s10, 1
	s_mov_b32 s15, -1
	s_cbranch_scc0 .LBB495_15
; %bb.14:
	s_mul_hi_u32 s1, s10, s8
	s_mul_i32 s0, s10, s8
	s_mov_b32 s15, 0
	s_lshl_b64 s[0:1], s[0:1], 2
	v_mov_b32_e32 v0, 0
	s_add_u32 s2, s4, s0
	s_addc_u32 s3, s5, s1
	s_lshl_b64 s[0:1], s[14:15], 2
	s_delay_alu instid0(SALU_CYCLE_1)
	s_add_u32 s0, s2, s0
	s_addc_u32 s1, s3, s1
	s_waitcnt lgkmcnt(0)
	global_store_b32 v0, v2, s[0:1]
.LBB495_15:
	s_and_not1_b32 vcc_lo, exec_lo, s15
	s_cbranch_vccnz .LBB495_17
; %bb.16:
	s_waitcnt lgkmcnt(0)
	v_cvt_f16_f32_e32 v0, v2
	s_lshl_b64 s[0:1], s[8:9], 1
	v_mov_b32_e32 v1, 0
	s_add_u32 s0, s6, s0
	s_addc_u32 s1, s7, s1
	global_store_b16 v1, v0, s[0:1]
.LBB495_17:
	s_nop 0
	s_sendmsg sendmsg(MSG_DEALLOC_VGPRS)
	s_endpgm
	.section	.rodata,"a",@progbits
	.p2align	6, 0x0
	.amdhsa_kernel _ZL24rocblas_dot_kernel_magsqIlLb0ELi512ELi8ELb1EDF16_PKPKDF16_fEviT5_lT_liPT6_PT4_
		.amdhsa_group_segment_fixed_size 128
		.amdhsa_private_segment_fixed_size 0
		.amdhsa_kernarg_size 320
		.amdhsa_user_sgpr_count 14
		.amdhsa_user_sgpr_dispatch_ptr 0
		.amdhsa_user_sgpr_queue_ptr 0
		.amdhsa_user_sgpr_kernarg_segment_ptr 1
		.amdhsa_user_sgpr_dispatch_id 0
		.amdhsa_user_sgpr_private_segment_size 0
		.amdhsa_wavefront_size32 1
		.amdhsa_uses_dynamic_stack 0
		.amdhsa_enable_private_segment 0
		.amdhsa_system_sgpr_workgroup_id_x 1
		.amdhsa_system_sgpr_workgroup_id_y 0
		.amdhsa_system_sgpr_workgroup_id_z 1
		.amdhsa_system_sgpr_workgroup_info 0
		.amdhsa_system_vgpr_workitem_id 0
		.amdhsa_next_free_vgpr 9
		.amdhsa_next_free_sgpr 20
		.amdhsa_reserve_vcc 1
		.amdhsa_float_round_mode_32 0
		.amdhsa_float_round_mode_16_64 0
		.amdhsa_float_denorm_mode_32 3
		.amdhsa_float_denorm_mode_16_64 3
		.amdhsa_dx10_clamp 1
		.amdhsa_ieee_mode 1
		.amdhsa_fp16_overflow 0
		.amdhsa_workgroup_processor_mode 1
		.amdhsa_memory_ordered 1
		.amdhsa_forward_progress 0
		.amdhsa_shared_vgpr_count 0
		.amdhsa_exception_fp_ieee_invalid_op 0
		.amdhsa_exception_fp_denorm_src 0
		.amdhsa_exception_fp_ieee_div_zero 0
		.amdhsa_exception_fp_ieee_overflow 0
		.amdhsa_exception_fp_ieee_underflow 0
		.amdhsa_exception_fp_ieee_inexact 0
		.amdhsa_exception_int_div_zero 0
	.end_amdhsa_kernel
	.section	.text._ZL24rocblas_dot_kernel_magsqIlLb0ELi512ELi8ELb1EDF16_PKPKDF16_fEviT5_lT_liPT6_PT4_,"axG",@progbits,_ZL24rocblas_dot_kernel_magsqIlLb0ELi512ELi8ELb1EDF16_PKPKDF16_fEviT5_lT_liPT6_PT4_,comdat
.Lfunc_end495:
	.size	_ZL24rocblas_dot_kernel_magsqIlLb0ELi512ELi8ELb1EDF16_PKPKDF16_fEviT5_lT_liPT6_PT4_, .Lfunc_end495-_ZL24rocblas_dot_kernel_magsqIlLb0ELi512ELi8ELb1EDF16_PKPKDF16_fEviT5_lT_liPT6_PT4_
                                        ; -- End function
	.section	.AMDGPU.csdata,"",@progbits
; Kernel info:
; codeLenInByte = 928
; NumSgprs: 22
; NumVgprs: 9
; ScratchSize: 0
; MemoryBound: 0
; FloatMode: 240
; IeeeMode: 1
; LDSByteSize: 128 bytes/workgroup (compile time only)
; SGPRBlocks: 2
; VGPRBlocks: 1
; NumSGPRsForWavesPerEU: 22
; NumVGPRsForWavesPerEU: 9
; Occupancy: 16
; WaveLimiterHint : 0
; COMPUTE_PGM_RSRC2:SCRATCH_EN: 0
; COMPUTE_PGM_RSRC2:USER_SGPR: 14
; COMPUTE_PGM_RSRC2:TRAP_HANDLER: 0
; COMPUTE_PGM_RSRC2:TGID_X_EN: 1
; COMPUTE_PGM_RSRC2:TGID_Y_EN: 0
; COMPUTE_PGM_RSRC2:TGID_Z_EN: 1
; COMPUTE_PGM_RSRC2:TIDIG_COMP_CNT: 0
	.section	.text._ZL28rocblas_dot_batched_4_kernelIiLi32ELi4ELb1EDF16_DF16_PKDF16_EviT5_lT_lS2_lS3_liPT4_,"axG",@progbits,_ZL28rocblas_dot_batched_4_kernelIiLi32ELi4ELb1EDF16_DF16_PKDF16_EviT5_lT_lS2_lS3_liPT4_,comdat
	.globl	_ZL28rocblas_dot_batched_4_kernelIiLi32ELi4ELb1EDF16_DF16_PKDF16_EviT5_lT_lS2_lS3_liPT4_ ; -- Begin function _ZL28rocblas_dot_batched_4_kernelIiLi32ELi4ELb1EDF16_DF16_PKDF16_EviT5_lT_lS2_lS3_liPT4_
	.p2align	8
	.type	_ZL28rocblas_dot_batched_4_kernelIiLi32ELi4ELb1EDF16_DF16_PKDF16_EviT5_lT_lS2_lS3_liPT4_,@function
_ZL28rocblas_dot_batched_4_kernelIiLi32ELi4ELb1EDF16_DF16_PKDF16_EviT5_lT_lS2_lS3_liPT4_: ; @_ZL28rocblas_dot_batched_4_kernelIiLi32ELi4ELb1EDF16_DF16_PKDF16_EviT5_lT_lS2_lS3_liPT4_
; %bb.0:
	s_load_b32 s2, s[0:1], 0x48
	v_bfe_u32 v1, v0, 10, 10
	s_delay_alu instid0(VALU_DEP_1) | instskip(SKIP_1) | instid1(VALU_DEP_1)
	v_lshl_add_u32 v1, s15, 2, v1
	s_waitcnt lgkmcnt(0)
	v_cmp_gt_u32_e32 vcc_lo, s2, v1
	s_and_saveexec_b32 s2, vcc_lo
	s_cbranch_execz .LBB496_7
; %bb.1:
	s_clause 0x1
	s_load_b32 s12, s[0:1], 0x0
	s_load_b64 s[2:3], s[0:1], 0x50
	v_mov_b32_e32 v2, 0
	v_and_b32_e32 v0, 0x3ff, v0
	s_mov_b32 s13, exec_lo
	s_delay_alu instid0(VALU_DEP_2) | instskip(SKIP_1) | instid1(VALU_DEP_2)
	v_mov_b32_e32 v7, v2
	s_waitcnt lgkmcnt(0)
	v_cmpx_gt_i32_e64 s12, v0
	s_cbranch_execz .LBB496_5
; %bb.2:
	s_clause 0x5
	s_load_b128 s[4:7], s[0:1], 0x20
	s_load_b64 s[14:15], s[0:1], 0x40
	s_load_b32 s16, s[0:1], 0x18
	s_load_b32 s18, s[0:1], 0x38
	s_load_b128 s[8:11], s[0:1], 0x8
	s_load_b64 s[0:1], s[0:1], 0x30
	s_waitcnt lgkmcnt(0)
	v_mad_u64_u32 v[3:4], null, s4, v1, 0
	v_mad_u64_u32 v[5:6], null, s14, v1, 0
	v_mad_i64_i32 v[8:9], null, s16, v0, 0
	s_ashr_i32 s17, s16, 31
	s_ashr_i32 s19, s18, 31
	s_delay_alu instid0(VALU_DEP_2) | instskip(SKIP_1) | instid1(VALU_DEP_3)
	v_mad_u64_u32 v[10:11], null, s5, v1, v[4:5]
	v_mov_b32_e32 v7, 0
	v_lshlrev_b64 v[8:9], 1, v[8:9]
	s_lshl_b64 s[4:5], s[10:11], 1
	s_delay_alu instid0(SALU_CYCLE_1) | instskip(SKIP_1) | instid1(VALU_DEP_3)
	s_add_u32 s8, s8, s4
	s_addc_u32 s9, s9, s5
	v_mov_b32_e32 v4, v10
	v_mad_u64_u32 v[11:12], null, s15, v1, v[6:7]
	v_mad_i64_i32 v[12:13], null, s18, v0, 0
	s_delay_alu instid0(VALU_DEP_3) | instskip(SKIP_3) | instid1(VALU_DEP_3)
	v_lshlrev_b64 v[3:4], 1, v[3:4]
	s_lshl_b64 s[0:1], s[0:1], 1
	s_lshl_b64 s[4:5], s[16:17], 6
	s_add_u32 s0, s6, s0
	v_mov_b32_e32 v6, v11
	s_addc_u32 s1, s7, s1
	s_delay_alu instid0(VALU_DEP_3) | instskip(SKIP_1) | instid1(VALU_DEP_3)
	v_lshlrev_b64 v[10:11], 1, v[12:13]
	v_add_co_u32 v3, vcc_lo, v8, v3
	v_lshlrev_b64 v[5:6], 1, v[5:6]
	v_add_co_ci_u32_e32 v4, vcc_lo, v9, v4, vcc_lo
	v_mov_b32_e32 v8, v0
	s_lshl_b64 s[6:7], s[18:19], 6
	s_delay_alu instid0(VALU_DEP_3) | instskip(NEXT) | instid1(VALU_DEP_4)
	v_add_co_u32 v5, vcc_lo, v10, v5
	v_add_co_ci_u32_e32 v6, vcc_lo, v11, v6, vcc_lo
	v_add_co_u32 v3, vcc_lo, s8, v3
	v_add_co_ci_u32_e32 v4, vcc_lo, s9, v4, vcc_lo
	s_delay_alu instid0(VALU_DEP_4) | instskip(NEXT) | instid1(VALU_DEP_4)
	v_add_co_u32 v5, vcc_lo, s0, v5
	v_add_co_ci_u32_e32 v6, vcc_lo, s1, v6, vcc_lo
	s_mov_b32 s1, 0
	.p2align	6
.LBB496_3:                              ; =>This Inner Loop Header: Depth=1
	global_load_u16 v9, v[3:4], off
	global_load_u16 v10, v[5:6], off
	v_add_nc_u32_e32 v8, 32, v8
	v_add_co_u32 v3, vcc_lo, v3, s4
	v_add_co_ci_u32_e32 v4, vcc_lo, s5, v4, vcc_lo
	v_add_co_u32 v5, vcc_lo, v5, s6
	s_delay_alu instid0(VALU_DEP_4) | instskip(SKIP_1) | instid1(VALU_DEP_2)
	v_cmp_le_i32_e64 s0, s12, v8
	v_add_co_ci_u32_e32 v6, vcc_lo, s7, v6, vcc_lo
	s_or_b32 s1, s0, s1
	s_waitcnt vmcnt(0)
	v_fmac_f16_e32 v7, v9, v10
	s_and_not1_b32 exec_lo, exec_lo, s1
	s_cbranch_execnz .LBB496_3
; %bb.4:
	s_or_b32 exec_lo, exec_lo, s1
.LBB496_5:
	s_delay_alu instid0(SALU_CYCLE_1)
	s_or_b32 exec_lo, exec_lo, s13
	v_mbcnt_lo_u32_b32 v4, -1, 0
	v_and_b32_e32 v5, 0xffff, v7
	s_barrier
	buffer_gl0_inv
	v_cmp_gt_u32_e32 vcc_lo, 16, v4
	v_cndmask_b32_e64 v3, 0, 1, vcc_lo
	v_cmp_gt_u32_e32 vcc_lo, 24, v4
	s_delay_alu instid0(VALU_DEP_2) | instskip(NEXT) | instid1(VALU_DEP_1)
	v_lshlrev_b32_e32 v3, 4, v3
	v_add_lshl_u32 v3, v3, v4, 2
	ds_bpermute_b32 v3, v3, v5
	v_cndmask_b32_e64 v5, 0, 1, vcc_lo
	v_cmp_gt_u32_e32 vcc_lo, 28, v4
	s_delay_alu instid0(VALU_DEP_2) | instskip(NEXT) | instid1(VALU_DEP_1)
	v_lshlrev_b32_e32 v5, 3, v5
	v_add_lshl_u32 v5, v5, v4, 2
	s_waitcnt lgkmcnt(0)
	v_add_f16_e32 v6, v7, v3
	s_delay_alu instid0(VALU_DEP_1) | instskip(NEXT) | instid1(VALU_DEP_1)
	v_and_b32_e32 v7, 0xffff, v6
	v_and_or_b32 v3, 0xffff0000, v3, v7
	ds_bpermute_b32 v3, v5, v3
	v_cndmask_b32_e64 v5, 0, 1, vcc_lo
	v_cmp_gt_u32_e32 vcc_lo, 30, v4
	s_delay_alu instid0(VALU_DEP_2) | instskip(NEXT) | instid1(VALU_DEP_1)
	v_lshlrev_b32_e32 v5, 2, v5
	v_add_lshl_u32 v5, v5, v4, 2
	s_waitcnt lgkmcnt(0)
	v_add_f16_e32 v6, v6, v3
	s_delay_alu instid0(VALU_DEP_1) | instskip(NEXT) | instid1(VALU_DEP_1)
	v_and_b32_e32 v7, 0xffff, v6
	v_and_or_b32 v3, 0xffff0000, v3, v7
	ds_bpermute_b32 v3, v5, v3
	v_cndmask_b32_e64 v5, 0, 1, vcc_lo
	v_cmp_ne_u32_e32 vcc_lo, 31, v4
	s_delay_alu instid0(VALU_DEP_2) | instskip(NEXT) | instid1(VALU_DEP_1)
	v_lshlrev_b32_e32 v5, 1, v5
	v_add_lshl_u32 v5, v5, v4, 2
	v_add_co_ci_u32_e32 v4, vcc_lo, 0, v4, vcc_lo
	v_cmp_eq_u32_e32 vcc_lo, 0, v0
	s_delay_alu instid0(VALU_DEP_2) | instskip(SKIP_2) | instid1(VALU_DEP_1)
	v_lshlrev_b32_e32 v4, 2, v4
	s_waitcnt lgkmcnt(0)
	v_add_f16_e32 v6, v6, v3
	v_and_b32_e32 v7, 0xffff, v6
	s_delay_alu instid0(VALU_DEP_1) | instskip(SKIP_3) | instid1(VALU_DEP_1)
	v_and_or_b32 v3, 0xffff0000, v3, v7
	ds_bpermute_b32 v5, v5, v3
	s_waitcnt lgkmcnt(0)
	v_add_f16_e32 v3, v6, v5
	v_and_b32_e32 v6, 0xffff, v3
	s_delay_alu instid0(VALU_DEP_1)
	v_and_or_b32 v5, 0xffff0000, v5, v6
	ds_bpermute_b32 v4, v4, v5
	s_and_b32 exec_lo, exec_lo, vcc_lo
	s_cbranch_execz .LBB496_7
; %bb.6:
	v_lshlrev_b64 v[0:1], 1, v[1:2]
	s_waitcnt lgkmcnt(0)
	v_add_f16_e32 v2, v3, v4
	s_delay_alu instid0(VALU_DEP_2) | instskip(NEXT) | instid1(VALU_DEP_3)
	v_add_co_u32 v0, vcc_lo, s2, v0
	v_add_co_ci_u32_e32 v1, vcc_lo, s3, v1, vcc_lo
	global_store_b16 v[0:1], v2, off
.LBB496_7:
	s_nop 0
	s_sendmsg sendmsg(MSG_DEALLOC_VGPRS)
	s_endpgm
	.section	.rodata,"a",@progbits
	.p2align	6, 0x0
	.amdhsa_kernel _ZL28rocblas_dot_batched_4_kernelIiLi32ELi4ELb1EDF16_DF16_PKDF16_EviT5_lT_lS2_lS3_liPT4_
		.amdhsa_group_segment_fixed_size 0
		.amdhsa_private_segment_fixed_size 0
		.amdhsa_kernarg_size 88
		.amdhsa_user_sgpr_count 15
		.amdhsa_user_sgpr_dispatch_ptr 0
		.amdhsa_user_sgpr_queue_ptr 0
		.amdhsa_user_sgpr_kernarg_segment_ptr 1
		.amdhsa_user_sgpr_dispatch_id 0
		.amdhsa_user_sgpr_private_segment_size 0
		.amdhsa_wavefront_size32 1
		.amdhsa_uses_dynamic_stack 0
		.amdhsa_enable_private_segment 0
		.amdhsa_system_sgpr_workgroup_id_x 1
		.amdhsa_system_sgpr_workgroup_id_y 0
		.amdhsa_system_sgpr_workgroup_id_z 0
		.amdhsa_system_sgpr_workgroup_info 0
		.amdhsa_system_vgpr_workitem_id 1
		.amdhsa_next_free_vgpr 14
		.amdhsa_next_free_sgpr 20
		.amdhsa_reserve_vcc 1
		.amdhsa_float_round_mode_32 0
		.amdhsa_float_round_mode_16_64 0
		.amdhsa_float_denorm_mode_32 3
		.amdhsa_float_denorm_mode_16_64 3
		.amdhsa_dx10_clamp 1
		.amdhsa_ieee_mode 1
		.amdhsa_fp16_overflow 0
		.amdhsa_workgroup_processor_mode 1
		.amdhsa_memory_ordered 1
		.amdhsa_forward_progress 0
		.amdhsa_shared_vgpr_count 0
		.amdhsa_exception_fp_ieee_invalid_op 0
		.amdhsa_exception_fp_denorm_src 0
		.amdhsa_exception_fp_ieee_div_zero 0
		.amdhsa_exception_fp_ieee_overflow 0
		.amdhsa_exception_fp_ieee_underflow 0
		.amdhsa_exception_fp_ieee_inexact 0
		.amdhsa_exception_int_div_zero 0
	.end_amdhsa_kernel
	.section	.text._ZL28rocblas_dot_batched_4_kernelIiLi32ELi4ELb1EDF16_DF16_PKDF16_EviT5_lT_lS2_lS3_liPT4_,"axG",@progbits,_ZL28rocblas_dot_batched_4_kernelIiLi32ELi4ELb1EDF16_DF16_PKDF16_EviT5_lT_lS2_lS3_liPT4_,comdat
.Lfunc_end496:
	.size	_ZL28rocblas_dot_batched_4_kernelIiLi32ELi4ELb1EDF16_DF16_PKDF16_EviT5_lT_lS2_lS3_liPT4_, .Lfunc_end496-_ZL28rocblas_dot_batched_4_kernelIiLi32ELi4ELb1EDF16_DF16_PKDF16_EviT5_lT_lS2_lS3_liPT4_
                                        ; -- End function
	.section	.AMDGPU.csdata,"",@progbits
; Kernel info:
; codeLenInByte = 848
; NumSgprs: 22
; NumVgprs: 14
; ScratchSize: 0
; MemoryBound: 0
; FloatMode: 240
; IeeeMode: 1
; LDSByteSize: 0 bytes/workgroup (compile time only)
; SGPRBlocks: 2
; VGPRBlocks: 1
; NumSGPRsForWavesPerEU: 22
; NumVGPRsForWavesPerEU: 14
; Occupancy: 16
; WaveLimiterHint : 0
; COMPUTE_PGM_RSRC2:SCRATCH_EN: 0
; COMPUTE_PGM_RSRC2:USER_SGPR: 15
; COMPUTE_PGM_RSRC2:TRAP_HANDLER: 0
; COMPUTE_PGM_RSRC2:TGID_X_EN: 1
; COMPUTE_PGM_RSRC2:TGID_Y_EN: 0
; COMPUTE_PGM_RSRC2:TGID_Z_EN: 0
; COMPUTE_PGM_RSRC2:TIDIG_COMP_CNT: 1
	.section	.text._ZL28rocblas_dot_batched_4_kernelIiLi64ELi4ELb1EDF16_DF16_PKDF16_EviT5_lT_lS2_lS3_liPT4_,"axG",@progbits,_ZL28rocblas_dot_batched_4_kernelIiLi64ELi4ELb1EDF16_DF16_PKDF16_EviT5_lT_lS2_lS3_liPT4_,comdat
	.globl	_ZL28rocblas_dot_batched_4_kernelIiLi64ELi4ELb1EDF16_DF16_PKDF16_EviT5_lT_lS2_lS3_liPT4_ ; -- Begin function _ZL28rocblas_dot_batched_4_kernelIiLi64ELi4ELb1EDF16_DF16_PKDF16_EviT5_lT_lS2_lS3_liPT4_
	.p2align	8
	.type	_ZL28rocblas_dot_batched_4_kernelIiLi64ELi4ELb1EDF16_DF16_PKDF16_EviT5_lT_lS2_lS3_liPT4_,@function
_ZL28rocblas_dot_batched_4_kernelIiLi64ELi4ELb1EDF16_DF16_PKDF16_EviT5_lT_lS2_lS3_liPT4_: ; @_ZL28rocblas_dot_batched_4_kernelIiLi64ELi4ELb1EDF16_DF16_PKDF16_EviT5_lT_lS2_lS3_liPT4_
; %bb.0:
	s_load_b32 s2, s[0:1], 0x48
	v_bfe_u32 v1, v0, 10, 10
	s_delay_alu instid0(VALU_DEP_1) | instskip(SKIP_1) | instid1(VALU_DEP_1)
	v_lshl_add_u32 v1, s15, 2, v1
	s_waitcnt lgkmcnt(0)
	v_cmp_gt_u32_e32 vcc_lo, s2, v1
	s_and_saveexec_b32 s2, vcc_lo
	s_cbranch_execz .LBB497_7
; %bb.1:
	s_clause 0x1
	s_load_b32 s12, s[0:1], 0x0
	s_load_b64 s[2:3], s[0:1], 0x50
	v_mov_b32_e32 v2, 0
	v_and_b32_e32 v0, 0x3ff, v0
	s_mov_b32 s13, exec_lo
	s_delay_alu instid0(VALU_DEP_2) | instskip(SKIP_1) | instid1(VALU_DEP_2)
	v_mov_b32_e32 v7, v2
	s_waitcnt lgkmcnt(0)
	v_cmpx_gt_i32_e64 s12, v0
	s_cbranch_execz .LBB497_5
; %bb.2:
	s_clause 0x5
	s_load_b128 s[4:7], s[0:1], 0x20
	s_load_b64 s[14:15], s[0:1], 0x40
	s_load_b32 s16, s[0:1], 0x18
	s_load_b32 s18, s[0:1], 0x38
	s_load_b128 s[8:11], s[0:1], 0x8
	s_load_b64 s[0:1], s[0:1], 0x30
	s_waitcnt lgkmcnt(0)
	v_mad_u64_u32 v[3:4], null, s4, v1, 0
	v_mad_u64_u32 v[5:6], null, s14, v1, 0
	v_mad_i64_i32 v[8:9], null, s16, v0, 0
	s_ashr_i32 s17, s16, 31
	s_ashr_i32 s19, s18, 31
	s_delay_alu instid0(VALU_DEP_2) | instskip(SKIP_1) | instid1(VALU_DEP_3)
	v_mad_u64_u32 v[10:11], null, s5, v1, v[4:5]
	v_mov_b32_e32 v7, 0
	v_lshlrev_b64 v[8:9], 1, v[8:9]
	s_lshl_b64 s[4:5], s[10:11], 1
	s_delay_alu instid0(SALU_CYCLE_1) | instskip(SKIP_1) | instid1(VALU_DEP_3)
	s_add_u32 s8, s8, s4
	s_addc_u32 s9, s9, s5
	v_mov_b32_e32 v4, v10
	v_mad_u64_u32 v[11:12], null, s15, v1, v[6:7]
	v_mad_i64_i32 v[12:13], null, s18, v0, 0
	s_delay_alu instid0(VALU_DEP_3) | instskip(SKIP_3) | instid1(VALU_DEP_3)
	v_lshlrev_b64 v[3:4], 1, v[3:4]
	s_lshl_b64 s[0:1], s[0:1], 1
	s_lshl_b64 s[4:5], s[16:17], 7
	s_add_u32 s0, s6, s0
	v_mov_b32_e32 v6, v11
	s_addc_u32 s1, s7, s1
	s_delay_alu instid0(VALU_DEP_3) | instskip(SKIP_1) | instid1(VALU_DEP_3)
	v_lshlrev_b64 v[10:11], 1, v[12:13]
	v_add_co_u32 v3, vcc_lo, v8, v3
	v_lshlrev_b64 v[5:6], 1, v[5:6]
	v_add_co_ci_u32_e32 v4, vcc_lo, v9, v4, vcc_lo
	v_mov_b32_e32 v8, v0
	s_lshl_b64 s[6:7], s[18:19], 7
	s_delay_alu instid0(VALU_DEP_3) | instskip(NEXT) | instid1(VALU_DEP_4)
	v_add_co_u32 v5, vcc_lo, v10, v5
	v_add_co_ci_u32_e32 v6, vcc_lo, v11, v6, vcc_lo
	v_add_co_u32 v3, vcc_lo, s8, v3
	v_add_co_ci_u32_e32 v4, vcc_lo, s9, v4, vcc_lo
	s_delay_alu instid0(VALU_DEP_4) | instskip(NEXT) | instid1(VALU_DEP_4)
	v_add_co_u32 v5, vcc_lo, s0, v5
	v_add_co_ci_u32_e32 v6, vcc_lo, s1, v6, vcc_lo
	s_mov_b32 s1, 0
	.p2align	6
.LBB497_3:                              ; =>This Inner Loop Header: Depth=1
	global_load_u16 v9, v[3:4], off
	global_load_u16 v10, v[5:6], off
	v_add_nc_u32_e32 v8, 64, v8
	v_add_co_u32 v3, vcc_lo, v3, s4
	v_add_co_ci_u32_e32 v4, vcc_lo, s5, v4, vcc_lo
	v_add_co_u32 v5, vcc_lo, v5, s6
	s_delay_alu instid0(VALU_DEP_4) | instskip(SKIP_1) | instid1(VALU_DEP_2)
	v_cmp_le_i32_e64 s0, s12, v8
	v_add_co_ci_u32_e32 v6, vcc_lo, s7, v6, vcc_lo
	s_or_b32 s1, s0, s1
	s_waitcnt vmcnt(0)
	v_fmac_f16_e32 v7, v9, v10
	s_and_not1_b32 exec_lo, exec_lo, s1
	s_cbranch_execnz .LBB497_3
; %bb.4:
	s_or_b32 exec_lo, exec_lo, s1
.LBB497_5:
	s_delay_alu instid0(SALU_CYCLE_1)
	s_or_b32 exec_lo, exec_lo, s13
	v_mbcnt_lo_u32_b32 v4, -1, 0
	v_and_b32_e32 v3, 0xffff, v7
	s_barrier
	buffer_gl0_inv
	v_lshlrev_b32_e32 v5, 2, v4
	v_cmp_gt_u32_e32 vcc_lo, 16, v4
	ds_bpermute_b32 v3, v5, v3
	v_cndmask_b32_e64 v5, 0, 1, vcc_lo
	v_cmp_gt_u32_e32 vcc_lo, 24, v4
	s_delay_alu instid0(VALU_DEP_2) | instskip(NEXT) | instid1(VALU_DEP_1)
	v_lshlrev_b32_e32 v5, 4, v5
	v_add_lshl_u32 v5, v5, v4, 2
	s_waitcnt lgkmcnt(0)
	v_add_f16_e32 v6, v7, v3
	s_delay_alu instid0(VALU_DEP_1) | instskip(NEXT) | instid1(VALU_DEP_1)
	v_and_b32_e32 v7, 0xffff, v6
	v_and_or_b32 v3, 0xffff0000, v3, v7
	ds_bpermute_b32 v3, v5, v3
	v_cndmask_b32_e64 v5, 0, 1, vcc_lo
	v_cmp_gt_u32_e32 vcc_lo, 28, v4
	s_delay_alu instid0(VALU_DEP_2) | instskip(NEXT) | instid1(VALU_DEP_1)
	v_lshlrev_b32_e32 v5, 3, v5
	v_add_lshl_u32 v5, v5, v4, 2
	s_waitcnt lgkmcnt(0)
	v_add_f16_e32 v6, v6, v3
	s_delay_alu instid0(VALU_DEP_1) | instskip(NEXT) | instid1(VALU_DEP_1)
	v_and_b32_e32 v7, 0xffff, v6
	v_and_or_b32 v3, 0xffff0000, v3, v7
	;; [unrolled: 11-line block ×3, first 2 shown]
	ds_bpermute_b32 v3, v5, v3
	v_cndmask_b32_e64 v5, 0, 1, vcc_lo
	v_cmp_ne_u32_e32 vcc_lo, 31, v4
	s_delay_alu instid0(VALU_DEP_2) | instskip(NEXT) | instid1(VALU_DEP_1)
	v_lshlrev_b32_e32 v5, 1, v5
	v_add_lshl_u32 v5, v5, v4, 2
	v_add_co_ci_u32_e32 v4, vcc_lo, 0, v4, vcc_lo
	v_cmp_eq_u32_e32 vcc_lo, 0, v0
	s_delay_alu instid0(VALU_DEP_2) | instskip(SKIP_2) | instid1(VALU_DEP_1)
	v_lshlrev_b32_e32 v4, 2, v4
	s_waitcnt lgkmcnt(0)
	v_add_f16_e32 v6, v6, v3
	v_and_b32_e32 v7, 0xffff, v6
	s_delay_alu instid0(VALU_DEP_1) | instskip(SKIP_3) | instid1(VALU_DEP_1)
	v_and_or_b32 v3, 0xffff0000, v3, v7
	ds_bpermute_b32 v5, v5, v3
	s_waitcnt lgkmcnt(0)
	v_add_f16_e32 v3, v6, v5
	v_and_b32_e32 v6, 0xffff, v3
	s_delay_alu instid0(VALU_DEP_1)
	v_and_or_b32 v5, 0xffff0000, v5, v6
	ds_bpermute_b32 v4, v4, v5
	s_and_b32 exec_lo, exec_lo, vcc_lo
	s_cbranch_execz .LBB497_7
; %bb.6:
	v_lshlrev_b64 v[0:1], 1, v[1:2]
	s_waitcnt lgkmcnt(0)
	v_add_f16_e32 v2, v3, v4
	s_delay_alu instid0(VALU_DEP_2) | instskip(NEXT) | instid1(VALU_DEP_3)
	v_add_co_u32 v0, vcc_lo, s2, v0
	v_add_co_ci_u32_e32 v1, vcc_lo, s3, v1, vcc_lo
	global_store_b16 v[0:1], v2, off
.LBB497_7:
	s_nop 0
	s_sendmsg sendmsg(MSG_DEALLOC_VGPRS)
	s_endpgm
	.section	.rodata,"a",@progbits
	.p2align	6, 0x0
	.amdhsa_kernel _ZL28rocblas_dot_batched_4_kernelIiLi64ELi4ELb1EDF16_DF16_PKDF16_EviT5_lT_lS2_lS3_liPT4_
		.amdhsa_group_segment_fixed_size 0
		.amdhsa_private_segment_fixed_size 0
		.amdhsa_kernarg_size 88
		.amdhsa_user_sgpr_count 15
		.amdhsa_user_sgpr_dispatch_ptr 0
		.amdhsa_user_sgpr_queue_ptr 0
		.amdhsa_user_sgpr_kernarg_segment_ptr 1
		.amdhsa_user_sgpr_dispatch_id 0
		.amdhsa_user_sgpr_private_segment_size 0
		.amdhsa_wavefront_size32 1
		.amdhsa_uses_dynamic_stack 0
		.amdhsa_enable_private_segment 0
		.amdhsa_system_sgpr_workgroup_id_x 1
		.amdhsa_system_sgpr_workgroup_id_y 0
		.amdhsa_system_sgpr_workgroup_id_z 0
		.amdhsa_system_sgpr_workgroup_info 0
		.amdhsa_system_vgpr_workitem_id 1
		.amdhsa_next_free_vgpr 14
		.amdhsa_next_free_sgpr 20
		.amdhsa_reserve_vcc 1
		.amdhsa_float_round_mode_32 0
		.amdhsa_float_round_mode_16_64 0
		.amdhsa_float_denorm_mode_32 3
		.amdhsa_float_denorm_mode_16_64 3
		.amdhsa_dx10_clamp 1
		.amdhsa_ieee_mode 1
		.amdhsa_fp16_overflow 0
		.amdhsa_workgroup_processor_mode 1
		.amdhsa_memory_ordered 1
		.amdhsa_forward_progress 0
		.amdhsa_shared_vgpr_count 0
		.amdhsa_exception_fp_ieee_invalid_op 0
		.amdhsa_exception_fp_denorm_src 0
		.amdhsa_exception_fp_ieee_div_zero 0
		.amdhsa_exception_fp_ieee_overflow 0
		.amdhsa_exception_fp_ieee_underflow 0
		.amdhsa_exception_fp_ieee_inexact 0
		.amdhsa_exception_int_div_zero 0
	.end_amdhsa_kernel
	.section	.text._ZL28rocblas_dot_batched_4_kernelIiLi64ELi4ELb1EDF16_DF16_PKDF16_EviT5_lT_lS2_lS3_liPT4_,"axG",@progbits,_ZL28rocblas_dot_batched_4_kernelIiLi64ELi4ELb1EDF16_DF16_PKDF16_EviT5_lT_lS2_lS3_liPT4_,comdat
.Lfunc_end497:
	.size	_ZL28rocblas_dot_batched_4_kernelIiLi64ELi4ELb1EDF16_DF16_PKDF16_EviT5_lT_lS2_lS3_liPT4_, .Lfunc_end497-_ZL28rocblas_dot_batched_4_kernelIiLi64ELi4ELb1EDF16_DF16_PKDF16_EviT5_lT_lS2_lS3_liPT4_
                                        ; -- End function
	.section	.AMDGPU.csdata,"",@progbits
; Kernel info:
; codeLenInByte = 892
; NumSgprs: 22
; NumVgprs: 14
; ScratchSize: 0
; MemoryBound: 0
; FloatMode: 240
; IeeeMode: 1
; LDSByteSize: 0 bytes/workgroup (compile time only)
; SGPRBlocks: 2
; VGPRBlocks: 1
; NumSGPRsForWavesPerEU: 22
; NumVGPRsForWavesPerEU: 14
; Occupancy: 16
; WaveLimiterHint : 0
; COMPUTE_PGM_RSRC2:SCRATCH_EN: 0
; COMPUTE_PGM_RSRC2:USER_SGPR: 15
; COMPUTE_PGM_RSRC2:TRAP_HANDLER: 0
; COMPUTE_PGM_RSRC2:TGID_X_EN: 1
; COMPUTE_PGM_RSRC2:TGID_Y_EN: 0
; COMPUTE_PGM_RSRC2:TGID_Z_EN: 0
; COMPUTE_PGM_RSRC2:TIDIG_COMP_CNT: 1
	.section	.text._ZL26rocblas_dot_kernel_inc1by2ILb1ELi1024ELi32ELb1EDF16_PKDF16_DF16_EviT4_llS2_lliPT5_PT3_,"axG",@progbits,_ZL26rocblas_dot_kernel_inc1by2ILb1ELi1024ELi32ELb1EDF16_PKDF16_DF16_EviT4_llS2_lliPT5_PT3_,comdat
	.globl	_ZL26rocblas_dot_kernel_inc1by2ILb1ELi1024ELi32ELb1EDF16_PKDF16_DF16_EviT4_llS2_lliPT5_PT3_ ; -- Begin function _ZL26rocblas_dot_kernel_inc1by2ILb1ELi1024ELi32ELb1EDF16_PKDF16_DF16_EviT4_llS2_lliPT5_PT3_
	.p2align	8
	.type	_ZL26rocblas_dot_kernel_inc1by2ILb1ELi1024ELi32ELb1EDF16_PKDF16_DF16_EviT4_llS2_lliPT5_PT3_,@function
_ZL26rocblas_dot_kernel_inc1by2ILb1ELi1024ELi32ELb1EDF16_PKDF16_DF16_EviT4_llS2_lliPT5_PT3_: ; @_ZL26rocblas_dot_kernel_inc1by2ILb1ELi1024ELi32ELb1EDF16_PKDF16_DF16_EviT4_llS2_lliPT5_PT3_
; %bb.0:
	s_mov_b32 s2, s15
	s_clause 0x5
	s_load_b128 s[8:11], s[0:1], 0x10
	s_load_b128 s[4:7], s[0:1], 0x28
	s_load_b32 s17, s[0:1], 0x0
	s_load_b64 s[12:13], s[0:1], 0x48
	s_load_b64 s[14:15], s[0:1], 0x8
	;; [unrolled: 1-line block ×3, first 2 shown]
	v_dual_mov_b32 v5, 0 :: v_dual_lshlrev_b32 v6, 1, v0
	s_mov_b32 s3, 0
	s_waitcnt lgkmcnt(0)
	s_mul_i32 s11, s2, s11
	s_mul_hi_u32 s18, s2, s10
	s_mul_i32 s7, s2, s7
	s_mul_hi_u32 s19, s2, s6
	s_add_i32 s16, s17, -1
	s_add_i32 s11, s18, s11
	s_mul_i32 s10, s2, s10
	s_add_i32 s7, s19, s7
	s_mul_i32 s6, s2, s6
	s_mov_b32 s18, exec_lo
	v_cmpx_gt_i32_e64 s16, v6
	s_cbranch_execz .LBB498_4
; %bb.1:
	s_lshl_b64 s[22:23], s[4:5], 1
	s_lshl_b64 s[20:21], s[6:7], 1
	v_lshlrev_b32_e32 v3, 2, v0
	s_add_u32 s19, s0, s22
	s_addc_u32 s22, s1, s23
	s_add_u32 s19, s19, s20
	s_addc_u32 s20, s22, s21
	v_add_co_u32 v1, s19, s19, v3
	s_delay_alu instid0(VALU_DEP_1)
	v_add_co_ci_u32_e64 v2, null, s20, 0, s19
	s_lshl_b64 s[20:21], s[8:9], 1
	s_lshl_b64 s[22:23], s[10:11], 1
	s_add_u32 s19, s14, s20
	s_addc_u32 s20, s15, s21
	s_add_u32 s19, s19, s22
	s_addc_u32 s20, s20, s23
	v_add_co_u32 v3, s19, s19, v3
	v_mov_b32_e32 v5, 0
	v_add_co_ci_u32_e64 v4, null, s20, 0, s19
	s_mov_b32 s19, s3
	s_mov_b32 s20, s3
	.p2align	6
.LBB498_2:                              ; =>This Inner Loop Header: Depth=1
	global_load_b32 v7, v[1:2], off
	global_load_b32 v8, v[3:4], off
	v_add_co_u32 v1, vcc_lo, 0x1000, v1
	v_add_nc_u32_e32 v6, 0x800, v6
	v_add_co_ci_u32_e32 v2, vcc_lo, 0, v2, vcc_lo
	v_add_co_u32 v3, vcc_lo, 0x1000, v3
	v_add_co_ci_u32_e32 v4, vcc_lo, 0, v4, vcc_lo
	s_add_i32 s21, s20, 1
	v_cmp_le_i32_e32 vcc_lo, s16, v6
	s_cmp_gt_u32 s20, 30
	s_cselect_b32 s20, -1, 0
	s_delay_alu instid0(SALU_CYCLE_1) | instskip(NEXT) | instid1(SALU_CYCLE_1)
	s_or_b32 s20, s20, vcc_lo
	s_and_b32 s20, exec_lo, s20
	s_delay_alu instid0(SALU_CYCLE_1) | instskip(SKIP_3) | instid1(VALU_DEP_1)
	s_or_b32 s19, s20, s19
	s_mov_b32 s20, s21
	s_waitcnt vmcnt(0)
	v_pk_mul_f16 v7, v7, v8
	v_add_f16_e32 v5, v5, v7
	v_lshrrev_b32_e32 v7, 16, v7
	s_delay_alu instid0(VALU_DEP_1)
	v_add_f16_e32 v5, v5, v7
	s_and_not1_b32 exec_lo, exec_lo, s19
	s_cbranch_execnz .LBB498_2
; %bb.3:
	s_or_b32 exec_lo, exec_lo, s19
.LBB498_4:
	s_delay_alu instid0(SALU_CYCLE_1) | instskip(SKIP_3) | instid1(SALU_CYCLE_1)
	s_or_b32 exec_lo, exec_lo, s18
	v_cmp_eq_u32_e32 vcc_lo, s16, v6
	s_bitcmp1_b32 s17, 0
	s_cselect_b32 s17, -1, 0
	s_and_b32 s17, s17, vcc_lo
	s_delay_alu instid0(SALU_CYCLE_1)
	s_and_saveexec_b32 s18, s17
	s_cbranch_execz .LBB498_6
; %bb.5:
	s_lshl_b64 s[10:11], s[10:11], 1
	s_mov_b32 s17, 0
	s_add_u32 s10, s14, s10
	s_addc_u32 s11, s15, s11
	s_lshl_b64 s[8:9], s[8:9], 1
	v_mov_b32_e32 v1, 0
	s_add_u32 s8, s10, s8
	s_addc_u32 s9, s11, s9
	s_lshl_b64 s[6:7], s[6:7], 1
	s_delay_alu instid0(SALU_CYCLE_1) | instskip(SKIP_2) | instid1(SALU_CYCLE_1)
	s_add_u32 s6, s0, s6
	s_addc_u32 s7, s1, s7
	s_lshl_b64 s[0:1], s[4:5], 1
	s_add_u32 s6, s6, s0
	s_addc_u32 s7, s7, s1
	s_lshl_b64 s[0:1], s[16:17], 1
	s_delay_alu instid0(SALU_CYCLE_1)
	s_add_u32 s4, s8, s0
	s_addc_u32 s5, s9, s1
	s_add_u32 s0, s6, s0
	s_addc_u32 s1, s7, s1
	s_clause 0x1
	global_load_u16 v2, v1, s[0:1]
	global_load_u16 v1, v1, s[4:5]
	s_waitcnt vmcnt(0)
	v_fmac_f16_e32 v5, v2, v1
.LBB498_6:
	s_or_b32 exec_lo, exec_lo, s18
	v_and_b32_e32 v6, 31, v0
	v_cmp_gt_u32_e32 vcc_lo, 32, v0
	s_delay_alu instid0(VALU_DEP_2)
	v_lshlrev_b32_e32 v1, 1, v6
	s_and_saveexec_b32 s0, vcc_lo
	s_cbranch_execz .LBB498_8
; %bb.7:
	v_mov_b32_e32 v2, 0
	ds_store_b16 v1, v2
.LBB498_8:
	s_or_b32 exec_lo, exec_lo, s0
	v_mbcnt_lo_u32_b32 v7, -1, 0
	v_and_b32_e32 v3, 0xffff, v5
	s_mov_b32 s1, exec_lo
	s_waitcnt lgkmcnt(0)
	s_barrier
	v_cmp_gt_u32_e64 s0, 16, v7
	buffer_gl0_inv
	v_cndmask_b32_e64 v2, 0, 1, s0
	v_cmp_gt_u32_e64 s0, 24, v7
	s_delay_alu instid0(VALU_DEP_2) | instskip(NEXT) | instid1(VALU_DEP_1)
	v_lshlrev_b32_e32 v2, 4, v2
	v_add_lshl_u32 v2, v2, v7, 2
	ds_bpermute_b32 v4, v2, v3
	v_cndmask_b32_e64 v3, 0, 1, s0
	v_cmp_gt_u32_e64 s0, 28, v7
	s_delay_alu instid0(VALU_DEP_2) | instskip(NEXT) | instid1(VALU_DEP_1)
	v_lshlrev_b32_e32 v3, 3, v3
	v_add_lshl_u32 v3, v3, v7, 2
	s_waitcnt lgkmcnt(0)
	v_add_f16_e32 v5, v5, v4
	s_delay_alu instid0(VALU_DEP_1) | instskip(NEXT) | instid1(VALU_DEP_1)
	v_and_b32_e32 v8, 0xffff, v5
	v_and_or_b32 v4, 0xffff0000, v4, v8
	ds_bpermute_b32 v8, v3, v4
	v_cndmask_b32_e64 v4, 0, 1, s0
	v_cmp_gt_u32_e64 s0, 30, v7
	s_delay_alu instid0(VALU_DEP_2) | instskip(NEXT) | instid1(VALU_DEP_1)
	v_lshlrev_b32_e32 v4, 2, v4
	v_add_lshl_u32 v4, v4, v7, 2
	s_waitcnt lgkmcnt(0)
	v_add_f16_e32 v5, v5, v8
	s_delay_alu instid0(VALU_DEP_1) | instskip(NEXT) | instid1(VALU_DEP_1)
	v_and_b32_e32 v9, 0xffff, v5
	v_and_or_b32 v8, 0xffff0000, v8, v9
	v_cndmask_b32_e64 v9, 0, 1, s0
	v_cmp_ne_u32_e64 s0, 31, v7
	ds_bpermute_b32 v8, v4, v8
	s_waitcnt lgkmcnt(0)
	v_add_f16_e32 v10, v5, v8
	v_lshlrev_b32_e32 v5, 1, v9
	s_delay_alu instid0(VALU_DEP_2) | instskip(NEXT) | instid1(VALU_DEP_2)
	v_and_b32_e32 v9, 0xffff, v10
	v_add_lshl_u32 v5, v5, v7, 2
	v_add_co_ci_u32_e64 v7, s0, 0, v7, s0
	s_delay_alu instid0(VALU_DEP_3) | instskip(NEXT) | instid1(VALU_DEP_2)
	v_and_or_b32 v8, 0xffff0000, v8, v9
	v_lshlrev_b32_e32 v7, 2, v7
	ds_bpermute_b32 v9, v5, v8
	s_waitcnt lgkmcnt(0)
	v_add_f16_e32 v8, v10, v9
	s_delay_alu instid0(VALU_DEP_1) | instskip(NEXT) | instid1(VALU_DEP_1)
	v_and_b32_e32 v10, 0xffff, v8
	v_and_or_b32 v9, 0xffff0000, v9, v10
	ds_bpermute_b32 v9, v7, v9
	v_cmpx_eq_u32_e32 0, v6
	s_cbranch_execz .LBB498_10
; %bb.9:
	v_lshrrev_b32_e32 v6, 4, v0
	s_waitcnt lgkmcnt(0)
	v_add_f16_e32 v8, v8, v9
	s_delay_alu instid0(VALU_DEP_2)
	v_and_b32_e32 v6, 62, v6
	ds_store_b16 v6, v8
.LBB498_10:
	s_or_b32 exec_lo, exec_lo, s1
	v_mov_b32_e32 v6, 0
	s_waitcnt lgkmcnt(0)
	s_barrier
	buffer_gl0_inv
	s_and_saveexec_b32 s0, vcc_lo
	s_cbranch_execz .LBB498_12
; %bb.11:
	ds_load_u16 v6, v1
.LBB498_12:
	s_or_b32 exec_lo, exec_lo, s0
	s_and_saveexec_b32 s0, vcc_lo
	s_cbranch_execz .LBB498_14
; %bb.13:
	s_waitcnt lgkmcnt(0)
	v_and_b32_e32 v1, 0xffff, v6
	ds_bpermute_b32 v1, v2, v1
	s_waitcnt lgkmcnt(0)
	v_add_f16_e32 v2, v6, v1
	s_delay_alu instid0(VALU_DEP_1) | instskip(NEXT) | instid1(VALU_DEP_1)
	v_and_b32_e32 v6, 0xffff, v2
	v_and_or_b32 v1, 0xffff0000, v1, v6
	ds_bpermute_b32 v1, v3, v1
	s_waitcnt lgkmcnt(0)
	v_add_f16_e32 v2, v2, v1
	s_delay_alu instid0(VALU_DEP_1) | instskip(NEXT) | instid1(VALU_DEP_1)
	v_and_b32_e32 v3, 0xffff, v2
	v_and_or_b32 v1, 0xffff0000, v1, v3
	;; [unrolled: 6-line block ×4, first 2 shown]
	ds_bpermute_b32 v1, v7, v1
	s_waitcnt lgkmcnt(0)
	v_add_f16_e32 v6, v2, v1
.LBB498_14:
	s_or_b32 exec_lo, exec_lo, s0
	s_delay_alu instid0(SALU_CYCLE_1)
	s_mov_b32 s0, exec_lo
	v_cmpx_eq_u32_e32 0, v0
	s_cbranch_execz .LBB498_16
; %bb.15:
	s_lshl_b64 s[0:1], s[2:3], 1
	v_mov_b32_e32 v0, 0
	s_add_u32 s0, s12, s0
	s_addc_u32 s1, s13, s1
	s_waitcnt lgkmcnt(0)
	global_store_b16 v0, v6, s[0:1]
.LBB498_16:
	s_nop 0
	s_sendmsg sendmsg(MSG_DEALLOC_VGPRS)
	s_endpgm
	.section	.rodata,"a",@progbits
	.p2align	6, 0x0
	.amdhsa_kernel _ZL26rocblas_dot_kernel_inc1by2ILb1ELi1024ELi32ELb1EDF16_PKDF16_DF16_EviT4_llS2_lliPT5_PT3_
		.amdhsa_group_segment_fixed_size 64
		.amdhsa_private_segment_fixed_size 0
		.amdhsa_kernarg_size 80
		.amdhsa_user_sgpr_count 14
		.amdhsa_user_sgpr_dispatch_ptr 0
		.amdhsa_user_sgpr_queue_ptr 0
		.amdhsa_user_sgpr_kernarg_segment_ptr 1
		.amdhsa_user_sgpr_dispatch_id 0
		.amdhsa_user_sgpr_private_segment_size 0
		.amdhsa_wavefront_size32 1
		.amdhsa_uses_dynamic_stack 0
		.amdhsa_enable_private_segment 0
		.amdhsa_system_sgpr_workgroup_id_x 1
		.amdhsa_system_sgpr_workgroup_id_y 0
		.amdhsa_system_sgpr_workgroup_id_z 1
		.amdhsa_system_sgpr_workgroup_info 0
		.amdhsa_system_vgpr_workitem_id 0
		.amdhsa_next_free_vgpr 11
		.amdhsa_next_free_sgpr 24
		.amdhsa_reserve_vcc 1
		.amdhsa_float_round_mode_32 0
		.amdhsa_float_round_mode_16_64 0
		.amdhsa_float_denorm_mode_32 3
		.amdhsa_float_denorm_mode_16_64 3
		.amdhsa_dx10_clamp 1
		.amdhsa_ieee_mode 1
		.amdhsa_fp16_overflow 0
		.amdhsa_workgroup_processor_mode 1
		.amdhsa_memory_ordered 1
		.amdhsa_forward_progress 0
		.amdhsa_shared_vgpr_count 0
		.amdhsa_exception_fp_ieee_invalid_op 0
		.amdhsa_exception_fp_denorm_src 0
		.amdhsa_exception_fp_ieee_div_zero 0
		.amdhsa_exception_fp_ieee_overflow 0
		.amdhsa_exception_fp_ieee_underflow 0
		.amdhsa_exception_fp_ieee_inexact 0
		.amdhsa_exception_int_div_zero 0
	.end_amdhsa_kernel
	.section	.text._ZL26rocblas_dot_kernel_inc1by2ILb1ELi1024ELi32ELb1EDF16_PKDF16_DF16_EviT4_llS2_lliPT5_PT3_,"axG",@progbits,_ZL26rocblas_dot_kernel_inc1by2ILb1ELi1024ELi32ELb1EDF16_PKDF16_DF16_EviT4_llS2_lliPT5_PT3_,comdat
.Lfunc_end498:
	.size	_ZL26rocblas_dot_kernel_inc1by2ILb1ELi1024ELi32ELb1EDF16_PKDF16_DF16_EviT4_llS2_lliPT5_PT3_, .Lfunc_end498-_ZL26rocblas_dot_kernel_inc1by2ILb1ELi1024ELi32ELb1EDF16_PKDF16_DF16_EviT4_llS2_lliPT5_PT3_
                                        ; -- End function
	.section	.AMDGPU.csdata,"",@progbits
; Kernel info:
; codeLenInByte = 1240
; NumSgprs: 26
; NumVgprs: 11
; ScratchSize: 0
; MemoryBound: 0
; FloatMode: 240
; IeeeMode: 1
; LDSByteSize: 64 bytes/workgroup (compile time only)
; SGPRBlocks: 3
; VGPRBlocks: 1
; NumSGPRsForWavesPerEU: 26
; NumVGPRsForWavesPerEU: 11
; Occupancy: 16
; WaveLimiterHint : 0
; COMPUTE_PGM_RSRC2:SCRATCH_EN: 0
; COMPUTE_PGM_RSRC2:USER_SGPR: 14
; COMPUTE_PGM_RSRC2:TRAP_HANDLER: 0
; COMPUTE_PGM_RSRC2:TGID_X_EN: 1
; COMPUTE_PGM_RSRC2:TGID_Y_EN: 0
; COMPUTE_PGM_RSRC2:TGID_Z_EN: 1
; COMPUTE_PGM_RSRC2:TIDIG_COMP_CNT: 0
	.section	.text._ZL18rocblas_dot_kernelIiLb1ELi1024ELi32ELb1EDF16_PKDF16_DF16_EviT5_lT_lS2_lS3_liPT6_PT4_,"axG",@progbits,_ZL18rocblas_dot_kernelIiLb1ELi1024ELi32ELb1EDF16_PKDF16_DF16_EviT5_lT_lS2_lS3_liPT6_PT4_,comdat
	.globl	_ZL18rocblas_dot_kernelIiLb1ELi1024ELi32ELb1EDF16_PKDF16_DF16_EviT5_lT_lS2_lS3_liPT6_PT4_ ; -- Begin function _ZL18rocblas_dot_kernelIiLb1ELi1024ELi32ELb1EDF16_PKDF16_DF16_EviT5_lT_lS2_lS3_liPT6_PT4_
	.p2align	8
	.type	_ZL18rocblas_dot_kernelIiLb1ELi1024ELi32ELb1EDF16_PKDF16_DF16_EviT5_lT_lS2_lS3_liPT6_PT4_,@function
_ZL18rocblas_dot_kernelIiLb1ELi1024ELi32ELb1EDF16_PKDF16_DF16_EviT5_lT_lS2_lS3_liPT6_PT4_: ; @_ZL18rocblas_dot_kernelIiLb1ELi1024ELi32ELb1EDF16_PKDF16_DF16_EviT5_lT_lS2_lS3_liPT6_PT4_
; %bb.0:
	s_clause 0x1
	s_load_b32 s10, s[0:1], 0x0
	s_load_b64 s[2:3], s[0:1], 0x58
	v_mov_b32_e32 v5, 0
	s_mov_b32 s8, s15
	s_mov_b32 s9, 0
	s_mov_b32 s11, exec_lo
	s_waitcnt lgkmcnt(0)
	v_cmpx_gt_i32_e64 s10, v0
	s_cbranch_execz .LBB499_4
; %bb.1:
	s_clause 0x6
	s_load_b32 s20, s[0:1], 0x60
	s_load_b128 s[4:7], s[0:1], 0x20
	s_load_b32 s22, s[0:1], 0x18
	s_load_b128 s[12:15], s[0:1], 0x8
	s_load_b64 s[16:17], s[0:1], 0x40
	s_load_b32 s23, s[0:1], 0x38
	s_load_b64 s[18:19], s[0:1], 0x30
	v_mov_b32_e32 v5, 0
	s_waitcnt lgkmcnt(0)
	s_lshl_b32 s1, s20, 10
	s_mul_i32 s0, s5, s8
	v_mad_i64_i32 v[1:2], null, s22, v0, 0
	s_mul_hi_u32 s5, s4, s8
	s_mul_i32 s4, s4, s8
	v_mad_i64_i32 v[3:4], null, s23, v0, 0
	s_add_i32 s5, s5, s0
	s_lshl_b64 s[14:15], s[14:15], 1
	s_delay_alu instid0(VALU_DEP_2)
	v_lshlrev_b64 v[1:2], 1, v[1:2]
	s_lshl_b64 s[4:5], s[4:5], 1
	s_add_u32 s0, s12, s14
	s_addc_u32 s12, s13, s15
	s_mul_i32 s17, s17, s8
	s_mul_hi_u32 s24, s16, s8
	s_add_u32 s0, s0, s4
	s_mul_i32 s16, s16, s8
	s_mul_hi_i32 s21, s22, s1
	s_mul_i32 s20, s22, s1
	s_addc_u32 s12, s12, s5
	s_add_i32 s17, s24, s17
	v_add_co_u32 v1, vcc_lo, s0, v1
	s_lshl_b64 s[14:15], s[18:19], 1
	v_lshlrev_b64 v[3:4], 1, v[3:4]
	s_lshl_b64 s[4:5], s[20:21], 1
	v_add_co_ci_u32_e32 v2, vcc_lo, s12, v2, vcc_lo
	s_lshl_b64 s[12:13], s[16:17], 1
	s_add_u32 s0, s6, s14
	s_addc_u32 s6, s7, s15
	s_add_u32 s0, s0, s12
	s_addc_u32 s6, s6, s13
	v_add_co_u32 v3, vcc_lo, s0, v3
	v_or_b32_e32 v6, s1, v0
	v_add_co_ci_u32_e32 v4, vcc_lo, s6, v4, vcc_lo
	s_mul_hi_i32 s7, s23, s1
	s_mul_i32 s6, s23, s1
	s_mov_b32 s12, s9
	s_lshl_b64 s[6:7], s[6:7], 1
	s_mov_b32 s13, s9
	.p2align	6
.LBB499_2:                              ; =>This Inner Loop Header: Depth=1
	global_load_u16 v7, v[3:4], off
	global_load_u16 v8, v[1:2], off
	v_add_co_u32 v1, s0, v1, s4
	s_delay_alu instid0(VALU_DEP_1)
	v_add_co_ci_u32_e64 v2, s0, s5, v2, s0
	s_add_i32 s14, s13, 1
	v_cmp_le_i32_e32 vcc_lo, s10, v6
	v_add_co_u32 v3, s0, v3, s6
	s_cmp_gt_u32 s13, 30
	v_add_co_ci_u32_e64 v4, s0, s7, v4, s0
	s_cselect_b32 s0, -1, 0
	v_add_nc_u32_e32 v6, s1, v6
	s_or_b32 s0, s0, vcc_lo
	s_mov_b32 s13, s14
	s_and_b32 s0, exec_lo, s0
	s_delay_alu instid0(SALU_CYCLE_1)
	s_or_b32 s12, s0, s12
	s_waitcnt vmcnt(0)
	v_fmac_f16_e32 v5, v7, v8
	s_and_not1_b32 exec_lo, exec_lo, s12
	s_cbranch_execnz .LBB499_2
; %bb.3:
	s_or_b32 exec_lo, exec_lo, s12
.LBB499_4:
	s_delay_alu instid0(SALU_CYCLE_1) | instskip(SKIP_2) | instid1(VALU_DEP_2)
	s_or_b32 exec_lo, exec_lo, s11
	v_and_b32_e32 v6, 31, v0
	v_cmp_gt_u32_e32 vcc_lo, 32, v0
	v_lshlrev_b32_e32 v1, 1, v6
	s_and_saveexec_b32 s0, vcc_lo
	s_cbranch_execz .LBB499_6
; %bb.5:
	v_mov_b32_e32 v2, 0
	ds_store_b16 v1, v2
.LBB499_6:
	s_or_b32 exec_lo, exec_lo, s0
	v_mbcnt_lo_u32_b32 v7, -1, 0
	v_and_b32_e32 v3, 0xffff, v5
	s_mov_b32 s1, exec_lo
	s_waitcnt lgkmcnt(0)
	s_barrier
	v_cmp_gt_u32_e64 s0, 16, v7
	buffer_gl0_inv
	v_cndmask_b32_e64 v2, 0, 1, s0
	v_cmp_gt_u32_e64 s0, 24, v7
	s_delay_alu instid0(VALU_DEP_2) | instskip(NEXT) | instid1(VALU_DEP_1)
	v_lshlrev_b32_e32 v2, 4, v2
	v_add_lshl_u32 v2, v2, v7, 2
	ds_bpermute_b32 v4, v2, v3
	v_cndmask_b32_e64 v3, 0, 1, s0
	v_cmp_gt_u32_e64 s0, 28, v7
	s_delay_alu instid0(VALU_DEP_2) | instskip(NEXT) | instid1(VALU_DEP_1)
	v_lshlrev_b32_e32 v3, 3, v3
	v_add_lshl_u32 v3, v3, v7, 2
	s_waitcnt lgkmcnt(0)
	v_add_f16_e32 v5, v5, v4
	s_delay_alu instid0(VALU_DEP_1) | instskip(NEXT) | instid1(VALU_DEP_1)
	v_and_b32_e32 v8, 0xffff, v5
	v_and_or_b32 v4, 0xffff0000, v4, v8
	ds_bpermute_b32 v8, v3, v4
	v_cndmask_b32_e64 v4, 0, 1, s0
	v_cmp_gt_u32_e64 s0, 30, v7
	s_delay_alu instid0(VALU_DEP_2) | instskip(NEXT) | instid1(VALU_DEP_1)
	v_lshlrev_b32_e32 v4, 2, v4
	v_add_lshl_u32 v4, v4, v7, 2
	s_waitcnt lgkmcnt(0)
	v_add_f16_e32 v5, v5, v8
	s_delay_alu instid0(VALU_DEP_1) | instskip(NEXT) | instid1(VALU_DEP_1)
	v_and_b32_e32 v9, 0xffff, v5
	v_and_or_b32 v8, 0xffff0000, v8, v9
	v_cndmask_b32_e64 v9, 0, 1, s0
	v_cmp_ne_u32_e64 s0, 31, v7
	ds_bpermute_b32 v8, v4, v8
	s_waitcnt lgkmcnt(0)
	v_add_f16_e32 v10, v5, v8
	v_lshlrev_b32_e32 v5, 1, v9
	s_delay_alu instid0(VALU_DEP_2) | instskip(NEXT) | instid1(VALU_DEP_2)
	v_and_b32_e32 v9, 0xffff, v10
	v_add_lshl_u32 v5, v5, v7, 2
	v_add_co_ci_u32_e64 v7, s0, 0, v7, s0
	s_delay_alu instid0(VALU_DEP_3) | instskip(NEXT) | instid1(VALU_DEP_2)
	v_and_or_b32 v8, 0xffff0000, v8, v9
	v_lshlrev_b32_e32 v7, 2, v7
	ds_bpermute_b32 v9, v5, v8
	s_waitcnt lgkmcnt(0)
	v_add_f16_e32 v8, v10, v9
	s_delay_alu instid0(VALU_DEP_1) | instskip(NEXT) | instid1(VALU_DEP_1)
	v_and_b32_e32 v10, 0xffff, v8
	v_and_or_b32 v9, 0xffff0000, v9, v10
	ds_bpermute_b32 v9, v7, v9
	v_cmpx_eq_u32_e32 0, v6
	s_cbranch_execz .LBB499_8
; %bb.7:
	v_lshrrev_b32_e32 v6, 4, v0
	s_waitcnt lgkmcnt(0)
	v_add_f16_e32 v8, v8, v9
	s_delay_alu instid0(VALU_DEP_2)
	v_and_b32_e32 v6, 62, v6
	ds_store_b16 v6, v8
.LBB499_8:
	s_or_b32 exec_lo, exec_lo, s1
	v_mov_b32_e32 v6, 0
	s_waitcnt lgkmcnt(0)
	s_barrier
	buffer_gl0_inv
	s_and_saveexec_b32 s0, vcc_lo
	s_cbranch_execz .LBB499_10
; %bb.9:
	ds_load_u16 v6, v1
.LBB499_10:
	s_or_b32 exec_lo, exec_lo, s0
	s_and_saveexec_b32 s0, vcc_lo
	s_cbranch_execz .LBB499_12
; %bb.11:
	s_waitcnt lgkmcnt(0)
	v_and_b32_e32 v1, 0xffff, v6
	ds_bpermute_b32 v1, v2, v1
	s_waitcnt lgkmcnt(0)
	v_add_f16_e32 v2, v6, v1
	s_delay_alu instid0(VALU_DEP_1) | instskip(NEXT) | instid1(VALU_DEP_1)
	v_and_b32_e32 v6, 0xffff, v2
	v_and_or_b32 v1, 0xffff0000, v1, v6
	ds_bpermute_b32 v1, v3, v1
	s_waitcnt lgkmcnt(0)
	v_add_f16_e32 v2, v2, v1
	s_delay_alu instid0(VALU_DEP_1) | instskip(NEXT) | instid1(VALU_DEP_1)
	v_and_b32_e32 v3, 0xffff, v2
	v_and_or_b32 v1, 0xffff0000, v1, v3
	;; [unrolled: 6-line block ×4, first 2 shown]
	ds_bpermute_b32 v1, v7, v1
	s_waitcnt lgkmcnt(0)
	v_add_f16_e32 v6, v2, v1
.LBB499_12:
	s_or_b32 exec_lo, exec_lo, s0
	s_delay_alu instid0(SALU_CYCLE_1)
	s_mov_b32 s0, exec_lo
	v_cmpx_eq_u32_e32 0, v0
	s_cbranch_execz .LBB499_14
; %bb.13:
	s_lshl_b64 s[0:1], s[8:9], 1
	v_mov_b32_e32 v0, 0
	s_add_u32 s0, s2, s0
	s_addc_u32 s1, s3, s1
	s_waitcnt lgkmcnt(0)
	global_store_b16 v0, v6, s[0:1]
.LBB499_14:
	s_nop 0
	s_sendmsg sendmsg(MSG_DEALLOC_VGPRS)
	s_endpgm
	.section	.rodata,"a",@progbits
	.p2align	6, 0x0
	.amdhsa_kernel _ZL18rocblas_dot_kernelIiLb1ELi1024ELi32ELb1EDF16_PKDF16_DF16_EviT5_lT_lS2_lS3_liPT6_PT4_
		.amdhsa_group_segment_fixed_size 64
		.amdhsa_private_segment_fixed_size 0
		.amdhsa_kernarg_size 352
		.amdhsa_user_sgpr_count 14
		.amdhsa_user_sgpr_dispatch_ptr 0
		.amdhsa_user_sgpr_queue_ptr 0
		.amdhsa_user_sgpr_kernarg_segment_ptr 1
		.amdhsa_user_sgpr_dispatch_id 0
		.amdhsa_user_sgpr_private_segment_size 0
		.amdhsa_wavefront_size32 1
		.amdhsa_uses_dynamic_stack 0
		.amdhsa_enable_private_segment 0
		.amdhsa_system_sgpr_workgroup_id_x 1
		.amdhsa_system_sgpr_workgroup_id_y 0
		.amdhsa_system_sgpr_workgroup_id_z 1
		.amdhsa_system_sgpr_workgroup_info 0
		.amdhsa_system_vgpr_workitem_id 0
		.amdhsa_next_free_vgpr 11
		.amdhsa_next_free_sgpr 25
		.amdhsa_reserve_vcc 1
		.amdhsa_float_round_mode_32 0
		.amdhsa_float_round_mode_16_64 0
		.amdhsa_float_denorm_mode_32 3
		.amdhsa_float_denorm_mode_16_64 3
		.amdhsa_dx10_clamp 1
		.amdhsa_ieee_mode 1
		.amdhsa_fp16_overflow 0
		.amdhsa_workgroup_processor_mode 1
		.amdhsa_memory_ordered 1
		.amdhsa_forward_progress 0
		.amdhsa_shared_vgpr_count 0
		.amdhsa_exception_fp_ieee_invalid_op 0
		.amdhsa_exception_fp_denorm_src 0
		.amdhsa_exception_fp_ieee_div_zero 0
		.amdhsa_exception_fp_ieee_overflow 0
		.amdhsa_exception_fp_ieee_underflow 0
		.amdhsa_exception_fp_ieee_inexact 0
		.amdhsa_exception_int_div_zero 0
	.end_amdhsa_kernel
	.section	.text._ZL18rocblas_dot_kernelIiLb1ELi1024ELi32ELb1EDF16_PKDF16_DF16_EviT5_lT_lS2_lS3_liPT6_PT4_,"axG",@progbits,_ZL18rocblas_dot_kernelIiLb1ELi1024ELi32ELb1EDF16_PKDF16_DF16_EviT5_lT_lS2_lS3_liPT6_PT4_,comdat
.Lfunc_end499:
	.size	_ZL18rocblas_dot_kernelIiLb1ELi1024ELi32ELb1EDF16_PKDF16_DF16_EviT5_lT_lS2_lS3_liPT6_PT4_, .Lfunc_end499-_ZL18rocblas_dot_kernelIiLb1ELi1024ELi32ELb1EDF16_PKDF16_DF16_EviT5_lT_lS2_lS3_liPT6_PT4_
                                        ; -- End function
	.section	.AMDGPU.csdata,"",@progbits
; Kernel info:
; codeLenInByte = 1144
; NumSgprs: 27
; NumVgprs: 11
; ScratchSize: 0
; MemoryBound: 0
; FloatMode: 240
; IeeeMode: 1
; LDSByteSize: 64 bytes/workgroup (compile time only)
; SGPRBlocks: 3
; VGPRBlocks: 1
; NumSGPRsForWavesPerEU: 27
; NumVGPRsForWavesPerEU: 11
; Occupancy: 16
; WaveLimiterHint : 0
; COMPUTE_PGM_RSRC2:SCRATCH_EN: 0
; COMPUTE_PGM_RSRC2:USER_SGPR: 14
; COMPUTE_PGM_RSRC2:TRAP_HANDLER: 0
; COMPUTE_PGM_RSRC2:TGID_X_EN: 1
; COMPUTE_PGM_RSRC2:TGID_Y_EN: 0
; COMPUTE_PGM_RSRC2:TGID_Z_EN: 1
; COMPUTE_PGM_RSRC2:TIDIG_COMP_CNT: 0
	.section	.text._ZL24rocblas_dot_kernel_magsqIiLb1ELi1024ELi32ELb1EDF16_PKDF16_DF16_EviT5_lT_liPT6_PT4_,"axG",@progbits,_ZL24rocblas_dot_kernel_magsqIiLb1ELi1024ELi32ELb1EDF16_PKDF16_DF16_EviT5_lT_liPT6_PT4_,comdat
	.globl	_ZL24rocblas_dot_kernel_magsqIiLb1ELi1024ELi32ELb1EDF16_PKDF16_DF16_EviT5_lT_liPT6_PT4_ ; -- Begin function _ZL24rocblas_dot_kernel_magsqIiLb1ELi1024ELi32ELb1EDF16_PKDF16_DF16_EviT5_lT_liPT6_PT4_
	.p2align	8
	.type	_ZL24rocblas_dot_kernel_magsqIiLb1ELi1024ELi32ELb1EDF16_PKDF16_DF16_EviT5_lT_liPT6_PT4_,@function
_ZL24rocblas_dot_kernel_magsqIiLb1ELi1024ELi32ELb1EDF16_PKDF16_DF16_EviT5_lT_liPT6_PT4_: ; @_ZL24rocblas_dot_kernel_magsqIiLb1ELi1024ELi32ELb1EDF16_PKDF16_DF16_EviT5_lT_liPT6_PT4_
; %bb.0:
	s_clause 0x1
	s_load_b32 s8, s[0:1], 0x0
	s_load_b64 s[2:3], s[0:1], 0x38
	v_mov_b32_e32 v3, 0
	s_mov_b32 s4, s15
	s_mov_b32 s5, 0
	s_mov_b32 s9, exec_lo
	s_waitcnt lgkmcnt(0)
	v_cmpx_gt_i32_e64 s8, v0
	s_cbranch_execz .LBB500_4
; %bb.1:
	s_clause 0x3
	s_load_b32 s10, s[0:1], 0x40
	s_load_b64 s[6:7], s[0:1], 0x20
	s_load_b32 s16, s[0:1], 0x18
	s_load_b128 s[12:15], s[0:1], 0x8
	v_mov_b32_e32 v3, 0
	s_waitcnt lgkmcnt(0)
	s_lshl_b32 s1, s10, 10
	s_mul_i32 s0, s7, s4
	v_mad_i64_i32 v[1:2], null, s16, v0, 0
	s_mul_hi_u32 s7, s6, s4
	s_mul_i32 s6, s6, s4
	s_add_i32 s7, s7, s0
	s_lshl_b64 s[10:11], s[14:15], 1
	s_lshl_b64 s[6:7], s[6:7], 1
	s_add_u32 s0, s12, s10
	s_delay_alu instid0(VALU_DEP_1)
	v_lshlrev_b64 v[1:2], 1, v[1:2]
	s_addc_u32 s10, s13, s11
	s_add_u32 s0, s0, s6
	s_addc_u32 s6, s10, s7
	v_or_b32_e32 v4, s1, v0
	s_mul_hi_i32 s15, s16, s1
	v_add_co_u32 v1, vcc_lo, s0, v1
	v_add_co_ci_u32_e32 v2, vcc_lo, s6, v2, vcc_lo
	s_mul_i32 s14, s16, s1
	s_mov_b32 s10, s5
	s_lshl_b64 s[6:7], s[14:15], 1
	s_mov_b32 s11, s5
	.p2align	6
.LBB500_2:                              ; =>This Inner Loop Header: Depth=1
	global_load_u16 v5, v[1:2], off
	s_add_i32 s12, s11, 1
	v_cmp_le_i32_e32 vcc_lo, s8, v4
	v_add_co_u32 v1, s0, v1, s6
	s_cmp_gt_u32 s11, 30
	v_add_co_ci_u32_e64 v2, s0, s7, v2, s0
	s_cselect_b32 s0, -1, 0
	v_add_nc_u32_e32 v4, s1, v4
	s_or_b32 s0, s0, vcc_lo
	s_mov_b32 s11, s12
	s_and_b32 s0, exec_lo, s0
	s_delay_alu instid0(SALU_CYCLE_1)
	s_or_b32 s10, s0, s10
	s_waitcnt vmcnt(0)
	v_fmac_f16_e32 v3, v5, v5
	s_and_not1_b32 exec_lo, exec_lo, s10
	s_cbranch_execnz .LBB500_2
; %bb.3:
	s_or_b32 exec_lo, exec_lo, s10
.LBB500_4:
	s_delay_alu instid0(SALU_CYCLE_1) | instskip(SKIP_2) | instid1(VALU_DEP_2)
	s_or_b32 exec_lo, exec_lo, s9
	v_and_b32_e32 v5, 31, v0
	v_cmp_gt_u32_e32 vcc_lo, 32, v0
	v_lshlrev_b32_e32 v1, 1, v5
	s_and_saveexec_b32 s0, vcc_lo
	s_cbranch_execz .LBB500_6
; %bb.5:
	v_mov_b32_e32 v2, 0
	ds_store_b16 v1, v2
.LBB500_6:
	s_or_b32 exec_lo, exec_lo, s0
	v_mbcnt_lo_u32_b32 v7, -1, 0
	v_and_b32_e32 v4, 0xffff, v3
	s_mov_b32 s1, exec_lo
	s_waitcnt lgkmcnt(0)
	s_barrier
	v_cmp_gt_u32_e64 s0, 16, v7
	buffer_gl0_inv
	v_cndmask_b32_e64 v2, 0, 1, s0
	v_cmp_gt_u32_e64 s0, 24, v7
	s_delay_alu instid0(VALU_DEP_2) | instskip(NEXT) | instid1(VALU_DEP_2)
	v_lshlrev_b32_e32 v2, 4, v2
	v_cndmask_b32_e64 v6, 0, 1, s0
	v_cmp_gt_u32_e64 s0, 28, v7
	s_delay_alu instid0(VALU_DEP_3) | instskip(SKIP_4) | instid1(VALU_DEP_2)
	v_add_lshl_u32 v2, v2, v7, 2
	ds_bpermute_b32 v4, v2, v4
	s_waitcnt lgkmcnt(0)
	v_add_f16_e32 v8, v3, v4
	v_lshlrev_b32_e32 v3, 3, v6
	v_and_b32_e32 v6, 0xffff, v8
	s_delay_alu instid0(VALU_DEP_2) | instskip(NEXT) | instid1(VALU_DEP_2)
	v_add_lshl_u32 v3, v3, v7, 2
	v_and_or_b32 v4, 0xffff0000, v4, v6
	ds_bpermute_b32 v6, v3, v4
	v_cndmask_b32_e64 v4, 0, 1, s0
	v_cmp_gt_u32_e64 s0, 30, v7
	s_delay_alu instid0(VALU_DEP_2) | instskip(NEXT) | instid1(VALU_DEP_1)
	v_lshlrev_b32_e32 v4, 2, v4
	v_add_lshl_u32 v4, v4, v7, 2
	s_waitcnt lgkmcnt(0)
	v_add_f16_e32 v8, v8, v6
	s_delay_alu instid0(VALU_DEP_1) | instskip(NEXT) | instid1(VALU_DEP_1)
	v_and_b32_e32 v9, 0xffff, v8
	v_and_or_b32 v6, 0xffff0000, v6, v9
	ds_bpermute_b32 v9, v4, v6
	v_cndmask_b32_e64 v6, 0, 1, s0
	v_cmp_ne_u32_e64 s0, 31, v7
	s_delay_alu instid0(VALU_DEP_2) | instskip(NEXT) | instid1(VALU_DEP_1)
	v_lshlrev_b32_e32 v6, 1, v6
	v_add_lshl_u32 v6, v6, v7, 2
	s_delay_alu instid0(VALU_DEP_3) | instskip(NEXT) | instid1(VALU_DEP_1)
	v_add_co_ci_u32_e64 v7, s0, 0, v7, s0
	v_lshlrev_b32_e32 v7, 2, v7
	s_waitcnt lgkmcnt(0)
	v_add_f16_e32 v8, v8, v9
	s_delay_alu instid0(VALU_DEP_1) | instskip(NEXT) | instid1(VALU_DEP_1)
	v_and_b32_e32 v10, 0xffff, v8
	v_and_or_b32 v9, 0xffff0000, v9, v10
	ds_bpermute_b32 v9, v6, v9
	s_waitcnt lgkmcnt(0)
	v_add_f16_e32 v8, v8, v9
	s_delay_alu instid0(VALU_DEP_1) | instskip(NEXT) | instid1(VALU_DEP_1)
	v_and_b32_e32 v10, 0xffff, v8
	v_and_or_b32 v9, 0xffff0000, v9, v10
	ds_bpermute_b32 v9, v7, v9
	v_cmpx_eq_u32_e32 0, v5
	s_cbranch_execz .LBB500_8
; %bb.7:
	v_lshrrev_b32_e32 v5, 4, v0
	s_waitcnt lgkmcnt(0)
	v_add_f16_e32 v8, v8, v9
	s_delay_alu instid0(VALU_DEP_2)
	v_and_b32_e32 v5, 62, v5
	ds_store_b16 v5, v8
.LBB500_8:
	s_or_b32 exec_lo, exec_lo, s1
	v_mov_b32_e32 v5, 0
	s_waitcnt lgkmcnt(0)
	s_barrier
	buffer_gl0_inv
	s_and_saveexec_b32 s0, vcc_lo
	s_cbranch_execz .LBB500_10
; %bb.9:
	ds_load_u16 v5, v1
.LBB500_10:
	s_or_b32 exec_lo, exec_lo, s0
	s_and_saveexec_b32 s0, vcc_lo
	s_cbranch_execz .LBB500_12
; %bb.11:
	s_waitcnt lgkmcnt(0)
	v_and_b32_e32 v1, 0xffff, v5
	ds_bpermute_b32 v1, v2, v1
	s_waitcnt lgkmcnt(0)
	v_add_f16_e32 v2, v5, v1
	s_delay_alu instid0(VALU_DEP_1) | instskip(NEXT) | instid1(VALU_DEP_1)
	v_and_b32_e32 v5, 0xffff, v2
	v_and_or_b32 v1, 0xffff0000, v1, v5
	ds_bpermute_b32 v1, v3, v1
	s_waitcnt lgkmcnt(0)
	v_add_f16_e32 v2, v2, v1
	s_delay_alu instid0(VALU_DEP_1) | instskip(NEXT) | instid1(VALU_DEP_1)
	v_and_b32_e32 v3, 0xffff, v2
	v_and_or_b32 v1, 0xffff0000, v1, v3
	;; [unrolled: 6-line block ×4, first 2 shown]
	ds_bpermute_b32 v1, v7, v1
	s_waitcnt lgkmcnt(0)
	v_add_f16_e32 v5, v2, v1
.LBB500_12:
	s_or_b32 exec_lo, exec_lo, s0
	s_delay_alu instid0(SALU_CYCLE_1)
	s_mov_b32 s0, exec_lo
	v_cmpx_eq_u32_e32 0, v0
	s_cbranch_execz .LBB500_14
; %bb.13:
	s_lshl_b64 s[0:1], s[4:5], 1
	v_mov_b32_e32 v0, 0
	s_add_u32 s0, s2, s0
	s_addc_u32 s1, s3, s1
	s_waitcnt lgkmcnt(0)
	global_store_b16 v0, v5, s[0:1]
.LBB500_14:
	s_nop 0
	s_sendmsg sendmsg(MSG_DEALLOC_VGPRS)
	s_endpgm
	.section	.rodata,"a",@progbits
	.p2align	6, 0x0
	.amdhsa_kernel _ZL24rocblas_dot_kernel_magsqIiLb1ELi1024ELi32ELb1EDF16_PKDF16_DF16_EviT5_lT_liPT6_PT4_
		.amdhsa_group_segment_fixed_size 64
		.amdhsa_private_segment_fixed_size 0
		.amdhsa_kernarg_size 320
		.amdhsa_user_sgpr_count 14
		.amdhsa_user_sgpr_dispatch_ptr 0
		.amdhsa_user_sgpr_queue_ptr 0
		.amdhsa_user_sgpr_kernarg_segment_ptr 1
		.amdhsa_user_sgpr_dispatch_id 0
		.amdhsa_user_sgpr_private_segment_size 0
		.amdhsa_wavefront_size32 1
		.amdhsa_uses_dynamic_stack 0
		.amdhsa_enable_private_segment 0
		.amdhsa_system_sgpr_workgroup_id_x 1
		.amdhsa_system_sgpr_workgroup_id_y 0
		.amdhsa_system_sgpr_workgroup_id_z 1
		.amdhsa_system_sgpr_workgroup_info 0
		.amdhsa_system_vgpr_workitem_id 0
		.amdhsa_next_free_vgpr 11
		.amdhsa_next_free_sgpr 17
		.amdhsa_reserve_vcc 1
		.amdhsa_float_round_mode_32 0
		.amdhsa_float_round_mode_16_64 0
		.amdhsa_float_denorm_mode_32 3
		.amdhsa_float_denorm_mode_16_64 3
		.amdhsa_dx10_clamp 1
		.amdhsa_ieee_mode 1
		.amdhsa_fp16_overflow 0
		.amdhsa_workgroup_processor_mode 1
		.amdhsa_memory_ordered 1
		.amdhsa_forward_progress 0
		.amdhsa_shared_vgpr_count 0
		.amdhsa_exception_fp_ieee_invalid_op 0
		.amdhsa_exception_fp_denorm_src 0
		.amdhsa_exception_fp_ieee_div_zero 0
		.amdhsa_exception_fp_ieee_overflow 0
		.amdhsa_exception_fp_ieee_underflow 0
		.amdhsa_exception_fp_ieee_inexact 0
		.amdhsa_exception_int_div_zero 0
	.end_amdhsa_kernel
	.section	.text._ZL24rocblas_dot_kernel_magsqIiLb1ELi1024ELi32ELb1EDF16_PKDF16_DF16_EviT5_lT_liPT6_PT4_,"axG",@progbits,_ZL24rocblas_dot_kernel_magsqIiLb1ELi1024ELi32ELb1EDF16_PKDF16_DF16_EviT5_lT_liPT6_PT4_,comdat
.Lfunc_end500:
	.size	_ZL24rocblas_dot_kernel_magsqIiLb1ELi1024ELi32ELb1EDF16_PKDF16_DF16_EviT5_lT_liPT6_PT4_, .Lfunc_end500-_ZL24rocblas_dot_kernel_magsqIiLb1ELi1024ELi32ELb1EDF16_PKDF16_DF16_EviT5_lT_liPT6_PT4_
                                        ; -- End function
	.section	.AMDGPU.csdata,"",@progbits
; Kernel info:
; codeLenInByte = 1016
; NumSgprs: 19
; NumVgprs: 11
; ScratchSize: 0
; MemoryBound: 0
; FloatMode: 240
; IeeeMode: 1
; LDSByteSize: 64 bytes/workgroup (compile time only)
; SGPRBlocks: 2
; VGPRBlocks: 1
; NumSGPRsForWavesPerEU: 19
; NumVGPRsForWavesPerEU: 11
; Occupancy: 16
; WaveLimiterHint : 0
; COMPUTE_PGM_RSRC2:SCRATCH_EN: 0
; COMPUTE_PGM_RSRC2:USER_SGPR: 14
; COMPUTE_PGM_RSRC2:TRAP_HANDLER: 0
; COMPUTE_PGM_RSRC2:TGID_X_EN: 1
; COMPUTE_PGM_RSRC2:TGID_Y_EN: 0
; COMPUTE_PGM_RSRC2:TGID_Z_EN: 1
; COMPUTE_PGM_RSRC2:TIDIG_COMP_CNT: 0
	.section	.text._ZL23rocblas_dot_kernel_inc1ILb0ELi512ELi8ELb1EDF16_PKDF16_DF16_EviT4_llS2_lliPT5_PT3_,"axG",@progbits,_ZL23rocblas_dot_kernel_inc1ILb0ELi512ELi8ELb1EDF16_PKDF16_DF16_EviT4_llS2_lliPT5_PT3_,comdat
	.globl	_ZL23rocblas_dot_kernel_inc1ILb0ELi512ELi8ELb1EDF16_PKDF16_DF16_EviT4_llS2_lliPT5_PT3_ ; -- Begin function _ZL23rocblas_dot_kernel_inc1ILb0ELi512ELi8ELb1EDF16_PKDF16_DF16_EviT4_llS2_lliPT5_PT3_
	.p2align	8
	.type	_ZL23rocblas_dot_kernel_inc1ILb0ELi512ELi8ELb1EDF16_PKDF16_DF16_EviT4_llS2_lliPT5_PT3_,@function
_ZL23rocblas_dot_kernel_inc1ILb0ELi512ELi8ELb1EDF16_PKDF16_DF16_EviT4_llS2_lliPT5_PT3_: ; @_ZL23rocblas_dot_kernel_inc1ILb0ELi512ELi8ELb1EDF16_PKDF16_DF16_EviT4_llS2_lliPT5_PT3_
; %bb.0:
	s_clause 0x2
	s_load_b32 s12, s[0:1], 0x50
	s_load_b32 s13, s[0:1], 0x0
	s_load_b128 s[4:7], s[0:1], 0x40
	v_lshl_or_b32 v1, s14, 9, v0
	v_mov_b32_e32 v4, 0
	s_mov_b32 s2, s15
	s_mov_b32 s3, 0
	s_mov_b32 s15, exec_lo
	s_waitcnt lgkmcnt(0)
	v_cmpx_gt_i32_e64 s13, v1
	s_cbranch_execz .LBB501_4
; %bb.1:
	s_clause 0x3
	s_load_b128 s[8:11], s[0:1], 0x10
	s_load_b128 s[20:23], s[0:1], 0x28
	s_load_b64 s[16:17], s[0:1], 0x8
	s_load_b64 s[18:19], s[0:1], 0x20
	v_ashrrev_i32_e32 v2, 31, v1
	s_delay_alu instid0(VALU_DEP_1)
	v_lshlrev_b64 v[2:3], 1, v[1:2]
	s_waitcnt lgkmcnt(0)
	s_mul_i32 s1, s2, s11
	s_mul_hi_u32 s11, s2, s10
	s_mul_i32 s0, s2, s10
	s_add_i32 s1, s11, s1
	s_mul_i32 s11, s2, s23
	s_lshl_b64 s[0:1], s[0:1], 1
	s_mul_hi_u32 s23, s2, s22
	s_add_u32 s0, s16, s0
	s_addc_u32 s16, s17, s1
	s_lshl_b64 s[8:9], s[8:9], 1
	s_mul_i32 s10, s2, s22
	s_add_u32 s1, s0, s8
	s_addc_u32 s16, s16, s9
	s_add_i32 s11, s23, s11
	s_delay_alu instid0(SALU_CYCLE_1) | instskip(NEXT) | instid1(SALU_CYCLE_1)
	s_lshl_b64 s[8:9], s[10:11], 1
	s_add_u32 s0, s18, s8
	s_addc_u32 s10, s19, s9
	s_lshl_b64 s[8:9], s[20:21], 1
	s_mov_b32 s19, s3
	s_add_u32 s17, s0, s8
	s_addc_u32 s18, s10, s9
	s_lshl_b32 s8, s12, 9
	s_delay_alu instid0(SALU_CYCLE_1) | instskip(SKIP_1) | instid1(SALU_CYCLE_1)
	v_dual_mov_b32 v4, 0 :: v_dual_add_nc_u32 v1, s8, v1
	s_ashr_i32 s9, s8, 31
	s_lshl_b64 s[10:11], s[8:9], 1
	s_mov_b32 s9, s3
	.p2align	6
.LBB501_2:                              ; =>This Inner Loop Header: Depth=1
	v_add_co_u32 v5, vcc_lo, s17, v2
	v_add_co_ci_u32_e32 v6, vcc_lo, s18, v3, vcc_lo
	v_add_co_u32 v7, vcc_lo, s1, v2
	v_add_co_ci_u32_e32 v8, vcc_lo, s16, v3, vcc_lo
	s_add_i32 s20, s19, 1
	global_load_u16 v5, v[5:6], off
	global_load_u16 v6, v[7:8], off
	v_cmp_le_i32_e32 vcc_lo, s13, v1
	v_add_co_u32 v2, s0, v2, s10
	s_cmp_gt_u32 s19, 6
	v_add_co_ci_u32_e64 v3, s0, s11, v3, s0
	s_cselect_b32 s0, -1, 0
	v_add_nc_u32_e32 v1, s8, v1
	s_or_b32 s0, s0, vcc_lo
	s_mov_b32 s19, s20
	s_and_b32 s0, exec_lo, s0
	s_delay_alu instid0(SALU_CYCLE_1)
	s_or_b32 s9, s0, s9
	s_waitcnt vmcnt(0)
	v_fmac_f16_e32 v4, v5, v6
	s_and_not1_b32 exec_lo, exec_lo, s9
	s_cbranch_execnz .LBB501_2
; %bb.3:
	s_or_b32 exec_lo, exec_lo, s9
.LBB501_4:
	s_delay_alu instid0(SALU_CYCLE_1) | instskip(SKIP_2) | instid1(VALU_DEP_2)
	s_or_b32 exec_lo, exec_lo, s15
	v_and_b32_e32 v2, 31, v0
	v_cmp_gt_u32_e32 vcc_lo, 32, v0
	v_lshlrev_b32_e32 v1, 1, v2
	s_and_saveexec_b32 s0, vcc_lo
	s_cbranch_execz .LBB501_6
; %bb.5:
	v_mov_b32_e32 v3, 0
	ds_store_b16 v1, v3
.LBB501_6:
	s_or_b32 exec_lo, exec_lo, s0
	v_mbcnt_lo_u32_b32 v6, -1, 0
	v_and_b32_e32 v5, 0xffff, v4
	s_mov_b32 s1, exec_lo
	s_waitcnt lgkmcnt(0)
	s_barrier
	v_cmp_gt_u32_e64 s0, 16, v6
	buffer_gl0_inv
	v_cndmask_b32_e64 v3, 0, 1, s0
	v_cmp_gt_u32_e64 s0, 24, v6
	s_delay_alu instid0(VALU_DEP_2) | instskip(NEXT) | instid1(VALU_DEP_1)
	v_lshlrev_b32_e32 v3, 4, v3
	v_add_lshl_u32 v3, v3, v6, 2
	ds_bpermute_b32 v5, v3, v5
	v_cndmask_b32_e64 v3, 0, 1, s0
	v_cmp_gt_u32_e64 s0, 28, v6
	s_delay_alu instid0(VALU_DEP_2) | instskip(NEXT) | instid1(VALU_DEP_1)
	v_lshlrev_b32_e32 v3, 3, v3
	v_add_lshl_u32 v3, v3, v6, 2
	s_waitcnt lgkmcnt(0)
	v_add_f16_e32 v4, v4, v5
	s_delay_alu instid0(VALU_DEP_1) | instskip(NEXT) | instid1(VALU_DEP_1)
	v_and_b32_e32 v7, 0xffff, v4
	v_and_or_b32 v5, 0xffff0000, v5, v7
	v_cndmask_b32_e64 v7, 0, 1, s0
	v_cmp_gt_u32_e64 s0, 30, v6
	ds_bpermute_b32 v5, v3, v5
	s_waitcnt lgkmcnt(0)
	v_add_f16_e32 v8, v4, v5
	v_lshlrev_b32_e32 v4, 2, v7
	s_delay_alu instid0(VALU_DEP_2) | instskip(NEXT) | instid1(VALU_DEP_2)
	v_and_b32_e32 v7, 0xffff, v8
	v_add_lshl_u32 v4, v4, v6, 2
	s_delay_alu instid0(VALU_DEP_2) | instskip(SKIP_3) | instid1(VALU_DEP_2)
	v_and_or_b32 v5, 0xffff0000, v5, v7
	ds_bpermute_b32 v7, v4, v5
	v_cndmask_b32_e64 v5, 0, 1, s0
	v_cmp_ne_u32_e64 s0, 31, v6
	v_lshlrev_b32_e32 v5, 1, v5
	s_delay_alu instid0(VALU_DEP_1) | instskip(NEXT) | instid1(VALU_DEP_3)
	v_add_lshl_u32 v5, v5, v6, 2
	v_add_co_ci_u32_e64 v6, s0, 0, v6, s0
	s_delay_alu instid0(VALU_DEP_1) | instskip(SKIP_2) | instid1(VALU_DEP_1)
	v_lshlrev_b32_e32 v6, 2, v6
	s_waitcnt lgkmcnt(0)
	v_add_f16_e32 v8, v8, v7
	v_and_b32_e32 v9, 0xffff, v8
	s_delay_alu instid0(VALU_DEP_1) | instskip(SKIP_3) | instid1(VALU_DEP_1)
	v_and_or_b32 v7, 0xffff0000, v7, v9
	ds_bpermute_b32 v9, v5, v7
	s_waitcnt lgkmcnt(0)
	v_add_f16_e32 v7, v8, v9
	v_and_b32_e32 v8, 0xffff, v7
	s_delay_alu instid0(VALU_DEP_1)
	v_and_or_b32 v8, 0xffff0000, v9, v8
	ds_bpermute_b32 v8, v6, v8
	v_cmpx_eq_u32_e32 0, v2
	s_cbranch_execz .LBB501_8
; %bb.7:
	v_lshrrev_b32_e32 v2, 4, v0
	s_waitcnt lgkmcnt(0)
	v_add_f16_e32 v7, v7, v8
	s_delay_alu instid0(VALU_DEP_2)
	v_and_b32_e32 v2, 30, v2
	ds_store_b16 v2, v7
.LBB501_8:
	s_or_b32 exec_lo, exec_lo, s1
	v_mov_b32_e32 v2, 0
	s_mov_b32 s1, exec_lo
	s_waitcnt lgkmcnt(0)
	s_barrier
	buffer_gl0_inv
	v_cmpx_gt_u32_e32 16, v0
	s_cbranch_execz .LBB501_10
; %bb.9:
	ds_load_u16 v2, v1
.LBB501_10:
	s_or_b32 exec_lo, exec_lo, s1
	s_and_saveexec_b32 s0, vcc_lo
	s_cbranch_execz .LBB501_12
; %bb.11:
	s_waitcnt lgkmcnt(0)
	v_and_b32_e32 v1, 0xffff, v2
	ds_bpermute_b32 v1, v3, v1
	s_waitcnt lgkmcnt(0)
	v_add_f16_e32 v2, v2, v1
	s_delay_alu instid0(VALU_DEP_1) | instskip(NEXT) | instid1(VALU_DEP_1)
	v_and_b32_e32 v3, 0xffff, v2
	v_and_or_b32 v1, 0xffff0000, v1, v3
	ds_bpermute_b32 v1, v4, v1
	s_waitcnt lgkmcnt(0)
	v_add_f16_e32 v2, v2, v1
	s_delay_alu instid0(VALU_DEP_1) | instskip(NEXT) | instid1(VALU_DEP_1)
	v_and_b32_e32 v3, 0xffff, v2
	v_and_or_b32 v1, 0xffff0000, v1, v3
	ds_bpermute_b32 v1, v5, v1
	s_waitcnt lgkmcnt(0)
	v_add_f16_e32 v2, v2, v1
	s_delay_alu instid0(VALU_DEP_1) | instskip(NEXT) | instid1(VALU_DEP_1)
	v_and_b32_e32 v3, 0xffff, v2
	v_and_or_b32 v1, 0xffff0000, v1, v3
	ds_bpermute_b32 v1, v6, v1
	s_waitcnt lgkmcnt(0)
	v_add_f16_e32 v2, v2, v1
.LBB501_12:
	s_or_b32 exec_lo, exec_lo, s0
	s_delay_alu instid0(SALU_CYCLE_1)
	s_mov_b32 s0, exec_lo
	v_cmpx_eq_u32_e32 0, v0
	s_cbranch_execz .LBB501_18
; %bb.13:
	s_cmp_lg_u32 s12, 1
	s_cbranch_scc0 .LBB501_15
; %bb.14:
	s_mul_hi_u32 s1, s12, s2
	s_mul_i32 s0, s12, s2
	s_mov_b32 s15, 0
	s_lshl_b64 s[0:1], s[0:1], 1
	s_delay_alu instid0(SALU_CYCLE_1) | instskip(SKIP_2) | instid1(SALU_CYCLE_1)
	s_add_u32 s4, s4, s0
	s_addc_u32 s5, s5, s1
	s_lshl_b64 s[0:1], s[14:15], 1
	s_add_u32 s0, s4, s0
	s_addc_u32 s1, s5, s1
	s_cbranch_execz .LBB501_16
	s_branch .LBB501_17
.LBB501_15:
                                        ; implicit-def: $sgpr0_sgpr1
.LBB501_16:
	s_lshl_b64 s[0:1], s[2:3], 1
	s_delay_alu instid0(SALU_CYCLE_1)
	s_add_u32 s0, s6, s0
	s_addc_u32 s1, s7, s1
.LBB501_17:
	v_mov_b32_e32 v0, 0
	s_waitcnt lgkmcnt(0)
	global_store_b16 v0, v2, s[0:1]
.LBB501_18:
	s_nop 0
	s_sendmsg sendmsg(MSG_DEALLOC_VGPRS)
	s_endpgm
	.section	.rodata,"a",@progbits
	.p2align	6, 0x0
	.amdhsa_kernel _ZL23rocblas_dot_kernel_inc1ILb0ELi512ELi8ELb1EDF16_PKDF16_DF16_EviT4_llS2_lliPT5_PT3_
		.amdhsa_group_segment_fixed_size 64
		.amdhsa_private_segment_fixed_size 0
		.amdhsa_kernarg_size 336
		.amdhsa_user_sgpr_count 14
		.amdhsa_user_sgpr_dispatch_ptr 0
		.amdhsa_user_sgpr_queue_ptr 0
		.amdhsa_user_sgpr_kernarg_segment_ptr 1
		.amdhsa_user_sgpr_dispatch_id 0
		.amdhsa_user_sgpr_private_segment_size 0
		.amdhsa_wavefront_size32 1
		.amdhsa_uses_dynamic_stack 0
		.amdhsa_enable_private_segment 0
		.amdhsa_system_sgpr_workgroup_id_x 1
		.amdhsa_system_sgpr_workgroup_id_y 0
		.amdhsa_system_sgpr_workgroup_id_z 1
		.amdhsa_system_sgpr_workgroup_info 0
		.amdhsa_system_vgpr_workitem_id 0
		.amdhsa_next_free_vgpr 10
		.amdhsa_next_free_sgpr 24
		.amdhsa_reserve_vcc 1
		.amdhsa_float_round_mode_32 0
		.amdhsa_float_round_mode_16_64 0
		.amdhsa_float_denorm_mode_32 3
		.amdhsa_float_denorm_mode_16_64 3
		.amdhsa_dx10_clamp 1
		.amdhsa_ieee_mode 1
		.amdhsa_fp16_overflow 0
		.amdhsa_workgroup_processor_mode 1
		.amdhsa_memory_ordered 1
		.amdhsa_forward_progress 0
		.amdhsa_shared_vgpr_count 0
		.amdhsa_exception_fp_ieee_invalid_op 0
		.amdhsa_exception_fp_denorm_src 0
		.amdhsa_exception_fp_ieee_div_zero 0
		.amdhsa_exception_fp_ieee_overflow 0
		.amdhsa_exception_fp_ieee_underflow 0
		.amdhsa_exception_fp_ieee_inexact 0
		.amdhsa_exception_int_div_zero 0
	.end_amdhsa_kernel
	.section	.text._ZL23rocblas_dot_kernel_inc1ILb0ELi512ELi8ELb1EDF16_PKDF16_DF16_EviT4_llS2_lliPT5_PT3_,"axG",@progbits,_ZL23rocblas_dot_kernel_inc1ILb0ELi512ELi8ELb1EDF16_PKDF16_DF16_EviT4_llS2_lliPT5_PT3_,comdat
.Lfunc_end501:
	.size	_ZL23rocblas_dot_kernel_inc1ILb0ELi512ELi8ELb1EDF16_PKDF16_DF16_EviT4_llS2_lliPT5_PT3_, .Lfunc_end501-_ZL23rocblas_dot_kernel_inc1ILb0ELi512ELi8ELb1EDF16_PKDF16_DF16_EviT4_llS2_lliPT5_PT3_
                                        ; -- End function
	.section	.AMDGPU.csdata,"",@progbits
; Kernel info:
; codeLenInByte = 1116
; NumSgprs: 26
; NumVgprs: 10
; ScratchSize: 0
; MemoryBound: 0
; FloatMode: 240
; IeeeMode: 1
; LDSByteSize: 64 bytes/workgroup (compile time only)
; SGPRBlocks: 3
; VGPRBlocks: 1
; NumSGPRsForWavesPerEU: 26
; NumVGPRsForWavesPerEU: 10
; Occupancy: 16
; WaveLimiterHint : 0
; COMPUTE_PGM_RSRC2:SCRATCH_EN: 0
; COMPUTE_PGM_RSRC2:USER_SGPR: 14
; COMPUTE_PGM_RSRC2:TRAP_HANDLER: 0
; COMPUTE_PGM_RSRC2:TGID_X_EN: 1
; COMPUTE_PGM_RSRC2:TGID_Y_EN: 0
; COMPUTE_PGM_RSRC2:TGID_Z_EN: 1
; COMPUTE_PGM_RSRC2:TIDIG_COMP_CNT: 0
	.section	.text._ZL18rocblas_dot_kernelIiLb0ELi512ELi8ELb1EDF16_PKDF16_DF16_EviT5_lT_lS2_lS3_liPT6_PT4_,"axG",@progbits,_ZL18rocblas_dot_kernelIiLb0ELi512ELi8ELb1EDF16_PKDF16_DF16_EviT5_lT_lS2_lS3_liPT6_PT4_,comdat
	.globl	_ZL18rocblas_dot_kernelIiLb0ELi512ELi8ELb1EDF16_PKDF16_DF16_EviT5_lT_lS2_lS3_liPT6_PT4_ ; -- Begin function _ZL18rocblas_dot_kernelIiLb0ELi512ELi8ELb1EDF16_PKDF16_DF16_EviT5_lT_lS2_lS3_liPT6_PT4_
	.p2align	8
	.type	_ZL18rocblas_dot_kernelIiLb0ELi512ELi8ELb1EDF16_PKDF16_DF16_EviT5_lT_lS2_lS3_liPT6_PT4_,@function
_ZL18rocblas_dot_kernelIiLb0ELi512ELi8ELb1EDF16_PKDF16_DF16_EviT5_lT_lS2_lS3_liPT6_PT4_: ; @_ZL18rocblas_dot_kernelIiLb0ELi512ELi8ELb1EDF16_PKDF16_DF16_EviT5_lT_lS2_lS3_liPT6_PT4_
; %bb.0:
	s_clause 0x2
	s_load_b32 s12, s[0:1], 0x60
	s_load_b32 s13, s[0:1], 0x0
	s_load_b128 s[4:7], s[0:1], 0x50
	v_lshl_or_b32 v1, s14, 9, v0
	v_mov_b32_e32 v6, 0
	s_mov_b32 s2, s15
	s_mov_b32 s3, 0
	s_mov_b32 s15, exec_lo
	s_waitcnt lgkmcnt(0)
	v_cmpx_gt_i32_e64 s13, v1
	s_cbranch_execz .LBB502_4
; %bb.1:
	s_clause 0x5
	s_load_b32 s17, s[0:1], 0x18
	s_load_b128 s[8:11], s[0:1], 0x20
	s_load_b128 s[20:23], s[0:1], 0x8
	s_load_b32 s26, s[0:1], 0x38
	s_load_b64 s[18:19], s[0:1], 0x40
	s_load_b64 s[0:1], s[0:1], 0x30
	s_lshl_b32 s16, s12, 9
	s_delay_alu instid0(SALU_CYCLE_1)
	v_add_nc_u32_e32 v5, s16, v1
	s_waitcnt lgkmcnt(0)
	v_mad_i64_i32 v[2:3], null, s17, v1, 0
	s_mul_i32 s9, s9, s2
	s_mul_hi_u32 s27, s8, s2
	v_mad_i64_i32 v[6:7], null, s26, v1, 0
	s_mul_i32 s8, s8, s2
	s_add_i32 s9, s27, s9
	s_lshl_b64 s[22:23], s[22:23], 1
	s_lshl_b64 s[8:9], s[8:9], 1
	s_add_u32 s20, s20, s22
	s_mul_hi_i32 s25, s17, s16
	s_mul_i32 s24, s17, s16
	s_mul_i32 s17, s19, s2
	s_mul_hi_u32 s19, s18, s2
	s_addc_u32 s21, s21, s23
	v_lshlrev_b64 v[1:2], 1, v[2:3]
	s_add_u32 s20, s20, s8
	s_mul_i32 s18, s18, s2
	s_addc_u32 s21, s21, s9
	s_add_i32 s19, s19, s17
	v_lshlrev_b64 v[3:4], 1, v[6:7]
	v_mov_b32_e32 v6, 0
	s_lshl_b64 s[0:1], s[0:1], 1
	s_lshl_b64 s[8:9], s[24:25], 1
	s_lshl_b64 s[18:19], s[18:19], 1
	s_add_u32 s0, s10, s0
	v_add_co_u32 v1, vcc_lo, s20, v1
	s_addc_u32 s1, s11, s1
	s_add_u32 s0, s0, s18
	v_add_co_ci_u32_e32 v2, vcc_lo, s21, v2, vcc_lo
	s_addc_u32 s1, s1, s19
	v_add_co_u32 v3, vcc_lo, s0, v3
	v_add_co_ci_u32_e32 v4, vcc_lo, s1, v4, vcc_lo
	s_mul_hi_i32 s1, s26, s16
	s_mul_i32 s0, s26, s16
	s_mov_b32 s17, s3
	s_lshl_b64 s[10:11], s[0:1], 1
	s_mov_b32 s1, s3
	.p2align	6
.LBB502_2:                              ; =>This Inner Loop Header: Depth=1
	global_load_u16 v7, v[3:4], off
	global_load_u16 v8, v[1:2], off
	v_add_co_u32 v1, s0, v1, s8
	s_delay_alu instid0(VALU_DEP_1)
	v_add_co_ci_u32_e64 v2, s0, s9, v2, s0
	s_add_i32 s18, s17, 1
	v_cmp_le_i32_e32 vcc_lo, s13, v5
	v_add_co_u32 v3, s0, v3, s10
	s_cmp_gt_u32 s17, 6
	v_add_co_ci_u32_e64 v4, s0, s11, v4, s0
	s_cselect_b32 s0, -1, 0
	v_add_nc_u32_e32 v5, s16, v5
	s_or_b32 s0, s0, vcc_lo
	s_mov_b32 s17, s18
	s_and_b32 s0, exec_lo, s0
	s_delay_alu instid0(SALU_CYCLE_1)
	s_or_b32 s1, s0, s1
	s_waitcnt vmcnt(0)
	v_fmac_f16_e32 v6, v7, v8
	s_and_not1_b32 exec_lo, exec_lo, s1
	s_cbranch_execnz .LBB502_2
; %bb.3:
	s_or_b32 exec_lo, exec_lo, s1
.LBB502_4:
	s_delay_alu instid0(SALU_CYCLE_1) | instskip(SKIP_2) | instid1(VALU_DEP_2)
	s_or_b32 exec_lo, exec_lo, s15
	v_and_b32_e32 v2, 31, v0
	v_cmp_gt_u32_e32 vcc_lo, 32, v0
	v_lshlrev_b32_e32 v1, 1, v2
	s_and_saveexec_b32 s0, vcc_lo
	s_cbranch_execz .LBB502_6
; %bb.5:
	v_mov_b32_e32 v3, 0
	ds_store_b16 v1, v3
.LBB502_6:
	s_or_b32 exec_lo, exec_lo, s0
	v_mbcnt_lo_u32_b32 v8, -1, 0
	v_and_b32_e32 v4, 0xffff, v6
	s_mov_b32 s1, exec_lo
	s_waitcnt lgkmcnt(0)
	s_barrier
	v_cmp_gt_u32_e64 s0, 16, v8
	buffer_gl0_inv
	v_cndmask_b32_e64 v3, 0, 1, s0
	v_cmp_gt_u32_e64 s0, 24, v8
	s_delay_alu instid0(VALU_DEP_2) | instskip(NEXT) | instid1(VALU_DEP_1)
	v_lshlrev_b32_e32 v3, 4, v3
	v_add_lshl_u32 v3, v3, v8, 2
	ds_bpermute_b32 v4, v3, v4
	v_cndmask_b32_e64 v3, 0, 1, s0
	v_cmp_gt_u32_e64 s0, 28, v8
	s_delay_alu instid0(VALU_DEP_2) | instskip(NEXT) | instid1(VALU_DEP_1)
	v_lshlrev_b32_e32 v3, 3, v3
	v_add_lshl_u32 v3, v3, v8, 2
	s_waitcnt lgkmcnt(0)
	v_add_f16_e32 v5, v6, v4
	s_delay_alu instid0(VALU_DEP_1) | instskip(NEXT) | instid1(VALU_DEP_1)
	v_and_b32_e32 v6, 0xffff, v5
	v_and_or_b32 v4, 0xffff0000, v4, v6
	ds_bpermute_b32 v6, v3, v4
	v_cndmask_b32_e64 v4, 0, 1, s0
	v_cmp_gt_u32_e64 s0, 30, v8
	s_delay_alu instid0(VALU_DEP_2) | instskip(NEXT) | instid1(VALU_DEP_1)
	v_lshlrev_b32_e32 v4, 2, v4
	v_add_lshl_u32 v4, v4, v8, 2
	s_waitcnt lgkmcnt(0)
	v_add_f16_e32 v5, v5, v6
	s_delay_alu instid0(VALU_DEP_1) | instskip(NEXT) | instid1(VALU_DEP_1)
	v_and_b32_e32 v7, 0xffff, v5
	v_and_or_b32 v6, 0xffff0000, v6, v7
	v_cndmask_b32_e64 v7, 0, 1, s0
	v_cmp_ne_u32_e64 s0, 31, v8
	ds_bpermute_b32 v6, v4, v6
	s_waitcnt lgkmcnt(0)
	v_add_f16_e32 v9, v5, v6
	v_lshlrev_b32_e32 v5, 1, v7
	s_delay_alu instid0(VALU_DEP_2) | instskip(NEXT) | instid1(VALU_DEP_2)
	v_and_b32_e32 v7, 0xffff, v9
	v_add_lshl_u32 v5, v5, v8, 2
	v_add_co_ci_u32_e64 v8, s0, 0, v8, s0
	s_delay_alu instid0(VALU_DEP_3) | instskip(SKIP_3) | instid1(VALU_DEP_1)
	v_and_or_b32 v6, 0xffff0000, v6, v7
	ds_bpermute_b32 v6, v5, v6
	s_waitcnt lgkmcnt(0)
	v_add_f16_e32 v7, v9, v6
	v_and_b32_e32 v9, 0xffff, v7
	s_delay_alu instid0(VALU_DEP_1)
	v_and_or_b32 v9, 0xffff0000, v6, v9
	v_lshlrev_b32_e32 v6, 2, v8
	ds_bpermute_b32 v8, v6, v9
	v_cmpx_eq_u32_e32 0, v2
	s_cbranch_execz .LBB502_8
; %bb.7:
	v_lshrrev_b32_e32 v2, 4, v0
	s_waitcnt lgkmcnt(0)
	v_add_f16_e32 v7, v7, v8
	s_delay_alu instid0(VALU_DEP_2)
	v_and_b32_e32 v2, 30, v2
	ds_store_b16 v2, v7
.LBB502_8:
	s_or_b32 exec_lo, exec_lo, s1
	v_mov_b32_e32 v2, 0
	s_mov_b32 s1, exec_lo
	s_waitcnt lgkmcnt(0)
	s_barrier
	buffer_gl0_inv
	v_cmpx_gt_u32_e32 16, v0
	s_cbranch_execz .LBB502_10
; %bb.9:
	ds_load_u16 v2, v1
.LBB502_10:
	s_or_b32 exec_lo, exec_lo, s1
	s_and_saveexec_b32 s0, vcc_lo
	s_cbranch_execz .LBB502_12
; %bb.11:
	s_waitcnt lgkmcnt(0)
	v_and_b32_e32 v1, 0xffff, v2
	ds_bpermute_b32 v1, v3, v1
	s_waitcnt lgkmcnt(0)
	v_add_f16_e32 v2, v2, v1
	s_delay_alu instid0(VALU_DEP_1) | instskip(NEXT) | instid1(VALU_DEP_1)
	v_and_b32_e32 v3, 0xffff, v2
	v_and_or_b32 v1, 0xffff0000, v1, v3
	ds_bpermute_b32 v1, v4, v1
	s_waitcnt lgkmcnt(0)
	v_add_f16_e32 v2, v2, v1
	s_delay_alu instid0(VALU_DEP_1) | instskip(NEXT) | instid1(VALU_DEP_1)
	v_and_b32_e32 v3, 0xffff, v2
	v_and_or_b32 v1, 0xffff0000, v1, v3
	ds_bpermute_b32 v1, v5, v1
	s_waitcnt lgkmcnt(0)
	v_add_f16_e32 v2, v2, v1
	s_delay_alu instid0(VALU_DEP_1) | instskip(NEXT) | instid1(VALU_DEP_1)
	v_and_b32_e32 v3, 0xffff, v2
	v_and_or_b32 v1, 0xffff0000, v1, v3
	ds_bpermute_b32 v1, v6, v1
	s_waitcnt lgkmcnt(0)
	v_add_f16_e32 v2, v2, v1
.LBB502_12:
	s_or_b32 exec_lo, exec_lo, s0
	s_delay_alu instid0(SALU_CYCLE_1)
	s_mov_b32 s0, exec_lo
	v_cmpx_eq_u32_e32 0, v0
	s_cbranch_execz .LBB502_18
; %bb.13:
	s_cmp_lg_u32 s12, 1
	s_cbranch_scc0 .LBB502_15
; %bb.14:
	s_mul_hi_u32 s1, s12, s2
	s_mul_i32 s0, s12, s2
	s_mov_b32 s15, 0
	s_lshl_b64 s[0:1], s[0:1], 1
	s_delay_alu instid0(SALU_CYCLE_1) | instskip(SKIP_2) | instid1(SALU_CYCLE_1)
	s_add_u32 s4, s4, s0
	s_addc_u32 s5, s5, s1
	s_lshl_b64 s[0:1], s[14:15], 1
	s_add_u32 s0, s4, s0
	s_addc_u32 s1, s5, s1
	s_cbranch_execz .LBB502_16
	s_branch .LBB502_17
.LBB502_15:
                                        ; implicit-def: $sgpr0_sgpr1
.LBB502_16:
	s_lshl_b64 s[0:1], s[2:3], 1
	s_delay_alu instid0(SALU_CYCLE_1)
	s_add_u32 s0, s6, s0
	s_addc_u32 s1, s7, s1
.LBB502_17:
	v_mov_b32_e32 v0, 0
	s_waitcnt lgkmcnt(0)
	global_store_b16 v0, v2, s[0:1]
.LBB502_18:
	s_nop 0
	s_sendmsg sendmsg(MSG_DEALLOC_VGPRS)
	s_endpgm
	.section	.rodata,"a",@progbits
	.p2align	6, 0x0
	.amdhsa_kernel _ZL18rocblas_dot_kernelIiLb0ELi512ELi8ELb1EDF16_PKDF16_DF16_EviT5_lT_lS2_lS3_liPT6_PT4_
		.amdhsa_group_segment_fixed_size 64
		.amdhsa_private_segment_fixed_size 0
		.amdhsa_kernarg_size 352
		.amdhsa_user_sgpr_count 14
		.amdhsa_user_sgpr_dispatch_ptr 0
		.amdhsa_user_sgpr_queue_ptr 0
		.amdhsa_user_sgpr_kernarg_segment_ptr 1
		.amdhsa_user_sgpr_dispatch_id 0
		.amdhsa_user_sgpr_private_segment_size 0
		.amdhsa_wavefront_size32 1
		.amdhsa_uses_dynamic_stack 0
		.amdhsa_enable_private_segment 0
		.amdhsa_system_sgpr_workgroup_id_x 1
		.amdhsa_system_sgpr_workgroup_id_y 0
		.amdhsa_system_sgpr_workgroup_id_z 1
		.amdhsa_system_sgpr_workgroup_info 0
		.amdhsa_system_vgpr_workitem_id 0
		.amdhsa_next_free_vgpr 10
		.amdhsa_next_free_sgpr 28
		.amdhsa_reserve_vcc 1
		.amdhsa_float_round_mode_32 0
		.amdhsa_float_round_mode_16_64 0
		.amdhsa_float_denorm_mode_32 3
		.amdhsa_float_denorm_mode_16_64 3
		.amdhsa_dx10_clamp 1
		.amdhsa_ieee_mode 1
		.amdhsa_fp16_overflow 0
		.amdhsa_workgroup_processor_mode 1
		.amdhsa_memory_ordered 1
		.amdhsa_forward_progress 0
		.amdhsa_shared_vgpr_count 0
		.amdhsa_exception_fp_ieee_invalid_op 0
		.amdhsa_exception_fp_denorm_src 0
		.amdhsa_exception_fp_ieee_div_zero 0
		.amdhsa_exception_fp_ieee_overflow 0
		.amdhsa_exception_fp_ieee_underflow 0
		.amdhsa_exception_fp_ieee_inexact 0
		.amdhsa_exception_int_div_zero 0
	.end_amdhsa_kernel
	.section	.text._ZL18rocblas_dot_kernelIiLb0ELi512ELi8ELb1EDF16_PKDF16_DF16_EviT5_lT_lS2_lS3_liPT6_PT4_,"axG",@progbits,_ZL18rocblas_dot_kernelIiLb0ELi512ELi8ELb1EDF16_PKDF16_DF16_EviT5_lT_lS2_lS3_liPT6_PT4_,comdat
.Lfunc_end502:
	.size	_ZL18rocblas_dot_kernelIiLb0ELi512ELi8ELb1EDF16_PKDF16_DF16_EviT5_lT_lS2_lS3_liPT6_PT4_, .Lfunc_end502-_ZL18rocblas_dot_kernelIiLb0ELi512ELi8ELb1EDF16_PKDF16_DF16_EviT5_lT_lS2_lS3_liPT6_PT4_
                                        ; -- End function
	.section	.AMDGPU.csdata,"",@progbits
; Kernel info:
; codeLenInByte = 1176
; NumSgprs: 30
; NumVgprs: 10
; ScratchSize: 0
; MemoryBound: 0
; FloatMode: 240
; IeeeMode: 1
; LDSByteSize: 64 bytes/workgroup (compile time only)
; SGPRBlocks: 3
; VGPRBlocks: 1
; NumSGPRsForWavesPerEU: 30
; NumVGPRsForWavesPerEU: 10
; Occupancy: 16
; WaveLimiterHint : 0
; COMPUTE_PGM_RSRC2:SCRATCH_EN: 0
; COMPUTE_PGM_RSRC2:USER_SGPR: 14
; COMPUTE_PGM_RSRC2:TRAP_HANDLER: 0
; COMPUTE_PGM_RSRC2:TGID_X_EN: 1
; COMPUTE_PGM_RSRC2:TGID_Y_EN: 0
; COMPUTE_PGM_RSRC2:TGID_Z_EN: 1
; COMPUTE_PGM_RSRC2:TIDIG_COMP_CNT: 0
	.section	.text._ZL24rocblas_dot_kernel_magsqIiLb0ELi512ELi8ELb1EDF16_PKDF16_DF16_EviT5_lT_liPT6_PT4_,"axG",@progbits,_ZL24rocblas_dot_kernel_magsqIiLb0ELi512ELi8ELb1EDF16_PKDF16_DF16_EviT5_lT_liPT6_PT4_,comdat
	.globl	_ZL24rocblas_dot_kernel_magsqIiLb0ELi512ELi8ELb1EDF16_PKDF16_DF16_EviT5_lT_liPT6_PT4_ ; -- Begin function _ZL24rocblas_dot_kernel_magsqIiLb0ELi512ELi8ELb1EDF16_PKDF16_DF16_EviT5_lT_liPT6_PT4_
	.p2align	8
	.type	_ZL24rocblas_dot_kernel_magsqIiLb0ELi512ELi8ELb1EDF16_PKDF16_DF16_EviT5_lT_liPT6_PT4_,@function
_ZL24rocblas_dot_kernel_magsqIiLb0ELi512ELi8ELb1EDF16_PKDF16_DF16_EviT5_lT_liPT6_PT4_: ; @_ZL24rocblas_dot_kernel_magsqIiLb0ELi512ELi8ELb1EDF16_PKDF16_DF16_EviT5_lT_liPT6_PT4_
; %bb.0:
	s_clause 0x2
	s_load_b32 s11, s[0:1], 0x0
	s_load_b128 s[4:7], s[0:1], 0x30
	s_load_b32 s10, s[0:1], 0x40
	v_lshl_or_b32 v1, s14, 9, v0
	v_mov_b32_e32 v3, 0
	s_mov_b32 s2, s15
	s_mov_b32 s3, 0
	s_mov_b32 s12, exec_lo
	s_waitcnt lgkmcnt(0)
	v_cmpx_gt_i32_e64 s11, v1
	s_cbranch_execz .LBB503_4
; %bb.1:
	s_clause 0x2
	s_load_b32 s13, s[0:1], 0x18
	s_load_b64 s[8:9], s[0:1], 0x20
	s_load_b128 s[16:19], s[0:1], 0x8
	s_lshl_b32 s1, s10, 9
	s_mov_b32 s15, s3
	v_add_nc_u32_e32 v4, s1, v1
	s_waitcnt lgkmcnt(0)
	v_mad_i64_i32 v[2:3], null, s13, v1, 0
	s_mul_i32 s0, s9, s2
	s_mul_hi_u32 s9, s8, s2
	s_mul_i32 s8, s8, s2
	s_add_i32 s9, s9, s0
	s_lshl_b64 s[18:19], s[18:19], 1
	s_lshl_b64 s[8:9], s[8:9], 1
	s_delay_alu instid0(VALU_DEP_1)
	v_lshlrev_b64 v[1:2], 1, v[2:3]
	v_mov_b32_e32 v3, 0
	s_add_u32 s0, s16, s18
	s_mul_hi_i32 s21, s13, s1
	s_mul_i32 s20, s13, s1
	s_addc_u32 s13, s17, s19
	s_add_u32 s0, s0, s8
	s_addc_u32 s8, s13, s9
	v_add_co_u32 v1, vcc_lo, s0, v1
	v_add_co_ci_u32_e32 v2, vcc_lo, s8, v2, vcc_lo
	s_lshl_b64 s[8:9], s[20:21], 1
	s_mov_b32 s13, s3
	.p2align	6
.LBB503_2:                              ; =>This Inner Loop Header: Depth=1
	global_load_u16 v5, v[1:2], off
	s_add_i32 s16, s15, 1
	v_cmp_le_i32_e32 vcc_lo, s11, v4
	v_add_co_u32 v1, s0, v1, s8
	s_cmp_gt_u32 s15, 6
	v_add_co_ci_u32_e64 v2, s0, s9, v2, s0
	s_cselect_b32 s0, -1, 0
	v_add_nc_u32_e32 v4, s1, v4
	s_or_b32 s0, s0, vcc_lo
	s_mov_b32 s15, s16
	s_and_b32 s0, exec_lo, s0
	s_delay_alu instid0(SALU_CYCLE_1)
	s_or_b32 s13, s0, s13
	s_waitcnt vmcnt(0)
	v_fmac_f16_e32 v3, v5, v5
	s_and_not1_b32 exec_lo, exec_lo, s13
	s_cbranch_execnz .LBB503_2
; %bb.3:
	s_or_b32 exec_lo, exec_lo, s13
.LBB503_4:
	s_delay_alu instid0(SALU_CYCLE_1) | instskip(SKIP_2) | instid1(VALU_DEP_2)
	s_or_b32 exec_lo, exec_lo, s12
	v_and_b32_e32 v2, 31, v0
	v_cmp_gt_u32_e32 vcc_lo, 32, v0
	v_lshlrev_b32_e32 v1, 1, v2
	s_and_saveexec_b32 s0, vcc_lo
	s_cbranch_execz .LBB503_6
; %bb.5:
	v_mov_b32_e32 v4, 0
	ds_store_b16 v1, v4
.LBB503_6:
	s_or_b32 exec_lo, exec_lo, s0
	v_mbcnt_lo_u32_b32 v6, -1, 0
	v_and_b32_e32 v5, 0xffff, v3
	s_mov_b32 s1, exec_lo
	s_waitcnt lgkmcnt(0)
	s_barrier
	v_cmp_gt_u32_e64 s0, 16, v6
	buffer_gl0_inv
	v_cndmask_b32_e64 v4, 0, 1, s0
	v_cmp_gt_u32_e64 s0, 24, v6
	s_delay_alu instid0(VALU_DEP_2) | instskip(NEXT) | instid1(VALU_DEP_1)
	v_lshlrev_b32_e32 v4, 4, v4
	v_add_lshl_u32 v4, v4, v6, 2
	ds_bpermute_b32 v4, v4, v5
	v_cndmask_b32_e64 v5, 0, 1, s0
	v_cmp_gt_u32_e64 s0, 28, v6
	s_waitcnt lgkmcnt(0)
	v_add_f16_e32 v7, v3, v4
	s_delay_alu instid0(VALU_DEP_3) | instskip(NEXT) | instid1(VALU_DEP_2)
	v_lshlrev_b32_e32 v3, 3, v5
	v_and_b32_e32 v5, 0xffff, v7
	s_delay_alu instid0(VALU_DEP_2) | instskip(NEXT) | instid1(VALU_DEP_2)
	v_add_lshl_u32 v3, v3, v6, 2
	v_and_or_b32 v4, 0xffff0000, v4, v5
	ds_bpermute_b32 v5, v3, v4
	v_cndmask_b32_e64 v4, 0, 1, s0
	v_cmp_gt_u32_e64 s0, 30, v6
	s_delay_alu instid0(VALU_DEP_2) | instskip(NEXT) | instid1(VALU_DEP_1)
	v_lshlrev_b32_e32 v4, 2, v4
	v_add_lshl_u32 v4, v4, v6, 2
	s_waitcnt lgkmcnt(0)
	v_add_f16_e32 v7, v7, v5
	s_delay_alu instid0(VALU_DEP_1) | instskip(NEXT) | instid1(VALU_DEP_1)
	v_and_b32_e32 v8, 0xffff, v7
	v_and_or_b32 v5, 0xffff0000, v5, v8
	ds_bpermute_b32 v8, v4, v5
	v_cndmask_b32_e64 v5, 0, 1, s0
	v_cmp_ne_u32_e64 s0, 31, v6
	s_delay_alu instid0(VALU_DEP_2) | instskip(NEXT) | instid1(VALU_DEP_1)
	v_lshlrev_b32_e32 v5, 1, v5
	v_add_lshl_u32 v5, v5, v6, 2
	s_delay_alu instid0(VALU_DEP_3) | instskip(NEXT) | instid1(VALU_DEP_1)
	v_add_co_ci_u32_e64 v6, s0, 0, v6, s0
	v_lshlrev_b32_e32 v6, 2, v6
	s_waitcnt lgkmcnt(0)
	v_add_f16_e32 v7, v7, v8
	s_delay_alu instid0(VALU_DEP_1) | instskip(NEXT) | instid1(VALU_DEP_1)
	v_and_b32_e32 v9, 0xffff, v7
	v_and_or_b32 v8, 0xffff0000, v8, v9
	ds_bpermute_b32 v8, v5, v8
	s_waitcnt lgkmcnt(0)
	v_add_f16_e32 v7, v7, v8
	s_delay_alu instid0(VALU_DEP_1) | instskip(NEXT) | instid1(VALU_DEP_1)
	v_and_b32_e32 v9, 0xffff, v7
	v_and_or_b32 v8, 0xffff0000, v8, v9
	ds_bpermute_b32 v8, v6, v8
	v_cmpx_eq_u32_e32 0, v2
	s_cbranch_execz .LBB503_8
; %bb.7:
	v_lshrrev_b32_e32 v2, 4, v0
	s_waitcnt lgkmcnt(0)
	v_add_f16_e32 v7, v7, v8
	s_delay_alu instid0(VALU_DEP_2)
	v_and_b32_e32 v2, 30, v2
	ds_store_b16 v2, v7
.LBB503_8:
	s_or_b32 exec_lo, exec_lo, s1
	v_mov_b32_e32 v2, 0
	s_mov_b32 s1, exec_lo
	s_waitcnt lgkmcnt(0)
	s_barrier
	buffer_gl0_inv
	v_cmpx_gt_u32_e32 16, v0
	s_cbranch_execz .LBB503_10
; %bb.9:
	ds_load_u16 v2, v1
.LBB503_10:
	s_or_b32 exec_lo, exec_lo, s1
	s_and_saveexec_b32 s0, vcc_lo
	s_cbranch_execz .LBB503_12
; %bb.11:
	s_waitcnt lgkmcnt(0)
	v_and_b32_e32 v1, 0xffff, v2
	ds_bpermute_b32 v1, v3, v1
	s_waitcnt lgkmcnt(0)
	v_add_f16_e32 v2, v2, v1
	s_delay_alu instid0(VALU_DEP_1) | instskip(NEXT) | instid1(VALU_DEP_1)
	v_and_b32_e32 v3, 0xffff, v2
	v_and_or_b32 v1, 0xffff0000, v1, v3
	ds_bpermute_b32 v1, v4, v1
	s_waitcnt lgkmcnt(0)
	v_add_f16_e32 v2, v2, v1
	s_delay_alu instid0(VALU_DEP_1) | instskip(NEXT) | instid1(VALU_DEP_1)
	v_and_b32_e32 v3, 0xffff, v2
	v_and_or_b32 v1, 0xffff0000, v1, v3
	;; [unrolled: 6-line block ×3, first 2 shown]
	ds_bpermute_b32 v1, v6, v1
	s_waitcnt lgkmcnt(0)
	v_add_f16_e32 v2, v2, v1
.LBB503_12:
	s_or_b32 exec_lo, exec_lo, s0
	s_delay_alu instid0(SALU_CYCLE_1)
	s_mov_b32 s0, exec_lo
	v_cmpx_eq_u32_e32 0, v0
	s_cbranch_execz .LBB503_18
; %bb.13:
	s_cmp_lg_u32 s10, 1
	s_cbranch_scc0 .LBB503_15
; %bb.14:
	s_mul_hi_u32 s1, s10, s2
	s_mul_i32 s0, s10, s2
	s_mov_b32 s15, 0
	s_lshl_b64 s[0:1], s[0:1], 1
	s_delay_alu instid0(SALU_CYCLE_1) | instskip(SKIP_2) | instid1(SALU_CYCLE_1)
	s_add_u32 s4, s4, s0
	s_addc_u32 s5, s5, s1
	s_lshl_b64 s[0:1], s[14:15], 1
	s_add_u32 s0, s4, s0
	s_addc_u32 s1, s5, s1
	s_cbranch_execz .LBB503_16
	s_branch .LBB503_17
.LBB503_15:
                                        ; implicit-def: $sgpr0_sgpr1
.LBB503_16:
	s_lshl_b64 s[0:1], s[2:3], 1
	s_delay_alu instid0(SALU_CYCLE_1)
	s_add_u32 s0, s6, s0
	s_addc_u32 s1, s7, s1
.LBB503_17:
	v_mov_b32_e32 v0, 0
	s_waitcnt lgkmcnt(0)
	global_store_b16 v0, v2, s[0:1]
.LBB503_18:
	s_nop 0
	s_sendmsg sendmsg(MSG_DEALLOC_VGPRS)
	s_endpgm
	.section	.rodata,"a",@progbits
	.p2align	6, 0x0
	.amdhsa_kernel _ZL24rocblas_dot_kernel_magsqIiLb0ELi512ELi8ELb1EDF16_PKDF16_DF16_EviT5_lT_liPT6_PT4_
		.amdhsa_group_segment_fixed_size 64
		.amdhsa_private_segment_fixed_size 0
		.amdhsa_kernarg_size 320
		.amdhsa_user_sgpr_count 14
		.amdhsa_user_sgpr_dispatch_ptr 0
		.amdhsa_user_sgpr_queue_ptr 0
		.amdhsa_user_sgpr_kernarg_segment_ptr 1
		.amdhsa_user_sgpr_dispatch_id 0
		.amdhsa_user_sgpr_private_segment_size 0
		.amdhsa_wavefront_size32 1
		.amdhsa_uses_dynamic_stack 0
		.amdhsa_enable_private_segment 0
		.amdhsa_system_sgpr_workgroup_id_x 1
		.amdhsa_system_sgpr_workgroup_id_y 0
		.amdhsa_system_sgpr_workgroup_id_z 1
		.amdhsa_system_sgpr_workgroup_info 0
		.amdhsa_system_vgpr_workitem_id 0
		.amdhsa_next_free_vgpr 10
		.amdhsa_next_free_sgpr 22
		.amdhsa_reserve_vcc 1
		.amdhsa_float_round_mode_32 0
		.amdhsa_float_round_mode_16_64 0
		.amdhsa_float_denorm_mode_32 3
		.amdhsa_float_denorm_mode_16_64 3
		.amdhsa_dx10_clamp 1
		.amdhsa_ieee_mode 1
		.amdhsa_fp16_overflow 0
		.amdhsa_workgroup_processor_mode 1
		.amdhsa_memory_ordered 1
		.amdhsa_forward_progress 0
		.amdhsa_shared_vgpr_count 0
		.amdhsa_exception_fp_ieee_invalid_op 0
		.amdhsa_exception_fp_denorm_src 0
		.amdhsa_exception_fp_ieee_div_zero 0
		.amdhsa_exception_fp_ieee_overflow 0
		.amdhsa_exception_fp_ieee_underflow 0
		.amdhsa_exception_fp_ieee_inexact 0
		.amdhsa_exception_int_div_zero 0
	.end_amdhsa_kernel
	.section	.text._ZL24rocblas_dot_kernel_magsqIiLb0ELi512ELi8ELb1EDF16_PKDF16_DF16_EviT5_lT_liPT6_PT4_,"axG",@progbits,_ZL24rocblas_dot_kernel_magsqIiLb0ELi512ELi8ELb1EDF16_PKDF16_DF16_EviT5_lT_liPT6_PT4_,comdat
.Lfunc_end503:
	.size	_ZL24rocblas_dot_kernel_magsqIiLb0ELi512ELi8ELb1EDF16_PKDF16_DF16_EviT5_lT_liPT6_PT4_, .Lfunc_end503-_ZL24rocblas_dot_kernel_magsqIiLb0ELi512ELi8ELb1EDF16_PKDF16_DF16_EviT5_lT_liPT6_PT4_
                                        ; -- End function
	.section	.AMDGPU.csdata,"",@progbits
; Kernel info:
; codeLenInByte = 1048
; NumSgprs: 24
; NumVgprs: 10
; ScratchSize: 0
; MemoryBound: 0
; FloatMode: 240
; IeeeMode: 1
; LDSByteSize: 64 bytes/workgroup (compile time only)
; SGPRBlocks: 2
; VGPRBlocks: 1
; NumSGPRsForWavesPerEU: 24
; NumVGPRsForWavesPerEU: 10
; Occupancy: 16
; WaveLimiterHint : 0
; COMPUTE_PGM_RSRC2:SCRATCH_EN: 0
; COMPUTE_PGM_RSRC2:USER_SGPR: 14
; COMPUTE_PGM_RSRC2:TRAP_HANDLER: 0
; COMPUTE_PGM_RSRC2:TGID_X_EN: 1
; COMPUTE_PGM_RSRC2:TGID_Y_EN: 0
; COMPUTE_PGM_RSRC2:TGID_Z_EN: 1
; COMPUTE_PGM_RSRC2:TIDIG_COMP_CNT: 0
	.section	.text._ZL30rocblas_reduction_kernel_part2ILi512ELi8E25rocblas_finalize_identityDF16_DF16_EviPT2_PT3_,"axG",@progbits,_ZL30rocblas_reduction_kernel_part2ILi512ELi8E25rocblas_finalize_identityDF16_DF16_EviPT2_PT3_,comdat
	.globl	_ZL30rocblas_reduction_kernel_part2ILi512ELi8E25rocblas_finalize_identityDF16_DF16_EviPT2_PT3_ ; -- Begin function _ZL30rocblas_reduction_kernel_part2ILi512ELi8E25rocblas_finalize_identityDF16_DF16_EviPT2_PT3_
	.p2align	8
	.type	_ZL30rocblas_reduction_kernel_part2ILi512ELi8E25rocblas_finalize_identityDF16_DF16_EviPT2_PT3_,@function
_ZL30rocblas_reduction_kernel_part2ILi512ELi8E25rocblas_finalize_identityDF16_DF16_EviPT2_PT3_: ; @_ZL30rocblas_reduction_kernel_part2ILi512ELi8E25rocblas_finalize_identityDF16_DF16_EviPT2_PT3_
; %bb.0:
	s_clause 0x1
	s_load_b32 s10, s[0:1], 0x0
	s_load_b128 s[4:7], s[0:1], 0x8
	v_dual_mov_b32 v3, 0 :: v_dual_lshlrev_b32 v4, 3, v0
	s_mov_b32 s2, s15
	s_mov_b32 s3, 0
	s_mov_b32 s11, exec_lo
	s_waitcnt lgkmcnt(0)
	s_ashr_i32 s0, s10, 31
	s_mul_hi_u32 s8, s10, s15
	s_lshr_b32 s1, s0, 29
	s_mul_i32 s0, s0, s15
	s_add_i32 s1, s10, s1
	s_add_i32 s9, s8, s0
	s_and_b32 s1, s1, -8
	s_mul_i32 s8, s10, s15
	v_cmpx_gt_i32_e64 s1, v4
	s_cbranch_execz .LBB504_4
; %bb.1:
	v_lshlrev_b32_e32 v1, 4, v0
	s_lshl_b64 s[12:13], s[8:9], 1
	v_mov_b32_e32 v3, 0
	s_add_u32 s0, s4, s12
	s_addc_u32 s12, s5, s13
	v_add_co_u32 v1, s0, s0, v1
	s_delay_alu instid0(VALU_DEP_1) | instskip(SKIP_1) | instid1(VALU_DEP_2)
	v_add_co_ci_u32_e64 v2, null, s12, 0, s0
	s_mov_b32 s12, s3
	v_add_co_u32 v1, vcc_lo, v1, 14
	s_delay_alu instid0(VALU_DEP_2)
	v_add_co_ci_u32_e32 v2, vcc_lo, 0, v2, vcc_lo
	.p2align	6
.LBB504_2:                              ; =>This Inner Loop Header: Depth=1
	global_load_b128 v[5:8], v[1:2], off offset:-14
	v_add_nc_u32_e32 v4, 0x1000, v4
	v_add_co_u32 v1, vcc_lo, 0x2000, v1
	v_add_co_ci_u32_e32 v2, vcc_lo, 0, v2, vcc_lo
	s_delay_alu instid0(VALU_DEP_3) | instskip(NEXT) | instid1(VALU_DEP_1)
	v_cmp_le_i32_e64 s0, s1, v4
	s_or_b32 s12, s0, s12
	s_waitcnt vmcnt(0)
	v_lshrrev_b32_e32 v9, 16, v5
	v_add_f16_e32 v3, v3, v5
	v_lshrrev_b32_e32 v5, 16, v6
	s_delay_alu instid0(VALU_DEP_2) | instskip(NEXT) | instid1(VALU_DEP_1)
	v_add_f16_e32 v3, v3, v9
	v_add_f16_e32 v3, v3, v6
	s_delay_alu instid0(VALU_DEP_1) | instskip(SKIP_1) | instid1(VALU_DEP_2)
	v_add_f16_e32 v3, v3, v5
	v_lshrrev_b32_e32 v5, 16, v7
	v_add_f16_e32 v3, v3, v7
	s_delay_alu instid0(VALU_DEP_1) | instskip(SKIP_1) | instid1(VALU_DEP_2)
	v_add_f16_e32 v3, v3, v5
	v_lshrrev_b32_e32 v5, 16, v8
	v_add_f16_e32 v3, v3, v8
	s_delay_alu instid0(VALU_DEP_1)
	v_add_f16_e32 v3, v3, v5
	s_and_not1_b32 exec_lo, exec_lo, s12
	s_cbranch_execnz .LBB504_2
; %bb.3:
	s_or_b32 exec_lo, exec_lo, s12
.LBB504_4:
	s_delay_alu instid0(SALU_CYCLE_1) | instskip(SKIP_1) | instid1(SALU_CYCLE_1)
	s_or_b32 exec_lo, exec_lo, s11
	s_sub_i32 s0, s10, s1
	v_cmp_gt_u32_e32 vcc_lo, s0, v0
	s_and_saveexec_b32 s0, vcc_lo
	s_cbranch_execz .LBB504_6
; %bb.5:
	v_xad_u32 v1, v0, -1, s10
	v_mov_b32_e32 v2, 0
	s_lshl_b64 s[8:9], s[8:9], 1
	s_delay_alu instid0(SALU_CYCLE_1) | instskip(SKIP_1) | instid1(VALU_DEP_1)
	s_add_u32 s1, s4, s8
	s_addc_u32 s4, s5, s9
	v_lshlrev_b64 v[1:2], 1, v[1:2]
	s_delay_alu instid0(VALU_DEP_1) | instskip(NEXT) | instid1(VALU_DEP_2)
	v_add_co_u32 v1, vcc_lo, s1, v1
	v_add_co_ci_u32_e32 v2, vcc_lo, s4, v2, vcc_lo
	global_load_u16 v1, v[1:2], off
	s_waitcnt vmcnt(0)
	v_add_f16_e32 v3, v3, v1
.LBB504_6:
	s_or_b32 exec_lo, exec_lo, s0
	v_and_b32_e32 v4, 31, v0
	v_cmp_gt_u32_e32 vcc_lo, 32, v0
	s_delay_alu instid0(VALU_DEP_2)
	v_lshlrev_b32_e32 v1, 1, v4
	s_and_saveexec_b32 s0, vcc_lo
	s_cbranch_execz .LBB504_8
; %bb.7:
	v_mov_b32_e32 v2, 0
	ds_store_b16 v1, v2
.LBB504_8:
	s_or_b32 exec_lo, exec_lo, s0
	v_mbcnt_lo_u32_b32 v6, -1, 0
	v_and_b32_e32 v5, 0xffff, v3
	s_mov_b32 s1, exec_lo
	s_waitcnt lgkmcnt(0)
	s_barrier
	v_cmp_gt_u32_e64 s0, 16, v6
	buffer_gl0_inv
	v_cndmask_b32_e64 v2, 0, 1, s0
	v_cmp_gt_u32_e64 s0, 24, v6
	s_delay_alu instid0(VALU_DEP_2) | instskip(NEXT) | instid1(VALU_DEP_1)
	v_lshlrev_b32_e32 v2, 4, v2
	v_add_lshl_u32 v2, v2, v6, 2
	ds_bpermute_b32 v5, v2, v5
	v_cndmask_b32_e64 v2, 0, 1, s0
	v_cmp_gt_u32_e64 s0, 28, v6
	s_delay_alu instid0(VALU_DEP_2) | instskip(NEXT) | instid1(VALU_DEP_1)
	v_lshlrev_b32_e32 v2, 3, v2
	v_add_lshl_u32 v2, v2, v6, 2
	s_waitcnt lgkmcnt(0)
	v_add_f16_e32 v3, v3, v5
	s_delay_alu instid0(VALU_DEP_1) | instskip(NEXT) | instid1(VALU_DEP_1)
	v_and_b32_e32 v7, 0xffff, v3
	v_and_or_b32 v5, 0xffff0000, v5, v7
	v_cndmask_b32_e64 v7, 0, 1, s0
	v_cmp_gt_u32_e64 s0, 30, v6
	ds_bpermute_b32 v5, v2, v5
	s_waitcnt lgkmcnt(0)
	v_add_f16_e32 v8, v3, v5
	v_lshlrev_b32_e32 v3, 2, v7
	s_delay_alu instid0(VALU_DEP_2) | instskip(NEXT) | instid1(VALU_DEP_2)
	v_and_b32_e32 v7, 0xffff, v8
	v_add_lshl_u32 v3, v3, v6, 2
	s_delay_alu instid0(VALU_DEP_2) | instskip(SKIP_3) | instid1(VALU_DEP_2)
	v_and_or_b32 v5, 0xffff0000, v5, v7
	ds_bpermute_b32 v7, v3, v5
	v_cndmask_b32_e64 v5, 0, 1, s0
	v_cmp_ne_u32_e64 s0, 31, v6
	v_lshlrev_b32_e32 v5, 1, v5
	s_delay_alu instid0(VALU_DEP_1) | instskip(NEXT) | instid1(VALU_DEP_3)
	v_add_lshl_u32 v5, v5, v6, 2
	v_add_co_ci_u32_e64 v6, s0, 0, v6, s0
	s_delay_alu instid0(VALU_DEP_1) | instskip(SKIP_2) | instid1(VALU_DEP_1)
	v_lshlrev_b32_e32 v6, 2, v6
	s_waitcnt lgkmcnt(0)
	v_add_f16_e32 v8, v8, v7
	v_and_b32_e32 v9, 0xffff, v8
	s_delay_alu instid0(VALU_DEP_1) | instskip(SKIP_3) | instid1(VALU_DEP_1)
	v_and_or_b32 v7, 0xffff0000, v7, v9
	ds_bpermute_b32 v9, v5, v7
	s_waitcnt lgkmcnt(0)
	v_add_f16_e32 v7, v8, v9
	v_and_b32_e32 v8, 0xffff, v7
	s_delay_alu instid0(VALU_DEP_1)
	v_and_or_b32 v8, 0xffff0000, v9, v8
	ds_bpermute_b32 v8, v6, v8
	v_cmpx_eq_u32_e32 0, v4
	s_cbranch_execz .LBB504_10
; %bb.9:
	v_lshrrev_b32_e32 v4, 4, v0
	s_waitcnt lgkmcnt(0)
	v_add_f16_e32 v7, v7, v8
	s_delay_alu instid0(VALU_DEP_2)
	v_and_b32_e32 v4, 30, v4
	ds_store_b16 v4, v7
.LBB504_10:
	s_or_b32 exec_lo, exec_lo, s1
	v_mov_b32_e32 v4, 0
	s_mov_b32 s1, exec_lo
	s_waitcnt lgkmcnt(0)
	s_barrier
	buffer_gl0_inv
	v_cmpx_gt_u32_e32 16, v0
	s_cbranch_execz .LBB504_12
; %bb.11:
	ds_load_u16 v4, v1
.LBB504_12:
	s_or_b32 exec_lo, exec_lo, s1
	s_and_saveexec_b32 s0, vcc_lo
	s_cbranch_execz .LBB504_14
; %bb.13:
	s_waitcnt lgkmcnt(0)
	v_and_b32_e32 v1, 0xffff, v4
	ds_bpermute_b32 v1, v2, v1
	s_waitcnt lgkmcnt(0)
	v_add_f16_e32 v2, v4, v1
	s_delay_alu instid0(VALU_DEP_1) | instskip(NEXT) | instid1(VALU_DEP_1)
	v_and_b32_e32 v4, 0xffff, v2
	v_and_or_b32 v1, 0xffff0000, v1, v4
	ds_bpermute_b32 v1, v3, v1
	s_waitcnt lgkmcnt(0)
	v_add_f16_e32 v2, v2, v1
	s_delay_alu instid0(VALU_DEP_1) | instskip(NEXT) | instid1(VALU_DEP_1)
	v_and_b32_e32 v3, 0xffff, v2
	v_and_or_b32 v1, 0xffff0000, v1, v3
	;; [unrolled: 6-line block ×3, first 2 shown]
	ds_bpermute_b32 v1, v6, v1
	s_waitcnt lgkmcnt(0)
	v_add_f16_e32 v4, v2, v1
.LBB504_14:
	s_or_b32 exec_lo, exec_lo, s0
	s_delay_alu instid0(SALU_CYCLE_1)
	s_mov_b32 s0, exec_lo
	v_cmpx_eq_u32_e32 0, v0
	s_cbranch_execz .LBB504_16
; %bb.15:
	s_lshl_b64 s[0:1], s[2:3], 1
	v_mov_b32_e32 v0, 0
	s_add_u32 s0, s6, s0
	s_addc_u32 s1, s7, s1
	s_waitcnt lgkmcnt(0)
	global_store_b16 v0, v4, s[0:1]
.LBB504_16:
	s_nop 0
	s_sendmsg sendmsg(MSG_DEALLOC_VGPRS)
	s_endpgm
	.section	.rodata,"a",@progbits
	.p2align	6, 0x0
	.amdhsa_kernel _ZL30rocblas_reduction_kernel_part2ILi512ELi8E25rocblas_finalize_identityDF16_DF16_EviPT2_PT3_
		.amdhsa_group_segment_fixed_size 64
		.amdhsa_private_segment_fixed_size 0
		.amdhsa_kernarg_size 24
		.amdhsa_user_sgpr_count 15
		.amdhsa_user_sgpr_dispatch_ptr 0
		.amdhsa_user_sgpr_queue_ptr 0
		.amdhsa_user_sgpr_kernarg_segment_ptr 1
		.amdhsa_user_sgpr_dispatch_id 0
		.amdhsa_user_sgpr_private_segment_size 0
		.amdhsa_wavefront_size32 1
		.amdhsa_uses_dynamic_stack 0
		.amdhsa_enable_private_segment 0
		.amdhsa_system_sgpr_workgroup_id_x 1
		.amdhsa_system_sgpr_workgroup_id_y 0
		.amdhsa_system_sgpr_workgroup_id_z 0
		.amdhsa_system_sgpr_workgroup_info 0
		.amdhsa_system_vgpr_workitem_id 0
		.amdhsa_next_free_vgpr 10
		.amdhsa_next_free_sgpr 16
		.amdhsa_reserve_vcc 1
		.amdhsa_float_round_mode_32 0
		.amdhsa_float_round_mode_16_64 0
		.amdhsa_float_denorm_mode_32 3
		.amdhsa_float_denorm_mode_16_64 3
		.amdhsa_dx10_clamp 1
		.amdhsa_ieee_mode 1
		.amdhsa_fp16_overflow 0
		.amdhsa_workgroup_processor_mode 1
		.amdhsa_memory_ordered 1
		.amdhsa_forward_progress 0
		.amdhsa_shared_vgpr_count 0
		.amdhsa_exception_fp_ieee_invalid_op 0
		.amdhsa_exception_fp_denorm_src 0
		.amdhsa_exception_fp_ieee_div_zero 0
		.amdhsa_exception_fp_ieee_overflow 0
		.amdhsa_exception_fp_ieee_underflow 0
		.amdhsa_exception_fp_ieee_inexact 0
		.amdhsa_exception_int_div_zero 0
	.end_amdhsa_kernel
	.section	.text._ZL30rocblas_reduction_kernel_part2ILi512ELi8E25rocblas_finalize_identityDF16_DF16_EviPT2_PT3_,"axG",@progbits,_ZL30rocblas_reduction_kernel_part2ILi512ELi8E25rocblas_finalize_identityDF16_DF16_EviPT2_PT3_,comdat
.Lfunc_end504:
	.size	_ZL30rocblas_reduction_kernel_part2ILi512ELi8E25rocblas_finalize_identityDF16_DF16_EviPT2_PT3_, .Lfunc_end504-_ZL30rocblas_reduction_kernel_part2ILi512ELi8E25rocblas_finalize_identityDF16_DF16_EviPT2_PT3_
                                        ; -- End function
	.section	.AMDGPU.csdata,"",@progbits
; Kernel info:
; codeLenInByte = 1068
; NumSgprs: 18
; NumVgprs: 10
; ScratchSize: 0
; MemoryBound: 0
; FloatMode: 240
; IeeeMode: 1
; LDSByteSize: 64 bytes/workgroup (compile time only)
; SGPRBlocks: 2
; VGPRBlocks: 1
; NumSGPRsForWavesPerEU: 18
; NumVGPRsForWavesPerEU: 10
; Occupancy: 16
; WaveLimiterHint : 0
; COMPUTE_PGM_RSRC2:SCRATCH_EN: 0
; COMPUTE_PGM_RSRC2:USER_SGPR: 15
; COMPUTE_PGM_RSRC2:TRAP_HANDLER: 0
; COMPUTE_PGM_RSRC2:TGID_X_EN: 1
; COMPUTE_PGM_RSRC2:TGID_Y_EN: 0
; COMPUTE_PGM_RSRC2:TGID_Z_EN: 0
; COMPUTE_PGM_RSRC2:TIDIG_COMP_CNT: 0
	.section	.text._ZL28rocblas_dot_batched_4_kernelIlLi32ELi4ELb1EDF16_DF16_PKDF16_EviT5_lT_lS2_lS3_liPT4_,"axG",@progbits,_ZL28rocblas_dot_batched_4_kernelIlLi32ELi4ELb1EDF16_DF16_PKDF16_EviT5_lT_lS2_lS3_liPT4_,comdat
	.globl	_ZL28rocblas_dot_batched_4_kernelIlLi32ELi4ELb1EDF16_DF16_PKDF16_EviT5_lT_lS2_lS3_liPT4_ ; -- Begin function _ZL28rocblas_dot_batched_4_kernelIlLi32ELi4ELb1EDF16_DF16_PKDF16_EviT5_lT_lS2_lS3_liPT4_
	.p2align	8
	.type	_ZL28rocblas_dot_batched_4_kernelIlLi32ELi4ELb1EDF16_DF16_PKDF16_EviT5_lT_lS2_lS3_liPT4_,@function
_ZL28rocblas_dot_batched_4_kernelIlLi32ELi4ELb1EDF16_DF16_PKDF16_EviT5_lT_lS2_lS3_liPT4_: ; @_ZL28rocblas_dot_batched_4_kernelIlLi32ELi4ELb1EDF16_DF16_PKDF16_EviT5_lT_lS2_lS3_liPT4_
; %bb.0:
	s_load_b32 s2, s[0:1], 0x48
	v_bfe_u32 v1, v0, 10, 10
	s_delay_alu instid0(VALU_DEP_1) | instskip(SKIP_1) | instid1(VALU_DEP_1)
	v_lshl_add_u32 v1, s15, 2, v1
	s_waitcnt lgkmcnt(0)
	v_cmp_gt_u32_e32 vcc_lo, s2, v1
	s_and_saveexec_b32 s2, vcc_lo
	s_cbranch_execz .LBB505_7
; %bb.1:
	s_clause 0x1
	s_load_b32 s16, s[0:1], 0x0
	s_load_b64 s[2:3], s[0:1], 0x50
	v_mov_b32_e32 v2, 0
	v_and_b32_e32 v0, 0x3ff, v0
	s_mov_b32 s17, exec_lo
	s_delay_alu instid0(VALU_DEP_2) | instskip(SKIP_1) | instid1(VALU_DEP_2)
	v_mov_b32_e32 v7, v2
	s_waitcnt lgkmcnt(0)
	v_cmpx_gt_i32_e64 s16, v0
	s_cbranch_execz .LBB505_5
; %bb.2:
	s_clause 0x3
	s_load_b128 s[12:15], s[0:1], 0x10
	s_load_b256 s[4:11], s[0:1], 0x20
	s_load_b64 s[18:19], s[0:1], 0x40
	s_load_b64 s[0:1], s[0:1], 0x8
	s_waitcnt lgkmcnt(0)
	v_mad_u64_u32 v[3:4], null, s14, v0, 0
	v_mad_u64_u32 v[5:6], null, s4, v1, 0
	;; [unrolled: 1-line block ×4, first 2 shown]
	s_lshl_b64 s[12:13], s[12:13], 1
	s_delay_alu instid0(VALU_DEP_3) | instskip(SKIP_4) | instid1(VALU_DEP_2)
	v_mad_u64_u32 v[12:13], null, s15, v0, v[4:5]
	v_mov_b32_e32 v7, 0
	s_add_u32 s12, s0, s12
	s_addc_u32 s13, s1, s13
	s_lshl_b64 s[0:1], s[8:9], 1
	v_mov_b32_e32 v4, v12
	v_mad_u64_u32 v[13:14], null, s5, v1, v[6:7]
	v_mad_u64_u32 v[14:15], null, s11, v0, v[9:10]
	v_mad_u64_u32 v[15:16], null, s19, v1, v[11:12]
	s_delay_alu instid0(VALU_DEP_4) | instskip(SKIP_1) | instid1(VALU_DEP_4)
	v_lshlrev_b64 v[3:4], 1, v[3:4]
	s_lshl_b64 s[4:5], s[14:15], 6
	v_mov_b32_e32 v6, v13
	s_add_u32 s0, s6, s0
	s_delay_alu instid0(VALU_DEP_4) | instskip(SKIP_1) | instid1(VALU_DEP_4)
	v_mov_b32_e32 v9, v14
	s_addc_u32 s1, s7, s1
	v_mov_b32_e32 v11, v15
	v_lshlrev_b64 v[5:6], 1, v[5:6]
	s_lshl_b64 s[6:7], s[10:11], 6
	v_lshlrev_b64 v[8:9], 1, v[8:9]
	s_delay_alu instid0(VALU_DEP_3) | instskip(NEXT) | instid1(VALU_DEP_3)
	v_lshlrev_b64 v[10:11], 1, v[10:11]
	v_add_co_u32 v3, vcc_lo, v3, v5
	s_delay_alu instid0(VALU_DEP_4) | instskip(NEXT) | instid1(VALU_DEP_3)
	v_add_co_ci_u32_e32 v4, vcc_lo, v4, v6, vcc_lo
	v_add_co_u32 v5, vcc_lo, v8, v10
	v_mov_b32_e32 v8, v0
	v_add_co_ci_u32_e32 v6, vcc_lo, v9, v11, vcc_lo
	v_add_co_u32 v3, vcc_lo, s12, v3
	v_add_co_ci_u32_e32 v4, vcc_lo, s13, v4, vcc_lo
	v_add_co_u32 v5, vcc_lo, s0, v5
	s_delay_alu instid0(VALU_DEP_4)
	v_add_co_ci_u32_e32 v6, vcc_lo, s1, v6, vcc_lo
	s_mov_b32 s1, 0
	.p2align	6
.LBB505_3:                              ; =>This Inner Loop Header: Depth=1
	global_load_u16 v9, v[3:4], off
	global_load_u16 v10, v[5:6], off
	v_add_nc_u32_e32 v8, 32, v8
	v_add_co_u32 v3, vcc_lo, v3, s4
	v_add_co_ci_u32_e32 v4, vcc_lo, s5, v4, vcc_lo
	v_add_co_u32 v5, vcc_lo, v5, s6
	s_delay_alu instid0(VALU_DEP_4) | instskip(SKIP_1) | instid1(VALU_DEP_2)
	v_cmp_le_i32_e64 s0, s16, v8
	v_add_co_ci_u32_e32 v6, vcc_lo, s7, v6, vcc_lo
	s_or_b32 s1, s0, s1
	s_waitcnt vmcnt(0)
	v_fmac_f16_e32 v7, v9, v10
	s_and_not1_b32 exec_lo, exec_lo, s1
	s_cbranch_execnz .LBB505_3
; %bb.4:
	s_or_b32 exec_lo, exec_lo, s1
.LBB505_5:
	s_delay_alu instid0(SALU_CYCLE_1)
	s_or_b32 exec_lo, exec_lo, s17
	v_mbcnt_lo_u32_b32 v4, -1, 0
	v_and_b32_e32 v5, 0xffff, v7
	s_barrier
	buffer_gl0_inv
	v_cmp_gt_u32_e32 vcc_lo, 16, v4
	v_cndmask_b32_e64 v3, 0, 1, vcc_lo
	v_cmp_gt_u32_e32 vcc_lo, 24, v4
	s_delay_alu instid0(VALU_DEP_2) | instskip(NEXT) | instid1(VALU_DEP_1)
	v_lshlrev_b32_e32 v3, 4, v3
	v_add_lshl_u32 v3, v3, v4, 2
	ds_bpermute_b32 v3, v3, v5
	v_cndmask_b32_e64 v5, 0, 1, vcc_lo
	v_cmp_gt_u32_e32 vcc_lo, 28, v4
	s_delay_alu instid0(VALU_DEP_2) | instskip(NEXT) | instid1(VALU_DEP_1)
	v_lshlrev_b32_e32 v5, 3, v5
	v_add_lshl_u32 v5, v5, v4, 2
	s_waitcnt lgkmcnt(0)
	v_add_f16_e32 v6, v7, v3
	s_delay_alu instid0(VALU_DEP_1) | instskip(NEXT) | instid1(VALU_DEP_1)
	v_and_b32_e32 v7, 0xffff, v6
	v_and_or_b32 v3, 0xffff0000, v3, v7
	ds_bpermute_b32 v3, v5, v3
	v_cndmask_b32_e64 v5, 0, 1, vcc_lo
	v_cmp_gt_u32_e32 vcc_lo, 30, v4
	s_delay_alu instid0(VALU_DEP_2) | instskip(NEXT) | instid1(VALU_DEP_1)
	v_lshlrev_b32_e32 v5, 2, v5
	v_add_lshl_u32 v5, v5, v4, 2
	s_waitcnt lgkmcnt(0)
	v_add_f16_e32 v6, v6, v3
	s_delay_alu instid0(VALU_DEP_1) | instskip(NEXT) | instid1(VALU_DEP_1)
	v_and_b32_e32 v7, 0xffff, v6
	v_and_or_b32 v3, 0xffff0000, v3, v7
	ds_bpermute_b32 v3, v5, v3
	v_cndmask_b32_e64 v5, 0, 1, vcc_lo
	v_cmp_ne_u32_e32 vcc_lo, 31, v4
	s_delay_alu instid0(VALU_DEP_2) | instskip(NEXT) | instid1(VALU_DEP_1)
	v_lshlrev_b32_e32 v5, 1, v5
	v_add_lshl_u32 v5, v5, v4, 2
	v_add_co_ci_u32_e32 v4, vcc_lo, 0, v4, vcc_lo
	v_cmp_eq_u32_e32 vcc_lo, 0, v0
	s_delay_alu instid0(VALU_DEP_2) | instskip(SKIP_2) | instid1(VALU_DEP_1)
	v_lshlrev_b32_e32 v4, 2, v4
	s_waitcnt lgkmcnt(0)
	v_add_f16_e32 v6, v6, v3
	v_and_b32_e32 v7, 0xffff, v6
	s_delay_alu instid0(VALU_DEP_1) | instskip(SKIP_3) | instid1(VALU_DEP_1)
	v_and_or_b32 v3, 0xffff0000, v3, v7
	ds_bpermute_b32 v5, v5, v3
	s_waitcnt lgkmcnt(0)
	v_add_f16_e32 v3, v6, v5
	v_and_b32_e32 v6, 0xffff, v3
	s_delay_alu instid0(VALU_DEP_1)
	v_and_or_b32 v5, 0xffff0000, v5, v6
	ds_bpermute_b32 v4, v4, v5
	s_and_b32 exec_lo, exec_lo, vcc_lo
	s_cbranch_execz .LBB505_7
; %bb.6:
	v_lshlrev_b64 v[0:1], 1, v[1:2]
	s_waitcnt lgkmcnt(0)
	v_add_f16_e32 v2, v3, v4
	s_delay_alu instid0(VALU_DEP_2) | instskip(NEXT) | instid1(VALU_DEP_3)
	v_add_co_u32 v0, vcc_lo, s2, v0
	v_add_co_ci_u32_e32 v1, vcc_lo, s3, v1, vcc_lo
	global_store_b16 v[0:1], v2, off
.LBB505_7:
	s_nop 0
	s_sendmsg sendmsg(MSG_DEALLOC_VGPRS)
	s_endpgm
	.section	.rodata,"a",@progbits
	.p2align	6, 0x0
	.amdhsa_kernel _ZL28rocblas_dot_batched_4_kernelIlLi32ELi4ELb1EDF16_DF16_PKDF16_EviT5_lT_lS2_lS3_liPT4_
		.amdhsa_group_segment_fixed_size 0
		.amdhsa_private_segment_fixed_size 0
		.amdhsa_kernarg_size 88
		.amdhsa_user_sgpr_count 15
		.amdhsa_user_sgpr_dispatch_ptr 0
		.amdhsa_user_sgpr_queue_ptr 0
		.amdhsa_user_sgpr_kernarg_segment_ptr 1
		.amdhsa_user_sgpr_dispatch_id 0
		.amdhsa_user_sgpr_private_segment_size 0
		.amdhsa_wavefront_size32 1
		.amdhsa_uses_dynamic_stack 0
		.amdhsa_enable_private_segment 0
		.amdhsa_system_sgpr_workgroup_id_x 1
		.amdhsa_system_sgpr_workgroup_id_y 0
		.amdhsa_system_sgpr_workgroup_id_z 0
		.amdhsa_system_sgpr_workgroup_info 0
		.amdhsa_system_vgpr_workitem_id 1
		.amdhsa_next_free_vgpr 17
		.amdhsa_next_free_sgpr 20
		.amdhsa_reserve_vcc 1
		.amdhsa_float_round_mode_32 0
		.amdhsa_float_round_mode_16_64 0
		.amdhsa_float_denorm_mode_32 3
		.amdhsa_float_denorm_mode_16_64 3
		.amdhsa_dx10_clamp 1
		.amdhsa_ieee_mode 1
		.amdhsa_fp16_overflow 0
		.amdhsa_workgroup_processor_mode 1
		.amdhsa_memory_ordered 1
		.amdhsa_forward_progress 0
		.amdhsa_shared_vgpr_count 0
		.amdhsa_exception_fp_ieee_invalid_op 0
		.amdhsa_exception_fp_denorm_src 0
		.amdhsa_exception_fp_ieee_div_zero 0
		.amdhsa_exception_fp_ieee_overflow 0
		.amdhsa_exception_fp_ieee_underflow 0
		.amdhsa_exception_fp_ieee_inexact 0
		.amdhsa_exception_int_div_zero 0
	.end_amdhsa_kernel
	.section	.text._ZL28rocblas_dot_batched_4_kernelIlLi32ELi4ELb1EDF16_DF16_PKDF16_EviT5_lT_lS2_lS3_liPT4_,"axG",@progbits,_ZL28rocblas_dot_batched_4_kernelIlLi32ELi4ELb1EDF16_DF16_PKDF16_EviT5_lT_lS2_lS3_liPT4_,comdat
.Lfunc_end505:
	.size	_ZL28rocblas_dot_batched_4_kernelIlLi32ELi4ELb1EDF16_DF16_PKDF16_EviT5_lT_lS2_lS3_liPT4_, .Lfunc_end505-_ZL28rocblas_dot_batched_4_kernelIlLi32ELi4ELb1EDF16_DF16_PKDF16_EviT5_lT_lS2_lS3_liPT4_
                                        ; -- End function
	.section	.AMDGPU.csdata,"",@progbits
; Kernel info:
; codeLenInByte = 848
; NumSgprs: 22
; NumVgprs: 17
; ScratchSize: 0
; MemoryBound: 0
; FloatMode: 240
; IeeeMode: 1
; LDSByteSize: 0 bytes/workgroup (compile time only)
; SGPRBlocks: 2
; VGPRBlocks: 2
; NumSGPRsForWavesPerEU: 22
; NumVGPRsForWavesPerEU: 17
; Occupancy: 16
; WaveLimiterHint : 0
; COMPUTE_PGM_RSRC2:SCRATCH_EN: 0
; COMPUTE_PGM_RSRC2:USER_SGPR: 15
; COMPUTE_PGM_RSRC2:TRAP_HANDLER: 0
; COMPUTE_PGM_RSRC2:TGID_X_EN: 1
; COMPUTE_PGM_RSRC2:TGID_Y_EN: 0
; COMPUTE_PGM_RSRC2:TGID_Z_EN: 0
; COMPUTE_PGM_RSRC2:TIDIG_COMP_CNT: 1
	.section	.text._ZL28rocblas_dot_batched_4_kernelIlLi64ELi4ELb1EDF16_DF16_PKDF16_EviT5_lT_lS2_lS3_liPT4_,"axG",@progbits,_ZL28rocblas_dot_batched_4_kernelIlLi64ELi4ELb1EDF16_DF16_PKDF16_EviT5_lT_lS2_lS3_liPT4_,comdat
	.globl	_ZL28rocblas_dot_batched_4_kernelIlLi64ELi4ELb1EDF16_DF16_PKDF16_EviT5_lT_lS2_lS3_liPT4_ ; -- Begin function _ZL28rocblas_dot_batched_4_kernelIlLi64ELi4ELb1EDF16_DF16_PKDF16_EviT5_lT_lS2_lS3_liPT4_
	.p2align	8
	.type	_ZL28rocblas_dot_batched_4_kernelIlLi64ELi4ELb1EDF16_DF16_PKDF16_EviT5_lT_lS2_lS3_liPT4_,@function
_ZL28rocblas_dot_batched_4_kernelIlLi64ELi4ELb1EDF16_DF16_PKDF16_EviT5_lT_lS2_lS3_liPT4_: ; @_ZL28rocblas_dot_batched_4_kernelIlLi64ELi4ELb1EDF16_DF16_PKDF16_EviT5_lT_lS2_lS3_liPT4_
; %bb.0:
	s_load_b32 s2, s[0:1], 0x48
	v_bfe_u32 v1, v0, 10, 10
	s_delay_alu instid0(VALU_DEP_1) | instskip(SKIP_1) | instid1(VALU_DEP_1)
	v_lshl_add_u32 v1, s15, 2, v1
	s_waitcnt lgkmcnt(0)
	v_cmp_gt_u32_e32 vcc_lo, s2, v1
	s_and_saveexec_b32 s2, vcc_lo
	s_cbranch_execz .LBB506_7
; %bb.1:
	s_clause 0x1
	s_load_b32 s16, s[0:1], 0x0
	s_load_b64 s[2:3], s[0:1], 0x50
	v_mov_b32_e32 v2, 0
	v_and_b32_e32 v0, 0x3ff, v0
	s_mov_b32 s17, exec_lo
	s_delay_alu instid0(VALU_DEP_2) | instskip(SKIP_1) | instid1(VALU_DEP_2)
	v_mov_b32_e32 v7, v2
	s_waitcnt lgkmcnt(0)
	v_cmpx_gt_i32_e64 s16, v0
	s_cbranch_execz .LBB506_5
; %bb.2:
	s_clause 0x3
	s_load_b128 s[12:15], s[0:1], 0x10
	s_load_b256 s[4:11], s[0:1], 0x20
	s_load_b64 s[18:19], s[0:1], 0x40
	s_load_b64 s[0:1], s[0:1], 0x8
	s_waitcnt lgkmcnt(0)
	v_mad_u64_u32 v[3:4], null, s14, v0, 0
	v_mad_u64_u32 v[5:6], null, s4, v1, 0
	;; [unrolled: 1-line block ×4, first 2 shown]
	s_lshl_b64 s[12:13], s[12:13], 1
	s_delay_alu instid0(VALU_DEP_3) | instskip(SKIP_4) | instid1(VALU_DEP_2)
	v_mad_u64_u32 v[12:13], null, s15, v0, v[4:5]
	v_mov_b32_e32 v7, 0
	s_add_u32 s12, s0, s12
	s_addc_u32 s13, s1, s13
	s_lshl_b64 s[0:1], s[8:9], 1
	v_mov_b32_e32 v4, v12
	v_mad_u64_u32 v[13:14], null, s5, v1, v[6:7]
	v_mad_u64_u32 v[14:15], null, s11, v0, v[9:10]
	v_mad_u64_u32 v[15:16], null, s19, v1, v[11:12]
	s_delay_alu instid0(VALU_DEP_4) | instskip(SKIP_1) | instid1(VALU_DEP_4)
	v_lshlrev_b64 v[3:4], 1, v[3:4]
	s_lshl_b64 s[4:5], s[14:15], 7
	v_mov_b32_e32 v6, v13
	s_add_u32 s0, s6, s0
	s_delay_alu instid0(VALU_DEP_4) | instskip(SKIP_1) | instid1(VALU_DEP_4)
	v_mov_b32_e32 v9, v14
	s_addc_u32 s1, s7, s1
	v_mov_b32_e32 v11, v15
	v_lshlrev_b64 v[5:6], 1, v[5:6]
	s_lshl_b64 s[6:7], s[10:11], 7
	v_lshlrev_b64 v[8:9], 1, v[8:9]
	s_delay_alu instid0(VALU_DEP_3) | instskip(NEXT) | instid1(VALU_DEP_3)
	v_lshlrev_b64 v[10:11], 1, v[10:11]
	v_add_co_u32 v3, vcc_lo, v3, v5
	s_delay_alu instid0(VALU_DEP_4) | instskip(NEXT) | instid1(VALU_DEP_3)
	v_add_co_ci_u32_e32 v4, vcc_lo, v4, v6, vcc_lo
	v_add_co_u32 v5, vcc_lo, v8, v10
	v_mov_b32_e32 v8, v0
	v_add_co_ci_u32_e32 v6, vcc_lo, v9, v11, vcc_lo
	v_add_co_u32 v3, vcc_lo, s12, v3
	v_add_co_ci_u32_e32 v4, vcc_lo, s13, v4, vcc_lo
	v_add_co_u32 v5, vcc_lo, s0, v5
	s_delay_alu instid0(VALU_DEP_4)
	v_add_co_ci_u32_e32 v6, vcc_lo, s1, v6, vcc_lo
	s_mov_b32 s1, 0
	.p2align	6
.LBB506_3:                              ; =>This Inner Loop Header: Depth=1
	global_load_u16 v9, v[3:4], off
	global_load_u16 v10, v[5:6], off
	v_add_nc_u32_e32 v8, 64, v8
	v_add_co_u32 v3, vcc_lo, v3, s4
	v_add_co_ci_u32_e32 v4, vcc_lo, s5, v4, vcc_lo
	v_add_co_u32 v5, vcc_lo, v5, s6
	s_delay_alu instid0(VALU_DEP_4) | instskip(SKIP_1) | instid1(VALU_DEP_2)
	v_cmp_le_i32_e64 s0, s16, v8
	v_add_co_ci_u32_e32 v6, vcc_lo, s7, v6, vcc_lo
	s_or_b32 s1, s0, s1
	s_waitcnt vmcnt(0)
	v_fmac_f16_e32 v7, v9, v10
	s_and_not1_b32 exec_lo, exec_lo, s1
	s_cbranch_execnz .LBB506_3
; %bb.4:
	s_or_b32 exec_lo, exec_lo, s1
.LBB506_5:
	s_delay_alu instid0(SALU_CYCLE_1)
	s_or_b32 exec_lo, exec_lo, s17
	v_mbcnt_lo_u32_b32 v4, -1, 0
	v_and_b32_e32 v3, 0xffff, v7
	s_barrier
	buffer_gl0_inv
	v_lshlrev_b32_e32 v5, 2, v4
	v_cmp_gt_u32_e32 vcc_lo, 16, v4
	ds_bpermute_b32 v3, v5, v3
	v_cndmask_b32_e64 v5, 0, 1, vcc_lo
	v_cmp_gt_u32_e32 vcc_lo, 24, v4
	s_delay_alu instid0(VALU_DEP_2) | instskip(NEXT) | instid1(VALU_DEP_1)
	v_lshlrev_b32_e32 v5, 4, v5
	v_add_lshl_u32 v5, v5, v4, 2
	s_waitcnt lgkmcnt(0)
	v_add_f16_e32 v6, v7, v3
	s_delay_alu instid0(VALU_DEP_1) | instskip(NEXT) | instid1(VALU_DEP_1)
	v_and_b32_e32 v7, 0xffff, v6
	v_and_or_b32 v3, 0xffff0000, v3, v7
	ds_bpermute_b32 v3, v5, v3
	v_cndmask_b32_e64 v5, 0, 1, vcc_lo
	v_cmp_gt_u32_e32 vcc_lo, 28, v4
	s_delay_alu instid0(VALU_DEP_2) | instskip(NEXT) | instid1(VALU_DEP_1)
	v_lshlrev_b32_e32 v5, 3, v5
	v_add_lshl_u32 v5, v5, v4, 2
	s_waitcnt lgkmcnt(0)
	v_add_f16_e32 v6, v6, v3
	s_delay_alu instid0(VALU_DEP_1) | instskip(NEXT) | instid1(VALU_DEP_1)
	v_and_b32_e32 v7, 0xffff, v6
	v_and_or_b32 v3, 0xffff0000, v3, v7
	;; [unrolled: 11-line block ×3, first 2 shown]
	ds_bpermute_b32 v3, v5, v3
	v_cndmask_b32_e64 v5, 0, 1, vcc_lo
	v_cmp_ne_u32_e32 vcc_lo, 31, v4
	s_delay_alu instid0(VALU_DEP_2) | instskip(NEXT) | instid1(VALU_DEP_1)
	v_lshlrev_b32_e32 v5, 1, v5
	v_add_lshl_u32 v5, v5, v4, 2
	v_add_co_ci_u32_e32 v4, vcc_lo, 0, v4, vcc_lo
	v_cmp_eq_u32_e32 vcc_lo, 0, v0
	s_delay_alu instid0(VALU_DEP_2) | instskip(SKIP_2) | instid1(VALU_DEP_1)
	v_lshlrev_b32_e32 v4, 2, v4
	s_waitcnt lgkmcnt(0)
	v_add_f16_e32 v6, v6, v3
	v_and_b32_e32 v7, 0xffff, v6
	s_delay_alu instid0(VALU_DEP_1) | instskip(SKIP_3) | instid1(VALU_DEP_1)
	v_and_or_b32 v3, 0xffff0000, v3, v7
	ds_bpermute_b32 v5, v5, v3
	s_waitcnt lgkmcnt(0)
	v_add_f16_e32 v3, v6, v5
	v_and_b32_e32 v6, 0xffff, v3
	s_delay_alu instid0(VALU_DEP_1)
	v_and_or_b32 v5, 0xffff0000, v5, v6
	ds_bpermute_b32 v4, v4, v5
	s_and_b32 exec_lo, exec_lo, vcc_lo
	s_cbranch_execz .LBB506_7
; %bb.6:
	v_lshlrev_b64 v[0:1], 1, v[1:2]
	s_waitcnt lgkmcnt(0)
	v_add_f16_e32 v2, v3, v4
	s_delay_alu instid0(VALU_DEP_2) | instskip(NEXT) | instid1(VALU_DEP_3)
	v_add_co_u32 v0, vcc_lo, s2, v0
	v_add_co_ci_u32_e32 v1, vcc_lo, s3, v1, vcc_lo
	global_store_b16 v[0:1], v2, off
.LBB506_7:
	s_nop 0
	s_sendmsg sendmsg(MSG_DEALLOC_VGPRS)
	s_endpgm
	.section	.rodata,"a",@progbits
	.p2align	6, 0x0
	.amdhsa_kernel _ZL28rocblas_dot_batched_4_kernelIlLi64ELi4ELb1EDF16_DF16_PKDF16_EviT5_lT_lS2_lS3_liPT4_
		.amdhsa_group_segment_fixed_size 0
		.amdhsa_private_segment_fixed_size 0
		.amdhsa_kernarg_size 88
		.amdhsa_user_sgpr_count 15
		.amdhsa_user_sgpr_dispatch_ptr 0
		.amdhsa_user_sgpr_queue_ptr 0
		.amdhsa_user_sgpr_kernarg_segment_ptr 1
		.amdhsa_user_sgpr_dispatch_id 0
		.amdhsa_user_sgpr_private_segment_size 0
		.amdhsa_wavefront_size32 1
		.amdhsa_uses_dynamic_stack 0
		.amdhsa_enable_private_segment 0
		.amdhsa_system_sgpr_workgroup_id_x 1
		.amdhsa_system_sgpr_workgroup_id_y 0
		.amdhsa_system_sgpr_workgroup_id_z 0
		.amdhsa_system_sgpr_workgroup_info 0
		.amdhsa_system_vgpr_workitem_id 1
		.amdhsa_next_free_vgpr 17
		.amdhsa_next_free_sgpr 20
		.amdhsa_reserve_vcc 1
		.amdhsa_float_round_mode_32 0
		.amdhsa_float_round_mode_16_64 0
		.amdhsa_float_denorm_mode_32 3
		.amdhsa_float_denorm_mode_16_64 3
		.amdhsa_dx10_clamp 1
		.amdhsa_ieee_mode 1
		.amdhsa_fp16_overflow 0
		.amdhsa_workgroup_processor_mode 1
		.amdhsa_memory_ordered 1
		.amdhsa_forward_progress 0
		.amdhsa_shared_vgpr_count 0
		.amdhsa_exception_fp_ieee_invalid_op 0
		.amdhsa_exception_fp_denorm_src 0
		.amdhsa_exception_fp_ieee_div_zero 0
		.amdhsa_exception_fp_ieee_overflow 0
		.amdhsa_exception_fp_ieee_underflow 0
		.amdhsa_exception_fp_ieee_inexact 0
		.amdhsa_exception_int_div_zero 0
	.end_amdhsa_kernel
	.section	.text._ZL28rocblas_dot_batched_4_kernelIlLi64ELi4ELb1EDF16_DF16_PKDF16_EviT5_lT_lS2_lS3_liPT4_,"axG",@progbits,_ZL28rocblas_dot_batched_4_kernelIlLi64ELi4ELb1EDF16_DF16_PKDF16_EviT5_lT_lS2_lS3_liPT4_,comdat
.Lfunc_end506:
	.size	_ZL28rocblas_dot_batched_4_kernelIlLi64ELi4ELb1EDF16_DF16_PKDF16_EviT5_lT_lS2_lS3_liPT4_, .Lfunc_end506-_ZL28rocblas_dot_batched_4_kernelIlLi64ELi4ELb1EDF16_DF16_PKDF16_EviT5_lT_lS2_lS3_liPT4_
                                        ; -- End function
	.section	.AMDGPU.csdata,"",@progbits
; Kernel info:
; codeLenInByte = 892
; NumSgprs: 22
; NumVgprs: 17
; ScratchSize: 0
; MemoryBound: 0
; FloatMode: 240
; IeeeMode: 1
; LDSByteSize: 0 bytes/workgroup (compile time only)
; SGPRBlocks: 2
; VGPRBlocks: 2
; NumSGPRsForWavesPerEU: 22
; NumVGPRsForWavesPerEU: 17
; Occupancy: 16
; WaveLimiterHint : 0
; COMPUTE_PGM_RSRC2:SCRATCH_EN: 0
; COMPUTE_PGM_RSRC2:USER_SGPR: 15
; COMPUTE_PGM_RSRC2:TRAP_HANDLER: 0
; COMPUTE_PGM_RSRC2:TGID_X_EN: 1
; COMPUTE_PGM_RSRC2:TGID_Y_EN: 0
; COMPUTE_PGM_RSRC2:TGID_Z_EN: 0
; COMPUTE_PGM_RSRC2:TIDIG_COMP_CNT: 1
	.section	.text._ZL18rocblas_dot_kernelIlLb1ELi1024ELi32ELb1EDF16_PKDF16_DF16_EviT5_lT_lS2_lS3_liPT6_PT4_,"axG",@progbits,_ZL18rocblas_dot_kernelIlLb1ELi1024ELi32ELb1EDF16_PKDF16_DF16_EviT5_lT_lS2_lS3_liPT6_PT4_,comdat
	.globl	_ZL18rocblas_dot_kernelIlLb1ELi1024ELi32ELb1EDF16_PKDF16_DF16_EviT5_lT_lS2_lS3_liPT6_PT4_ ; -- Begin function _ZL18rocblas_dot_kernelIlLb1ELi1024ELi32ELb1EDF16_PKDF16_DF16_EviT5_lT_lS2_lS3_liPT6_PT4_
	.p2align	8
	.type	_ZL18rocblas_dot_kernelIlLb1ELi1024ELi32ELb1EDF16_PKDF16_DF16_EviT5_lT_lS2_lS3_liPT6_PT4_,@function
_ZL18rocblas_dot_kernelIlLb1ELi1024ELi32ELb1EDF16_PKDF16_DF16_EviT5_lT_lS2_lS3_liPT6_PT4_: ; @_ZL18rocblas_dot_kernelIlLb1ELi1024ELi32ELb1EDF16_PKDF16_DF16_EviT5_lT_lS2_lS3_liPT6_PT4_
; %bb.0:
	s_clause 0x1
	s_load_b32 s18, s[0:1], 0x0
	s_load_b64 s[2:3], s[0:1], 0x58
	v_mov_b32_e32 v6, 0
	s_mov_b32 s16, s15
	s_mov_b32 s17, 0
	s_mov_b32 s19, exec_lo
	s_waitcnt lgkmcnt(0)
	v_cmpx_gt_i32_e64 s18, v0
	s_cbranch_execz .LBB507_4
; %bb.1:
	s_clause 0x4
	s_load_b32 s24, s[0:1], 0x60
	s_load_b256 s[4:11], s[0:1], 0x20
	s_load_b128 s[12:15], s[0:1], 0x10
	s_load_b64 s[20:21], s[0:1], 0x40
	s_load_b64 s[22:23], s[0:1], 0x8
	s_waitcnt lgkmcnt(0)
	s_lshl_b32 s1, s24, 10
	v_mad_u64_u32 v[3:4], null, s10, v0, 0
	v_mad_u64_u32 v[1:2], null, s14, v0, 0
	v_or_b32_e32 v5, s1, v0
	s_mul_i32 s0, s5, s16
	s_mul_hi_u32 s5, s4, s16
	s_mul_i32 s4, s4, s16
	s_add_i32 s5, s5, s0
	s_lshl_b64 s[12:13], s[12:13], 1
	s_delay_alu instid0(VALU_DEP_2)
	v_mad_u64_u32 v[6:7], null, s15, v0, v[2:3]
	v_mad_u64_u32 v[7:8], null, s11, v0, v[4:5]
	s_lshl_b64 s[4:5], s[4:5], 1
	s_add_u32 s12, s22, s12
	s_addc_u32 s13, s23, s13
	s_add_u32 s22, s12, s4
	s_delay_alu instid0(VALU_DEP_2)
	v_mov_b32_e32 v2, v6
	s_addc_u32 s23, s13, s5
	s_ashr_i32 s4, s1, 31
	s_mul_hi_u32 s0, s14, s1
	s_mul_i32 s5, s14, s4
	v_mov_b32_e32 v4, v7
	s_mul_i32 s21, s21, s16
	s_mul_hi_u32 s25, s20, s16
	s_mul_i32 s26, s15, s1
	s_add_i32 s0, s0, s5
	v_lshlrev_b64 v[1:2], 1, v[1:2]
	s_mul_i32 s20, s20, s16
	s_mul_i32 s24, s14, s1
	s_add_i32 s21, s25, s21
	s_add_i32 s25, s0, s26
	s_lshl_b64 s[8:9], s[8:9], 1
	v_lshlrev_b64 v[3:4], 1, v[3:4]
	s_lshl_b64 s[12:13], s[20:21], 1
	s_mul_i32 s0, s10, s4
	s_lshl_b64 s[4:5], s[24:25], 1
	s_add_u32 s6, s6, s8
	s_addc_u32 s7, s7, s9
	v_add_co_u32 v1, vcc_lo, s22, v1
	s_add_u32 s6, s6, s12
	v_add_co_ci_u32_e32 v2, vcc_lo, s23, v2, vcc_lo
	s_mul_hi_u32 s8, s10, s1
	s_addc_u32 s7, s7, s13
	v_add_co_u32 v3, vcc_lo, s6, v3
	s_add_i32 s0, s8, s0
	s_mul_i32 s8, s11, s1
	v_add_co_ci_u32_e32 v4, vcc_lo, s7, v4, vcc_lo
	v_mov_b32_e32 v6, 0
	s_add_i32 s7, s0, s8
	s_mul_i32 s6, s10, s1
	s_mov_b32 s8, s17
	s_lshl_b64 s[6:7], s[6:7], 1
	s_mov_b32 s9, s17
	.p2align	6
.LBB507_2:                              ; =>This Inner Loop Header: Depth=1
	global_load_u16 v7, v[3:4], off
	global_load_u16 v8, v[1:2], off
	v_add_co_u32 v1, s0, v1, s4
	s_delay_alu instid0(VALU_DEP_1)
	v_add_co_ci_u32_e64 v2, s0, s5, v2, s0
	s_add_i32 s10, s9, 1
	v_cmp_le_i32_e32 vcc_lo, s18, v5
	v_add_co_u32 v3, s0, v3, s6
	s_cmp_gt_u32 s9, 30
	v_add_co_ci_u32_e64 v4, s0, s7, v4, s0
	s_cselect_b32 s0, -1, 0
	v_add_nc_u32_e32 v5, s1, v5
	s_or_b32 s0, s0, vcc_lo
	s_mov_b32 s9, s10
	s_and_b32 s0, exec_lo, s0
	s_delay_alu instid0(SALU_CYCLE_1)
	s_or_b32 s8, s0, s8
	s_waitcnt vmcnt(0)
	v_fmac_f16_e32 v6, v7, v8
	s_and_not1_b32 exec_lo, exec_lo, s8
	s_cbranch_execnz .LBB507_2
; %bb.3:
	s_or_b32 exec_lo, exec_lo, s8
.LBB507_4:
	s_delay_alu instid0(SALU_CYCLE_1) | instskip(SKIP_2) | instid1(VALU_DEP_2)
	s_or_b32 exec_lo, exec_lo, s19
	v_and_b32_e32 v5, 31, v0
	v_cmp_gt_u32_e32 vcc_lo, 32, v0
	v_lshlrev_b32_e32 v1, 1, v5
	s_and_saveexec_b32 s0, vcc_lo
	s_cbranch_execz .LBB507_6
; %bb.5:
	v_mov_b32_e32 v2, 0
	ds_store_b16 v1, v2
.LBB507_6:
	s_or_b32 exec_lo, exec_lo, s0
	v_mbcnt_lo_u32_b32 v7, -1, 0
	v_and_b32_e32 v3, 0xffff, v6
	s_mov_b32 s1, exec_lo
	s_waitcnt lgkmcnt(0)
	s_barrier
	v_cmp_gt_u32_e64 s0, 16, v7
	buffer_gl0_inv
	v_cndmask_b32_e64 v2, 0, 1, s0
	v_cmp_gt_u32_e64 s0, 24, v7
	s_delay_alu instid0(VALU_DEP_2) | instskip(NEXT) | instid1(VALU_DEP_1)
	v_lshlrev_b32_e32 v2, 4, v2
	v_add_lshl_u32 v2, v2, v7, 2
	ds_bpermute_b32 v4, v2, v3
	v_cndmask_b32_e64 v3, 0, 1, s0
	v_cmp_gt_u32_e64 s0, 28, v7
	s_delay_alu instid0(VALU_DEP_2) | instskip(NEXT) | instid1(VALU_DEP_1)
	v_lshlrev_b32_e32 v3, 3, v3
	v_add_lshl_u32 v3, v3, v7, 2
	s_waitcnt lgkmcnt(0)
	v_add_f16_e32 v6, v6, v4
	s_delay_alu instid0(VALU_DEP_1) | instskip(NEXT) | instid1(VALU_DEP_1)
	v_and_b32_e32 v8, 0xffff, v6
	v_and_or_b32 v4, 0xffff0000, v4, v8
	ds_bpermute_b32 v8, v3, v4
	v_cndmask_b32_e64 v4, 0, 1, s0
	v_cmp_gt_u32_e64 s0, 30, v7
	s_delay_alu instid0(VALU_DEP_2) | instskip(NEXT) | instid1(VALU_DEP_1)
	v_lshlrev_b32_e32 v4, 2, v4
	v_add_lshl_u32 v4, v4, v7, 2
	s_waitcnt lgkmcnt(0)
	v_add_f16_e32 v6, v6, v8
	s_delay_alu instid0(VALU_DEP_1) | instskip(NEXT) | instid1(VALU_DEP_1)
	v_and_b32_e32 v9, 0xffff, v6
	v_and_or_b32 v8, 0xffff0000, v8, v9
	v_cndmask_b32_e64 v9, 0, 1, s0
	v_cmp_ne_u32_e64 s0, 31, v7
	ds_bpermute_b32 v8, v4, v8
	s_waitcnt lgkmcnt(0)
	v_add_f16_e32 v10, v6, v8
	v_lshlrev_b32_e32 v6, 1, v9
	s_delay_alu instid0(VALU_DEP_2) | instskip(NEXT) | instid1(VALU_DEP_2)
	v_and_b32_e32 v9, 0xffff, v10
	v_add_lshl_u32 v6, v6, v7, 2
	v_add_co_ci_u32_e64 v7, s0, 0, v7, s0
	s_delay_alu instid0(VALU_DEP_3) | instskip(NEXT) | instid1(VALU_DEP_2)
	v_and_or_b32 v8, 0xffff0000, v8, v9
	v_lshlrev_b32_e32 v7, 2, v7
	ds_bpermute_b32 v9, v6, v8
	s_waitcnt lgkmcnt(0)
	v_add_f16_e32 v8, v10, v9
	s_delay_alu instid0(VALU_DEP_1) | instskip(NEXT) | instid1(VALU_DEP_1)
	v_and_b32_e32 v10, 0xffff, v8
	v_and_or_b32 v9, 0xffff0000, v9, v10
	ds_bpermute_b32 v9, v7, v9
	v_cmpx_eq_u32_e32 0, v5
	s_cbranch_execz .LBB507_8
; %bb.7:
	v_lshrrev_b32_e32 v5, 4, v0
	s_waitcnt lgkmcnt(0)
	v_add_f16_e32 v8, v8, v9
	s_delay_alu instid0(VALU_DEP_2)
	v_and_b32_e32 v5, 62, v5
	ds_store_b16 v5, v8
.LBB507_8:
	s_or_b32 exec_lo, exec_lo, s1
	v_mov_b32_e32 v5, 0
	s_waitcnt lgkmcnt(0)
	s_barrier
	buffer_gl0_inv
	s_and_saveexec_b32 s0, vcc_lo
	s_cbranch_execz .LBB507_10
; %bb.9:
	ds_load_u16 v5, v1
.LBB507_10:
	s_or_b32 exec_lo, exec_lo, s0
	s_and_saveexec_b32 s0, vcc_lo
	s_cbranch_execz .LBB507_12
; %bb.11:
	s_waitcnt lgkmcnt(0)
	v_and_b32_e32 v1, 0xffff, v5
	ds_bpermute_b32 v1, v2, v1
	s_waitcnt lgkmcnt(0)
	v_add_f16_e32 v2, v5, v1
	s_delay_alu instid0(VALU_DEP_1) | instskip(NEXT) | instid1(VALU_DEP_1)
	v_and_b32_e32 v5, 0xffff, v2
	v_and_or_b32 v1, 0xffff0000, v1, v5
	ds_bpermute_b32 v1, v3, v1
	s_waitcnt lgkmcnt(0)
	v_add_f16_e32 v2, v2, v1
	s_delay_alu instid0(VALU_DEP_1) | instskip(NEXT) | instid1(VALU_DEP_1)
	v_and_b32_e32 v3, 0xffff, v2
	v_and_or_b32 v1, 0xffff0000, v1, v3
	;; [unrolled: 6-line block ×4, first 2 shown]
	ds_bpermute_b32 v1, v7, v1
	s_waitcnt lgkmcnt(0)
	v_add_f16_e32 v5, v2, v1
.LBB507_12:
	s_or_b32 exec_lo, exec_lo, s0
	s_delay_alu instid0(SALU_CYCLE_1)
	s_mov_b32 s0, exec_lo
	v_cmpx_eq_u32_e32 0, v0
	s_cbranch_execz .LBB507_14
; %bb.13:
	s_lshl_b64 s[0:1], s[16:17], 1
	v_mov_b32_e32 v0, 0
	s_add_u32 s0, s2, s0
	s_addc_u32 s1, s3, s1
	s_waitcnt lgkmcnt(0)
	global_store_b16 v0, v5, s[0:1]
.LBB507_14:
	s_nop 0
	s_sendmsg sendmsg(MSG_DEALLOC_VGPRS)
	s_endpgm
	.section	.rodata,"a",@progbits
	.p2align	6, 0x0
	.amdhsa_kernel _ZL18rocblas_dot_kernelIlLb1ELi1024ELi32ELb1EDF16_PKDF16_DF16_EviT5_lT_lS2_lS3_liPT6_PT4_
		.amdhsa_group_segment_fixed_size 64
		.amdhsa_private_segment_fixed_size 0
		.amdhsa_kernarg_size 352
		.amdhsa_user_sgpr_count 14
		.amdhsa_user_sgpr_dispatch_ptr 0
		.amdhsa_user_sgpr_queue_ptr 0
		.amdhsa_user_sgpr_kernarg_segment_ptr 1
		.amdhsa_user_sgpr_dispatch_id 0
		.amdhsa_user_sgpr_private_segment_size 0
		.amdhsa_wavefront_size32 1
		.amdhsa_uses_dynamic_stack 0
		.amdhsa_enable_private_segment 0
		.amdhsa_system_sgpr_workgroup_id_x 1
		.amdhsa_system_sgpr_workgroup_id_y 0
		.amdhsa_system_sgpr_workgroup_id_z 1
		.amdhsa_system_sgpr_workgroup_info 0
		.amdhsa_system_vgpr_workitem_id 0
		.amdhsa_next_free_vgpr 11
		.amdhsa_next_free_sgpr 27
		.amdhsa_reserve_vcc 1
		.amdhsa_float_round_mode_32 0
		.amdhsa_float_round_mode_16_64 0
		.amdhsa_float_denorm_mode_32 3
		.amdhsa_float_denorm_mode_16_64 3
		.amdhsa_dx10_clamp 1
		.amdhsa_ieee_mode 1
		.amdhsa_fp16_overflow 0
		.amdhsa_workgroup_processor_mode 1
		.amdhsa_memory_ordered 1
		.amdhsa_forward_progress 0
		.amdhsa_shared_vgpr_count 0
		.amdhsa_exception_fp_ieee_invalid_op 0
		.amdhsa_exception_fp_denorm_src 0
		.amdhsa_exception_fp_ieee_div_zero 0
		.amdhsa_exception_fp_ieee_overflow 0
		.amdhsa_exception_fp_ieee_underflow 0
		.amdhsa_exception_fp_ieee_inexact 0
		.amdhsa_exception_int_div_zero 0
	.end_amdhsa_kernel
	.section	.text._ZL18rocblas_dot_kernelIlLb1ELi1024ELi32ELb1EDF16_PKDF16_DF16_EviT5_lT_lS2_lS3_liPT6_PT4_,"axG",@progbits,_ZL18rocblas_dot_kernelIlLb1ELi1024ELi32ELb1EDF16_PKDF16_DF16_EviT5_lT_lS2_lS3_liPT6_PT4_,comdat
.Lfunc_end507:
	.size	_ZL18rocblas_dot_kernelIlLb1ELi1024ELi32ELb1EDF16_PKDF16_DF16_EviT5_lT_lS2_lS3_liPT6_PT4_, .Lfunc_end507-_ZL18rocblas_dot_kernelIlLb1ELi1024ELi32ELb1EDF16_PKDF16_DF16_EviT5_lT_lS2_lS3_liPT6_PT4_
                                        ; -- End function
	.section	.AMDGPU.csdata,"",@progbits
; Kernel info:
; codeLenInByte = 1192
; NumSgprs: 29
; NumVgprs: 11
; ScratchSize: 0
; MemoryBound: 0
; FloatMode: 240
; IeeeMode: 1
; LDSByteSize: 64 bytes/workgroup (compile time only)
; SGPRBlocks: 3
; VGPRBlocks: 1
; NumSGPRsForWavesPerEU: 29
; NumVGPRsForWavesPerEU: 11
; Occupancy: 16
; WaveLimiterHint : 0
; COMPUTE_PGM_RSRC2:SCRATCH_EN: 0
; COMPUTE_PGM_RSRC2:USER_SGPR: 14
; COMPUTE_PGM_RSRC2:TRAP_HANDLER: 0
; COMPUTE_PGM_RSRC2:TGID_X_EN: 1
; COMPUTE_PGM_RSRC2:TGID_Y_EN: 0
; COMPUTE_PGM_RSRC2:TGID_Z_EN: 1
; COMPUTE_PGM_RSRC2:TIDIG_COMP_CNT: 0
	.section	.text._ZL24rocblas_dot_kernel_magsqIlLb1ELi1024ELi32ELb1EDF16_PKDF16_DF16_EviT5_lT_liPT6_PT4_,"axG",@progbits,_ZL24rocblas_dot_kernel_magsqIlLb1ELi1024ELi32ELb1EDF16_PKDF16_DF16_EviT5_lT_liPT6_PT4_,comdat
	.globl	_ZL24rocblas_dot_kernel_magsqIlLb1ELi1024ELi32ELb1EDF16_PKDF16_DF16_EviT5_lT_liPT6_PT4_ ; -- Begin function _ZL24rocblas_dot_kernel_magsqIlLb1ELi1024ELi32ELb1EDF16_PKDF16_DF16_EviT5_lT_liPT6_PT4_
	.p2align	8
	.type	_ZL24rocblas_dot_kernel_magsqIlLb1ELi1024ELi32ELb1EDF16_PKDF16_DF16_EviT5_lT_liPT6_PT4_,@function
_ZL24rocblas_dot_kernel_magsqIlLb1ELi1024ELi32ELb1EDF16_PKDF16_DF16_EviT5_lT_liPT6_PT4_: ; @_ZL24rocblas_dot_kernel_magsqIlLb1ELi1024ELi32ELb1EDF16_PKDF16_DF16_EviT5_lT_liPT6_PT4_
; %bb.0:
	s_clause 0x1
	s_load_b32 s8, s[0:1], 0x0
	s_load_b64 s[2:3], s[0:1], 0x38
	v_mov_b32_e32 v3, 0
	s_mov_b32 s4, s15
	s_mov_b32 s5, 0
	s_mov_b32 s9, exec_lo
	s_waitcnt lgkmcnt(0)
	v_cmpx_gt_i32_e64 s8, v0
	s_cbranch_execz .LBB508_4
; %bb.1:
	s_clause 0x3
	s_load_b128 s[12:15], s[0:1], 0x10
	s_load_b32 s16, s[0:1], 0x40
	s_load_b64 s[6:7], s[0:1], 0x20
	s_load_b64 s[10:11], s[0:1], 0x8
	s_waitcnt lgkmcnt(0)
	v_mad_u64_u32 v[1:2], null, s14, v0, 0
	s_mul_i32 s0, s7, s4
	s_mul_hi_u32 s7, s6, s4
	s_mul_i32 s6, s6, s4
	s_add_i32 s7, s7, s0
	s_lshl_b64 s[12:13], s[12:13], 1
	s_lshl_b32 s1, s16, 10
	s_delay_alu instid0(VALU_DEP_1)
	v_mad_u64_u32 v[3:4], null, s15, v0, v[2:3]
	s_lshl_b64 s[6:7], s[6:7], 1
	s_add_u32 s0, s10, s12
	s_addc_u32 s10, s11, s13
	s_add_u32 s0, s0, s6
	s_addc_u32 s10, s10, s7
	s_ashr_i32 s6, s1, 31
	s_delay_alu instid0(VALU_DEP_1) | instskip(SKIP_3) | instid1(VALU_DEP_1)
	v_dual_mov_b32 v2, v3 :: v_dual_mov_b32 v3, 0
	s_mul_hi_u32 s7, s14, s1
	s_mul_i32 s6, s14, s6
	s_mul_i32 s11, s15, s1
	v_lshlrev_b64 v[1:2], 1, v[1:2]
	s_add_i32 s7, s7, s6
	v_or_b32_e32 v4, s1, v0
	s_mul_i32 s6, s14, s1
	s_add_i32 s7, s7, s11
	s_mov_b32 s11, s5
	v_add_co_u32 v1, vcc_lo, s0, v1
	v_add_co_ci_u32_e32 v2, vcc_lo, s10, v2, vcc_lo
	s_lshl_b64 s[6:7], s[6:7], 1
	s_mov_b32 s10, s5
	.p2align	6
.LBB508_2:                              ; =>This Inner Loop Header: Depth=1
	global_load_u16 v5, v[1:2], off
	s_add_i32 s12, s11, 1
	v_cmp_le_i32_e32 vcc_lo, s8, v4
	v_add_co_u32 v1, s0, v1, s6
	s_cmp_gt_u32 s11, 30
	v_add_co_ci_u32_e64 v2, s0, s7, v2, s0
	s_cselect_b32 s0, -1, 0
	v_add_nc_u32_e32 v4, s1, v4
	s_or_b32 s0, s0, vcc_lo
	s_mov_b32 s11, s12
	s_and_b32 s0, exec_lo, s0
	s_delay_alu instid0(SALU_CYCLE_1)
	s_or_b32 s10, s0, s10
	s_waitcnt vmcnt(0)
	v_fmac_f16_e32 v3, v5, v5
	s_and_not1_b32 exec_lo, exec_lo, s10
	s_cbranch_execnz .LBB508_2
; %bb.3:
	s_or_b32 exec_lo, exec_lo, s10
.LBB508_4:
	s_delay_alu instid0(SALU_CYCLE_1) | instskip(SKIP_2) | instid1(VALU_DEP_2)
	s_or_b32 exec_lo, exec_lo, s9
	v_and_b32_e32 v5, 31, v0
	v_cmp_gt_u32_e32 vcc_lo, 32, v0
	v_lshlrev_b32_e32 v1, 1, v5
	s_and_saveexec_b32 s0, vcc_lo
	s_cbranch_execz .LBB508_6
; %bb.5:
	v_mov_b32_e32 v2, 0
	ds_store_b16 v1, v2
.LBB508_6:
	s_or_b32 exec_lo, exec_lo, s0
	v_mbcnt_lo_u32_b32 v7, -1, 0
	v_and_b32_e32 v4, 0xffff, v3
	s_mov_b32 s1, exec_lo
	s_waitcnt lgkmcnt(0)
	s_barrier
	v_cmp_gt_u32_e64 s0, 16, v7
	buffer_gl0_inv
	v_cndmask_b32_e64 v2, 0, 1, s0
	v_cmp_gt_u32_e64 s0, 24, v7
	s_delay_alu instid0(VALU_DEP_2) | instskip(NEXT) | instid1(VALU_DEP_2)
	v_lshlrev_b32_e32 v2, 4, v2
	v_cndmask_b32_e64 v6, 0, 1, s0
	v_cmp_gt_u32_e64 s0, 28, v7
	s_delay_alu instid0(VALU_DEP_3) | instskip(SKIP_4) | instid1(VALU_DEP_2)
	v_add_lshl_u32 v2, v2, v7, 2
	ds_bpermute_b32 v4, v2, v4
	s_waitcnt lgkmcnt(0)
	v_add_f16_e32 v8, v3, v4
	v_lshlrev_b32_e32 v3, 3, v6
	v_and_b32_e32 v6, 0xffff, v8
	s_delay_alu instid0(VALU_DEP_2) | instskip(NEXT) | instid1(VALU_DEP_2)
	v_add_lshl_u32 v3, v3, v7, 2
	v_and_or_b32 v4, 0xffff0000, v4, v6
	ds_bpermute_b32 v6, v3, v4
	v_cndmask_b32_e64 v4, 0, 1, s0
	v_cmp_gt_u32_e64 s0, 30, v7
	s_delay_alu instid0(VALU_DEP_2) | instskip(NEXT) | instid1(VALU_DEP_1)
	v_lshlrev_b32_e32 v4, 2, v4
	v_add_lshl_u32 v4, v4, v7, 2
	s_waitcnt lgkmcnt(0)
	v_add_f16_e32 v8, v8, v6
	s_delay_alu instid0(VALU_DEP_1) | instskip(NEXT) | instid1(VALU_DEP_1)
	v_and_b32_e32 v9, 0xffff, v8
	v_and_or_b32 v6, 0xffff0000, v6, v9
	ds_bpermute_b32 v9, v4, v6
	v_cndmask_b32_e64 v6, 0, 1, s0
	v_cmp_ne_u32_e64 s0, 31, v7
	s_delay_alu instid0(VALU_DEP_2) | instskip(NEXT) | instid1(VALU_DEP_1)
	v_lshlrev_b32_e32 v6, 1, v6
	v_add_lshl_u32 v6, v6, v7, 2
	s_delay_alu instid0(VALU_DEP_3) | instskip(NEXT) | instid1(VALU_DEP_1)
	v_add_co_ci_u32_e64 v7, s0, 0, v7, s0
	v_lshlrev_b32_e32 v7, 2, v7
	s_waitcnt lgkmcnt(0)
	v_add_f16_e32 v8, v8, v9
	s_delay_alu instid0(VALU_DEP_1) | instskip(NEXT) | instid1(VALU_DEP_1)
	v_and_b32_e32 v10, 0xffff, v8
	v_and_or_b32 v9, 0xffff0000, v9, v10
	ds_bpermute_b32 v9, v6, v9
	s_waitcnt lgkmcnt(0)
	v_add_f16_e32 v8, v8, v9
	s_delay_alu instid0(VALU_DEP_1) | instskip(NEXT) | instid1(VALU_DEP_1)
	v_and_b32_e32 v10, 0xffff, v8
	v_and_or_b32 v9, 0xffff0000, v9, v10
	ds_bpermute_b32 v9, v7, v9
	v_cmpx_eq_u32_e32 0, v5
	s_cbranch_execz .LBB508_8
; %bb.7:
	v_lshrrev_b32_e32 v5, 4, v0
	s_waitcnt lgkmcnt(0)
	v_add_f16_e32 v8, v8, v9
	s_delay_alu instid0(VALU_DEP_2)
	v_and_b32_e32 v5, 62, v5
	ds_store_b16 v5, v8
.LBB508_8:
	s_or_b32 exec_lo, exec_lo, s1
	v_mov_b32_e32 v5, 0
	s_waitcnt lgkmcnt(0)
	s_barrier
	buffer_gl0_inv
	s_and_saveexec_b32 s0, vcc_lo
	s_cbranch_execz .LBB508_10
; %bb.9:
	ds_load_u16 v5, v1
.LBB508_10:
	s_or_b32 exec_lo, exec_lo, s0
	s_and_saveexec_b32 s0, vcc_lo
	s_cbranch_execz .LBB508_12
; %bb.11:
	s_waitcnt lgkmcnt(0)
	v_and_b32_e32 v1, 0xffff, v5
	ds_bpermute_b32 v1, v2, v1
	s_waitcnt lgkmcnt(0)
	v_add_f16_e32 v2, v5, v1
	s_delay_alu instid0(VALU_DEP_1) | instskip(NEXT) | instid1(VALU_DEP_1)
	v_and_b32_e32 v5, 0xffff, v2
	v_and_or_b32 v1, 0xffff0000, v1, v5
	ds_bpermute_b32 v1, v3, v1
	s_waitcnt lgkmcnt(0)
	v_add_f16_e32 v2, v2, v1
	s_delay_alu instid0(VALU_DEP_1) | instskip(NEXT) | instid1(VALU_DEP_1)
	v_and_b32_e32 v3, 0xffff, v2
	v_and_or_b32 v1, 0xffff0000, v1, v3
	;; [unrolled: 6-line block ×4, first 2 shown]
	ds_bpermute_b32 v1, v7, v1
	s_waitcnt lgkmcnt(0)
	v_add_f16_e32 v5, v2, v1
.LBB508_12:
	s_or_b32 exec_lo, exec_lo, s0
	s_delay_alu instid0(SALU_CYCLE_1)
	s_mov_b32 s0, exec_lo
	v_cmpx_eq_u32_e32 0, v0
	s_cbranch_execz .LBB508_14
; %bb.13:
	s_lshl_b64 s[0:1], s[4:5], 1
	v_mov_b32_e32 v0, 0
	s_add_u32 s0, s2, s0
	s_addc_u32 s1, s3, s1
	s_waitcnt lgkmcnt(0)
	global_store_b16 v0, v5, s[0:1]
.LBB508_14:
	s_nop 0
	s_sendmsg sendmsg(MSG_DEALLOC_VGPRS)
	s_endpgm
	.section	.rodata,"a",@progbits
	.p2align	6, 0x0
	.amdhsa_kernel _ZL24rocblas_dot_kernel_magsqIlLb1ELi1024ELi32ELb1EDF16_PKDF16_DF16_EviT5_lT_liPT6_PT4_
		.amdhsa_group_segment_fixed_size 64
		.amdhsa_private_segment_fixed_size 0
		.amdhsa_kernarg_size 320
		.amdhsa_user_sgpr_count 14
		.amdhsa_user_sgpr_dispatch_ptr 0
		.amdhsa_user_sgpr_queue_ptr 0
		.amdhsa_user_sgpr_kernarg_segment_ptr 1
		.amdhsa_user_sgpr_dispatch_id 0
		.amdhsa_user_sgpr_private_segment_size 0
		.amdhsa_wavefront_size32 1
		.amdhsa_uses_dynamic_stack 0
		.amdhsa_enable_private_segment 0
		.amdhsa_system_sgpr_workgroup_id_x 1
		.amdhsa_system_sgpr_workgroup_id_y 0
		.amdhsa_system_sgpr_workgroup_id_z 1
		.amdhsa_system_sgpr_workgroup_info 0
		.amdhsa_system_vgpr_workitem_id 0
		.amdhsa_next_free_vgpr 11
		.amdhsa_next_free_sgpr 17
		.amdhsa_reserve_vcc 1
		.amdhsa_float_round_mode_32 0
		.amdhsa_float_round_mode_16_64 0
		.amdhsa_float_denorm_mode_32 3
		.amdhsa_float_denorm_mode_16_64 3
		.amdhsa_dx10_clamp 1
		.amdhsa_ieee_mode 1
		.amdhsa_fp16_overflow 0
		.amdhsa_workgroup_processor_mode 1
		.amdhsa_memory_ordered 1
		.amdhsa_forward_progress 0
		.amdhsa_shared_vgpr_count 0
		.amdhsa_exception_fp_ieee_invalid_op 0
		.amdhsa_exception_fp_denorm_src 0
		.amdhsa_exception_fp_ieee_div_zero 0
		.amdhsa_exception_fp_ieee_overflow 0
		.amdhsa_exception_fp_ieee_underflow 0
		.amdhsa_exception_fp_ieee_inexact 0
		.amdhsa_exception_int_div_zero 0
	.end_amdhsa_kernel
	.section	.text._ZL24rocblas_dot_kernel_magsqIlLb1ELi1024ELi32ELb1EDF16_PKDF16_DF16_EviT5_lT_liPT6_PT4_,"axG",@progbits,_ZL24rocblas_dot_kernel_magsqIlLb1ELi1024ELi32ELb1EDF16_PKDF16_DF16_EviT5_lT_liPT6_PT4_,comdat
.Lfunc_end508:
	.size	_ZL24rocblas_dot_kernel_magsqIlLb1ELi1024ELi32ELb1EDF16_PKDF16_DF16_EviT5_lT_liPT6_PT4_, .Lfunc_end508-_ZL24rocblas_dot_kernel_magsqIlLb1ELi1024ELi32ELb1EDF16_PKDF16_DF16_EviT5_lT_liPT6_PT4_
                                        ; -- End function
	.section	.AMDGPU.csdata,"",@progbits
; Kernel info:
; codeLenInByte = 1052
; NumSgprs: 19
; NumVgprs: 11
; ScratchSize: 0
; MemoryBound: 0
; FloatMode: 240
; IeeeMode: 1
; LDSByteSize: 64 bytes/workgroup (compile time only)
; SGPRBlocks: 2
; VGPRBlocks: 1
; NumSGPRsForWavesPerEU: 19
; NumVGPRsForWavesPerEU: 11
; Occupancy: 16
; WaveLimiterHint : 0
; COMPUTE_PGM_RSRC2:SCRATCH_EN: 0
; COMPUTE_PGM_RSRC2:USER_SGPR: 14
; COMPUTE_PGM_RSRC2:TRAP_HANDLER: 0
; COMPUTE_PGM_RSRC2:TGID_X_EN: 1
; COMPUTE_PGM_RSRC2:TGID_Y_EN: 0
; COMPUTE_PGM_RSRC2:TGID_Z_EN: 1
; COMPUTE_PGM_RSRC2:TIDIG_COMP_CNT: 0
	.section	.text._ZL18rocblas_dot_kernelIlLb0ELi512ELi8ELb1EDF16_PKDF16_DF16_EviT5_lT_lS2_lS3_liPT6_PT4_,"axG",@progbits,_ZL18rocblas_dot_kernelIlLb0ELi512ELi8ELb1EDF16_PKDF16_DF16_EviT5_lT_lS2_lS3_liPT6_PT4_,comdat
	.globl	_ZL18rocblas_dot_kernelIlLb0ELi512ELi8ELb1EDF16_PKDF16_DF16_EviT5_lT_lS2_lS3_liPT6_PT4_ ; -- Begin function _ZL18rocblas_dot_kernelIlLb0ELi512ELi8ELb1EDF16_PKDF16_DF16_EviT5_lT_lS2_lS3_liPT6_PT4_
	.p2align	8
	.type	_ZL18rocblas_dot_kernelIlLb0ELi512ELi8ELb1EDF16_PKDF16_DF16_EviT5_lT_lS2_lS3_liPT6_PT4_,@function
_ZL18rocblas_dot_kernelIlLb0ELi512ELi8ELb1EDF16_PKDF16_DF16_EviT5_lT_lS2_lS3_liPT6_PT4_: ; @_ZL18rocblas_dot_kernelIlLb0ELi512ELi8ELb1EDF16_PKDF16_DF16_EviT5_lT_lS2_lS3_liPT6_PT4_
; %bb.0:
	s_clause 0x2
	s_load_b32 s12, s[0:1], 0x60
	s_load_b32 s13, s[0:1], 0x0
	s_load_b128 s[16:19], s[0:1], 0x50
	v_lshl_or_b32 v1, s14, 9, v0
	v_mov_b32_e32 v6, 0
	s_mov_b32 s2, s15
	s_mov_b32 s3, 0
	s_mov_b32 s15, exec_lo
	s_waitcnt lgkmcnt(0)
	v_cmpx_gt_i32_e64 s13, v1
	s_cbranch_execz .LBB509_4
; %bb.1:
	s_clause 0x2
	s_load_b128 s[20:23], s[0:1], 0x10
	s_load_b256 s[4:11], s[0:1], 0x20
	s_load_b64 s[26:27], s[0:1], 0x8
	v_ashrrev_i32_e32 v4, 31, v1
	s_load_b64 s[0:1], s[0:1], 0x40
	s_lshl_b32 s24, s12, 9
	s_delay_alu instid0(SALU_CYCLE_1)
	v_add_nc_u32_e32 v5, s24, v1
	s_waitcnt lgkmcnt(0)
	v_mul_lo_u32 v8, s23, v1
	v_mul_lo_u32 v9, s22, v4
	v_mad_u64_u32 v[2:3], null, s22, v1, 0
	s_mul_i32 s5, s5, s2
	s_mul_hi_u32 s25, s4, s2
	s_mul_i32 s4, s4, s2
	v_mul_lo_u32 v10, s11, v1
	v_mul_lo_u32 v4, s10, v4
	s_add_i32 s5, s25, s5
	s_delay_alu instid0(VALU_DEP_3)
	v_add3_u32 v3, v3, v9, v8
	v_mad_u64_u32 v[6:7], null, s10, v1, 0
	s_lshl_b64 s[20:21], s[20:21], 1
	s_lshl_b64 s[4:5], s[4:5], 1
	s_add_u32 s20, s26, s20
	s_addc_u32 s21, s27, s21
	v_lshlrev_b64 v[1:2], 1, v[2:3]
	s_add_u32 s20, s20, s4
	s_addc_u32 s21, s21, s5
	s_ashr_i32 s25, s24, 31
	s_mul_hi_u32 s4, s22, s24
	s_mul_i32 s5, s22, s25
	v_add3_u32 v7, v7, v4, v10
	s_mul_i32 s23, s23, s24
	s_add_i32 s5, s4, s5
	v_add_co_u32 v1, vcc_lo, s20, v1
	s_mul_i32 s1, s1, s2
	s_mul_hi_u32 s20, s0, s2
	s_mul_i32 s4, s22, s24
	s_add_i32 s5, s5, s23
	s_add_i32 s1, s20, s1
	s_mul_i32 s0, s0, s2
	v_lshlrev_b64 v[3:4], 1, v[6:7]
	v_mov_b32_e32 v6, 0
	s_lshl_b64 s[8:9], s[8:9], 1
	s_lshl_b64 s[4:5], s[4:5], 1
	;; [unrolled: 1-line block ×3, first 2 shown]
	s_add_u32 s6, s6, s8
	s_addc_u32 s7, s7, s9
	s_add_u32 s0, s6, s0
	v_add_co_ci_u32_e32 v2, vcc_lo, s21, v2, vcc_lo
	s_mul_i32 s6, s10, s25
	s_mul_hi_u32 s8, s10, s24
	s_addc_u32 s1, s7, s1
	v_add_co_u32 v3, vcc_lo, s0, v3
	s_add_i32 s6, s8, s6
	s_mul_i32 s7, s11, s24
	v_add_co_ci_u32_e32 v4, vcc_lo, s1, v4, vcc_lo
	s_add_i32 s1, s6, s7
	s_mul_i32 s0, s10, s24
	s_mov_b32 s8, s3
	s_lshl_b64 s[6:7], s[0:1], 1
	s_mov_b32 s1, s3
	.p2align	6
.LBB509_2:                              ; =>This Inner Loop Header: Depth=1
	global_load_u16 v7, v[3:4], off
	global_load_u16 v8, v[1:2], off
	v_add_co_u32 v1, s0, v1, s4
	s_delay_alu instid0(VALU_DEP_1)
	v_add_co_ci_u32_e64 v2, s0, s5, v2, s0
	s_add_i32 s9, s8, 1
	v_cmp_le_i32_e32 vcc_lo, s13, v5
	v_add_co_u32 v3, s0, v3, s6
	s_cmp_gt_u32 s8, 6
	v_add_co_ci_u32_e64 v4, s0, s7, v4, s0
	s_cselect_b32 s0, -1, 0
	v_add_nc_u32_e32 v5, s24, v5
	s_or_b32 s0, s0, vcc_lo
	s_mov_b32 s8, s9
	s_and_b32 s0, exec_lo, s0
	s_delay_alu instid0(SALU_CYCLE_1)
	s_or_b32 s1, s0, s1
	s_waitcnt vmcnt(0)
	v_fmac_f16_e32 v6, v7, v8
	s_and_not1_b32 exec_lo, exec_lo, s1
	s_cbranch_execnz .LBB509_2
; %bb.3:
	s_or_b32 exec_lo, exec_lo, s1
.LBB509_4:
	s_delay_alu instid0(SALU_CYCLE_1) | instskip(SKIP_2) | instid1(VALU_DEP_2)
	s_or_b32 exec_lo, exec_lo, s15
	v_and_b32_e32 v2, 31, v0
	v_cmp_gt_u32_e32 vcc_lo, 32, v0
	v_lshlrev_b32_e32 v1, 1, v2
	s_and_saveexec_b32 s0, vcc_lo
	s_cbranch_execz .LBB509_6
; %bb.5:
	v_mov_b32_e32 v3, 0
	ds_store_b16 v1, v3
.LBB509_6:
	s_or_b32 exec_lo, exec_lo, s0
	v_mbcnt_lo_u32_b32 v8, -1, 0
	v_and_b32_e32 v4, 0xffff, v6
	s_mov_b32 s1, exec_lo
	s_waitcnt lgkmcnt(0)
	s_barrier
	v_cmp_gt_u32_e64 s0, 16, v8
	buffer_gl0_inv
	v_cndmask_b32_e64 v3, 0, 1, s0
	v_cmp_gt_u32_e64 s0, 24, v8
	s_delay_alu instid0(VALU_DEP_2) | instskip(NEXT) | instid1(VALU_DEP_1)
	v_lshlrev_b32_e32 v3, 4, v3
	v_add_lshl_u32 v3, v3, v8, 2
	ds_bpermute_b32 v4, v3, v4
	v_cndmask_b32_e64 v3, 0, 1, s0
	v_cmp_gt_u32_e64 s0, 28, v8
	s_delay_alu instid0(VALU_DEP_2) | instskip(NEXT) | instid1(VALU_DEP_1)
	v_lshlrev_b32_e32 v3, 3, v3
	v_add_lshl_u32 v3, v3, v8, 2
	s_waitcnt lgkmcnt(0)
	v_add_f16_e32 v5, v6, v4
	s_delay_alu instid0(VALU_DEP_1) | instskip(NEXT) | instid1(VALU_DEP_1)
	v_and_b32_e32 v6, 0xffff, v5
	v_and_or_b32 v4, 0xffff0000, v4, v6
	ds_bpermute_b32 v6, v3, v4
	v_cndmask_b32_e64 v4, 0, 1, s0
	v_cmp_gt_u32_e64 s0, 30, v8
	s_delay_alu instid0(VALU_DEP_2) | instskip(NEXT) | instid1(VALU_DEP_1)
	v_lshlrev_b32_e32 v4, 2, v4
	v_add_lshl_u32 v4, v4, v8, 2
	s_waitcnt lgkmcnt(0)
	v_add_f16_e32 v5, v5, v6
	s_delay_alu instid0(VALU_DEP_1) | instskip(NEXT) | instid1(VALU_DEP_1)
	v_and_b32_e32 v7, 0xffff, v5
	v_and_or_b32 v6, 0xffff0000, v6, v7
	v_cndmask_b32_e64 v7, 0, 1, s0
	v_cmp_ne_u32_e64 s0, 31, v8
	ds_bpermute_b32 v6, v4, v6
	s_waitcnt lgkmcnt(0)
	v_add_f16_e32 v9, v5, v6
	v_lshlrev_b32_e32 v5, 1, v7
	s_delay_alu instid0(VALU_DEP_2) | instskip(NEXT) | instid1(VALU_DEP_2)
	v_and_b32_e32 v7, 0xffff, v9
	v_add_lshl_u32 v5, v5, v8, 2
	v_add_co_ci_u32_e64 v8, s0, 0, v8, s0
	s_delay_alu instid0(VALU_DEP_3) | instskip(SKIP_3) | instid1(VALU_DEP_1)
	v_and_or_b32 v6, 0xffff0000, v6, v7
	ds_bpermute_b32 v6, v5, v6
	s_waitcnt lgkmcnt(0)
	v_add_f16_e32 v7, v9, v6
	v_and_b32_e32 v9, 0xffff, v7
	s_delay_alu instid0(VALU_DEP_1)
	v_and_or_b32 v9, 0xffff0000, v6, v9
	v_lshlrev_b32_e32 v6, 2, v8
	ds_bpermute_b32 v8, v6, v9
	v_cmpx_eq_u32_e32 0, v2
	s_cbranch_execz .LBB509_8
; %bb.7:
	v_lshrrev_b32_e32 v2, 4, v0
	s_waitcnt lgkmcnt(0)
	v_add_f16_e32 v7, v7, v8
	s_delay_alu instid0(VALU_DEP_2)
	v_and_b32_e32 v2, 30, v2
	ds_store_b16 v2, v7
.LBB509_8:
	s_or_b32 exec_lo, exec_lo, s1
	v_mov_b32_e32 v2, 0
	s_mov_b32 s1, exec_lo
	s_waitcnt lgkmcnt(0)
	s_barrier
	buffer_gl0_inv
	v_cmpx_gt_u32_e32 16, v0
	s_cbranch_execz .LBB509_10
; %bb.9:
	ds_load_u16 v2, v1
.LBB509_10:
	s_or_b32 exec_lo, exec_lo, s1
	s_and_saveexec_b32 s0, vcc_lo
	s_cbranch_execz .LBB509_12
; %bb.11:
	s_waitcnt lgkmcnt(0)
	v_and_b32_e32 v1, 0xffff, v2
	ds_bpermute_b32 v1, v3, v1
	s_waitcnt lgkmcnt(0)
	v_add_f16_e32 v2, v2, v1
	s_delay_alu instid0(VALU_DEP_1) | instskip(NEXT) | instid1(VALU_DEP_1)
	v_and_b32_e32 v3, 0xffff, v2
	v_and_or_b32 v1, 0xffff0000, v1, v3
	ds_bpermute_b32 v1, v4, v1
	s_waitcnt lgkmcnt(0)
	v_add_f16_e32 v2, v2, v1
	s_delay_alu instid0(VALU_DEP_1) | instskip(NEXT) | instid1(VALU_DEP_1)
	v_and_b32_e32 v3, 0xffff, v2
	v_and_or_b32 v1, 0xffff0000, v1, v3
	;; [unrolled: 6-line block ×3, first 2 shown]
	ds_bpermute_b32 v1, v6, v1
	s_waitcnt lgkmcnt(0)
	v_add_f16_e32 v2, v2, v1
.LBB509_12:
	s_or_b32 exec_lo, exec_lo, s0
	s_delay_alu instid0(SALU_CYCLE_1)
	s_mov_b32 s0, exec_lo
	v_cmpx_eq_u32_e32 0, v0
	s_cbranch_execz .LBB509_18
; %bb.13:
	s_cmp_lg_u32 s12, 1
	s_cbranch_scc0 .LBB509_15
; %bb.14:
	s_mul_hi_u32 s1, s12, s2
	s_mul_i32 s0, s12, s2
	s_mov_b32 s15, 0
	s_lshl_b64 s[0:1], s[0:1], 1
	s_delay_alu instid0(SALU_CYCLE_1) | instskip(SKIP_2) | instid1(SALU_CYCLE_1)
	s_add_u32 s4, s16, s0
	s_addc_u32 s5, s17, s1
	s_lshl_b64 s[0:1], s[14:15], 1
	s_add_u32 s0, s4, s0
	s_addc_u32 s1, s5, s1
	s_cbranch_execz .LBB509_16
	s_branch .LBB509_17
.LBB509_15:
                                        ; implicit-def: $sgpr0_sgpr1
.LBB509_16:
	s_lshl_b64 s[0:1], s[2:3], 1
	s_delay_alu instid0(SALU_CYCLE_1)
	s_add_u32 s0, s18, s0
	s_addc_u32 s1, s19, s1
.LBB509_17:
	v_mov_b32_e32 v0, 0
	s_waitcnt lgkmcnt(0)
	global_store_b16 v0, v2, s[0:1]
.LBB509_18:
	s_nop 0
	s_sendmsg sendmsg(MSG_DEALLOC_VGPRS)
	s_endpgm
	.section	.rodata,"a",@progbits
	.p2align	6, 0x0
	.amdhsa_kernel _ZL18rocblas_dot_kernelIlLb0ELi512ELi8ELb1EDF16_PKDF16_DF16_EviT5_lT_lS2_lS3_liPT6_PT4_
		.amdhsa_group_segment_fixed_size 64
		.amdhsa_private_segment_fixed_size 0
		.amdhsa_kernarg_size 352
		.amdhsa_user_sgpr_count 14
		.amdhsa_user_sgpr_dispatch_ptr 0
		.amdhsa_user_sgpr_queue_ptr 0
		.amdhsa_user_sgpr_kernarg_segment_ptr 1
		.amdhsa_user_sgpr_dispatch_id 0
		.amdhsa_user_sgpr_private_segment_size 0
		.amdhsa_wavefront_size32 1
		.amdhsa_uses_dynamic_stack 0
		.amdhsa_enable_private_segment 0
		.amdhsa_system_sgpr_workgroup_id_x 1
		.amdhsa_system_sgpr_workgroup_id_y 0
		.amdhsa_system_sgpr_workgroup_id_z 1
		.amdhsa_system_sgpr_workgroup_info 0
		.amdhsa_system_vgpr_workitem_id 0
		.amdhsa_next_free_vgpr 11
		.amdhsa_next_free_sgpr 28
		.amdhsa_reserve_vcc 1
		.amdhsa_float_round_mode_32 0
		.amdhsa_float_round_mode_16_64 0
		.amdhsa_float_denorm_mode_32 3
		.amdhsa_float_denorm_mode_16_64 3
		.amdhsa_dx10_clamp 1
		.amdhsa_ieee_mode 1
		.amdhsa_fp16_overflow 0
		.amdhsa_workgroup_processor_mode 1
		.amdhsa_memory_ordered 1
		.amdhsa_forward_progress 0
		.amdhsa_shared_vgpr_count 0
		.amdhsa_exception_fp_ieee_invalid_op 0
		.amdhsa_exception_fp_denorm_src 0
		.amdhsa_exception_fp_ieee_div_zero 0
		.amdhsa_exception_fp_ieee_overflow 0
		.amdhsa_exception_fp_ieee_underflow 0
		.amdhsa_exception_fp_ieee_inexact 0
		.amdhsa_exception_int_div_zero 0
	.end_amdhsa_kernel
	.section	.text._ZL18rocblas_dot_kernelIlLb0ELi512ELi8ELb1EDF16_PKDF16_DF16_EviT5_lT_lS2_lS3_liPT6_PT4_,"axG",@progbits,_ZL18rocblas_dot_kernelIlLb0ELi512ELi8ELb1EDF16_PKDF16_DF16_EviT5_lT_lS2_lS3_liPT6_PT4_,comdat
.Lfunc_end509:
	.size	_ZL18rocblas_dot_kernelIlLb0ELi512ELi8ELb1EDF16_PKDF16_DF16_EviT5_lT_lS2_lS3_liPT6_PT4_, .Lfunc_end509-_ZL18rocblas_dot_kernelIlLb0ELi512ELi8ELb1EDF16_PKDF16_DF16_EviT5_lT_lS2_lS3_liPT6_PT4_
                                        ; -- End function
	.section	.AMDGPU.csdata,"",@progbits
; Kernel info:
; codeLenInByte = 1252
; NumSgprs: 30
; NumVgprs: 11
; ScratchSize: 0
; MemoryBound: 0
; FloatMode: 240
; IeeeMode: 1
; LDSByteSize: 64 bytes/workgroup (compile time only)
; SGPRBlocks: 3
; VGPRBlocks: 1
; NumSGPRsForWavesPerEU: 30
; NumVGPRsForWavesPerEU: 11
; Occupancy: 16
; WaveLimiterHint : 0
; COMPUTE_PGM_RSRC2:SCRATCH_EN: 0
; COMPUTE_PGM_RSRC2:USER_SGPR: 14
; COMPUTE_PGM_RSRC2:TRAP_HANDLER: 0
; COMPUTE_PGM_RSRC2:TGID_X_EN: 1
; COMPUTE_PGM_RSRC2:TGID_Y_EN: 0
; COMPUTE_PGM_RSRC2:TGID_Z_EN: 1
; COMPUTE_PGM_RSRC2:TIDIG_COMP_CNT: 0
	.section	.text._ZL24rocblas_dot_kernel_magsqIlLb0ELi512ELi8ELb1EDF16_PKDF16_DF16_EviT5_lT_liPT6_PT4_,"axG",@progbits,_ZL24rocblas_dot_kernel_magsqIlLb0ELi512ELi8ELb1EDF16_PKDF16_DF16_EviT5_lT_liPT6_PT4_,comdat
	.globl	_ZL24rocblas_dot_kernel_magsqIlLb0ELi512ELi8ELb1EDF16_PKDF16_DF16_EviT5_lT_liPT6_PT4_ ; -- Begin function _ZL24rocblas_dot_kernel_magsqIlLb0ELi512ELi8ELb1EDF16_PKDF16_DF16_EviT5_lT_liPT6_PT4_
	.p2align	8
	.type	_ZL24rocblas_dot_kernel_magsqIlLb0ELi512ELi8ELb1EDF16_PKDF16_DF16_EviT5_lT_liPT6_PT4_,@function
_ZL24rocblas_dot_kernel_magsqIlLb0ELi512ELi8ELb1EDF16_PKDF16_DF16_EviT5_lT_liPT6_PT4_: ; @_ZL24rocblas_dot_kernel_magsqIlLb0ELi512ELi8ELb1EDF16_PKDF16_DF16_EviT5_lT_liPT6_PT4_
; %bb.0:
	s_clause 0x2
	s_load_b32 s11, s[0:1], 0x0
	s_load_b128 s[4:7], s[0:1], 0x30
	s_load_b32 s10, s[0:1], 0x40
	v_lshl_or_b32 v1, s14, 9, v0
	v_mov_b32_e32 v3, 0
	s_mov_b32 s2, s15
	s_mov_b32 s3, 0
	s_mov_b32 s12, exec_lo
	s_waitcnt lgkmcnt(0)
	v_cmpx_gt_i32_e64 s11, v1
	s_cbranch_execz .LBB510_4
; %bb.1:
	s_clause 0x2
	s_load_b128 s[16:19], s[0:1], 0x10
	s_load_b64 s[8:9], s[0:1], 0x20
	s_load_b64 s[20:21], s[0:1], 0x8
	v_ashrrev_i32_e32 v2, 31, v1
	s_lshl_b32 s1, s10, 9
	s_delay_alu instid0(SALU_CYCLE_1)
	v_add_nc_u32_e32 v4, s1, v1
	s_waitcnt lgkmcnt(0)
	v_mul_lo_u32 v5, s19, v1
	v_mul_lo_u32 v6, s18, v2
	v_mad_u64_u32 v[2:3], null, s18, v1, 0
	s_mul_i32 s0, s9, s2
	s_mul_hi_u32 s9, s8, s2
	s_mul_i32 s8, s8, s2
	s_add_i32 s9, s9, s0
	s_lshl_b64 s[16:17], s[16:17], 1
	s_lshl_b64 s[8:9], s[8:9], 1
	s_delay_alu instid0(VALU_DEP_1)
	v_add3_u32 v3, v3, v6, v5
	s_add_u32 s0, s20, s16
	s_addc_u32 s13, s21, s17
	s_add_u32 s0, s0, s8
	s_addc_u32 s13, s13, s9
	v_lshlrev_b64 v[1:2], 1, v[2:3]
	v_mov_b32_e32 v3, 0
	s_ashr_i32 s8, s1, 31
	s_mul_hi_u32 s9, s18, s1
	s_mul_i32 s8, s18, s8
	s_mul_i32 s15, s19, s1
	v_add_co_u32 v1, vcc_lo, s0, v1
	s_add_i32 s9, s9, s8
	v_add_co_ci_u32_e32 v2, vcc_lo, s13, v2, vcc_lo
	s_mul_i32 s8, s18, s1
	s_add_i32 s9, s9, s15
	s_mov_b32 s13, s3
	s_lshl_b64 s[8:9], s[8:9], 1
	s_mov_b32 s15, s3
	.p2align	6
.LBB510_2:                              ; =>This Inner Loop Header: Depth=1
	global_load_u16 v5, v[1:2], off
	s_add_i32 s16, s15, 1
	v_cmp_le_i32_e32 vcc_lo, s11, v4
	v_add_co_u32 v1, s0, v1, s8
	s_cmp_gt_u32 s15, 6
	v_add_co_ci_u32_e64 v2, s0, s9, v2, s0
	s_cselect_b32 s0, -1, 0
	v_add_nc_u32_e32 v4, s1, v4
	s_or_b32 s0, s0, vcc_lo
	s_mov_b32 s15, s16
	s_and_b32 s0, exec_lo, s0
	s_delay_alu instid0(SALU_CYCLE_1)
	s_or_b32 s13, s0, s13
	s_waitcnt vmcnt(0)
	v_fmac_f16_e32 v3, v5, v5
	s_and_not1_b32 exec_lo, exec_lo, s13
	s_cbranch_execnz .LBB510_2
; %bb.3:
	s_or_b32 exec_lo, exec_lo, s13
.LBB510_4:
	s_delay_alu instid0(SALU_CYCLE_1) | instskip(SKIP_2) | instid1(VALU_DEP_2)
	s_or_b32 exec_lo, exec_lo, s12
	v_and_b32_e32 v2, 31, v0
	v_cmp_gt_u32_e32 vcc_lo, 32, v0
	v_lshlrev_b32_e32 v1, 1, v2
	s_and_saveexec_b32 s0, vcc_lo
	s_cbranch_execz .LBB510_6
; %bb.5:
	v_mov_b32_e32 v4, 0
	ds_store_b16 v1, v4
.LBB510_6:
	s_or_b32 exec_lo, exec_lo, s0
	v_mbcnt_lo_u32_b32 v6, -1, 0
	v_and_b32_e32 v5, 0xffff, v3
	s_mov_b32 s1, exec_lo
	s_waitcnt lgkmcnt(0)
	s_barrier
	v_cmp_gt_u32_e64 s0, 16, v6
	buffer_gl0_inv
	v_cndmask_b32_e64 v4, 0, 1, s0
	v_cmp_gt_u32_e64 s0, 24, v6
	s_delay_alu instid0(VALU_DEP_2) | instskip(NEXT) | instid1(VALU_DEP_1)
	v_lshlrev_b32_e32 v4, 4, v4
	v_add_lshl_u32 v4, v4, v6, 2
	ds_bpermute_b32 v4, v4, v5
	v_cndmask_b32_e64 v5, 0, 1, s0
	v_cmp_gt_u32_e64 s0, 28, v6
	s_waitcnt lgkmcnt(0)
	v_add_f16_e32 v7, v3, v4
	s_delay_alu instid0(VALU_DEP_3) | instskip(NEXT) | instid1(VALU_DEP_2)
	v_lshlrev_b32_e32 v3, 3, v5
	v_and_b32_e32 v5, 0xffff, v7
	s_delay_alu instid0(VALU_DEP_2) | instskip(NEXT) | instid1(VALU_DEP_2)
	v_add_lshl_u32 v3, v3, v6, 2
	v_and_or_b32 v4, 0xffff0000, v4, v5
	ds_bpermute_b32 v5, v3, v4
	v_cndmask_b32_e64 v4, 0, 1, s0
	v_cmp_gt_u32_e64 s0, 30, v6
	s_delay_alu instid0(VALU_DEP_2) | instskip(NEXT) | instid1(VALU_DEP_1)
	v_lshlrev_b32_e32 v4, 2, v4
	v_add_lshl_u32 v4, v4, v6, 2
	s_waitcnt lgkmcnt(0)
	v_add_f16_e32 v7, v7, v5
	s_delay_alu instid0(VALU_DEP_1) | instskip(NEXT) | instid1(VALU_DEP_1)
	v_and_b32_e32 v8, 0xffff, v7
	v_and_or_b32 v5, 0xffff0000, v5, v8
	ds_bpermute_b32 v8, v4, v5
	v_cndmask_b32_e64 v5, 0, 1, s0
	v_cmp_ne_u32_e64 s0, 31, v6
	s_delay_alu instid0(VALU_DEP_2) | instskip(NEXT) | instid1(VALU_DEP_1)
	v_lshlrev_b32_e32 v5, 1, v5
	v_add_lshl_u32 v5, v5, v6, 2
	s_delay_alu instid0(VALU_DEP_3) | instskip(NEXT) | instid1(VALU_DEP_1)
	v_add_co_ci_u32_e64 v6, s0, 0, v6, s0
	v_lshlrev_b32_e32 v6, 2, v6
	s_waitcnt lgkmcnt(0)
	v_add_f16_e32 v7, v7, v8
	s_delay_alu instid0(VALU_DEP_1) | instskip(NEXT) | instid1(VALU_DEP_1)
	v_and_b32_e32 v9, 0xffff, v7
	v_and_or_b32 v8, 0xffff0000, v8, v9
	ds_bpermute_b32 v8, v5, v8
	s_waitcnt lgkmcnt(0)
	v_add_f16_e32 v7, v7, v8
	s_delay_alu instid0(VALU_DEP_1) | instskip(NEXT) | instid1(VALU_DEP_1)
	v_and_b32_e32 v9, 0xffff, v7
	v_and_or_b32 v8, 0xffff0000, v8, v9
	ds_bpermute_b32 v8, v6, v8
	v_cmpx_eq_u32_e32 0, v2
	s_cbranch_execz .LBB510_8
; %bb.7:
	v_lshrrev_b32_e32 v2, 4, v0
	s_waitcnt lgkmcnt(0)
	v_add_f16_e32 v7, v7, v8
	s_delay_alu instid0(VALU_DEP_2)
	v_and_b32_e32 v2, 30, v2
	ds_store_b16 v2, v7
.LBB510_8:
	s_or_b32 exec_lo, exec_lo, s1
	v_mov_b32_e32 v2, 0
	s_mov_b32 s1, exec_lo
	s_waitcnt lgkmcnt(0)
	s_barrier
	buffer_gl0_inv
	v_cmpx_gt_u32_e32 16, v0
	s_cbranch_execz .LBB510_10
; %bb.9:
	ds_load_u16 v2, v1
.LBB510_10:
	s_or_b32 exec_lo, exec_lo, s1
	s_and_saveexec_b32 s0, vcc_lo
	s_cbranch_execz .LBB510_12
; %bb.11:
	s_waitcnt lgkmcnt(0)
	v_and_b32_e32 v1, 0xffff, v2
	ds_bpermute_b32 v1, v3, v1
	s_waitcnt lgkmcnt(0)
	v_add_f16_e32 v2, v2, v1
	s_delay_alu instid0(VALU_DEP_1) | instskip(NEXT) | instid1(VALU_DEP_1)
	v_and_b32_e32 v3, 0xffff, v2
	v_and_or_b32 v1, 0xffff0000, v1, v3
	ds_bpermute_b32 v1, v4, v1
	s_waitcnt lgkmcnt(0)
	v_add_f16_e32 v2, v2, v1
	s_delay_alu instid0(VALU_DEP_1) | instskip(NEXT) | instid1(VALU_DEP_1)
	v_and_b32_e32 v3, 0xffff, v2
	v_and_or_b32 v1, 0xffff0000, v1, v3
	;; [unrolled: 6-line block ×3, first 2 shown]
	ds_bpermute_b32 v1, v6, v1
	s_waitcnt lgkmcnt(0)
	v_add_f16_e32 v2, v2, v1
.LBB510_12:
	s_or_b32 exec_lo, exec_lo, s0
	s_delay_alu instid0(SALU_CYCLE_1)
	s_mov_b32 s0, exec_lo
	v_cmpx_eq_u32_e32 0, v0
	s_cbranch_execz .LBB510_18
; %bb.13:
	s_cmp_lg_u32 s10, 1
	s_cbranch_scc0 .LBB510_15
; %bb.14:
	s_mul_hi_u32 s1, s10, s2
	s_mul_i32 s0, s10, s2
	s_mov_b32 s15, 0
	s_lshl_b64 s[0:1], s[0:1], 1
	s_delay_alu instid0(SALU_CYCLE_1) | instskip(SKIP_2) | instid1(SALU_CYCLE_1)
	s_add_u32 s4, s4, s0
	s_addc_u32 s5, s5, s1
	s_lshl_b64 s[0:1], s[14:15], 1
	s_add_u32 s0, s4, s0
	s_addc_u32 s1, s5, s1
	s_cbranch_execz .LBB510_16
	s_branch .LBB510_17
.LBB510_15:
                                        ; implicit-def: $sgpr0_sgpr1
.LBB510_16:
	s_lshl_b64 s[0:1], s[2:3], 1
	s_delay_alu instid0(SALU_CYCLE_1)
	s_add_u32 s0, s6, s0
	s_addc_u32 s1, s7, s1
.LBB510_17:
	v_mov_b32_e32 v0, 0
	s_waitcnt lgkmcnt(0)
	global_store_b16 v0, v2, s[0:1]
.LBB510_18:
	s_nop 0
	s_sendmsg sendmsg(MSG_DEALLOC_VGPRS)
	s_endpgm
	.section	.rodata,"a",@progbits
	.p2align	6, 0x0
	.amdhsa_kernel _ZL24rocblas_dot_kernel_magsqIlLb0ELi512ELi8ELb1EDF16_PKDF16_DF16_EviT5_lT_liPT6_PT4_
		.amdhsa_group_segment_fixed_size 64
		.amdhsa_private_segment_fixed_size 0
		.amdhsa_kernarg_size 320
		.amdhsa_user_sgpr_count 14
		.amdhsa_user_sgpr_dispatch_ptr 0
		.amdhsa_user_sgpr_queue_ptr 0
		.amdhsa_user_sgpr_kernarg_segment_ptr 1
		.amdhsa_user_sgpr_dispatch_id 0
		.amdhsa_user_sgpr_private_segment_size 0
		.amdhsa_wavefront_size32 1
		.amdhsa_uses_dynamic_stack 0
		.amdhsa_enable_private_segment 0
		.amdhsa_system_sgpr_workgroup_id_x 1
		.amdhsa_system_sgpr_workgroup_id_y 0
		.amdhsa_system_sgpr_workgroup_id_z 1
		.amdhsa_system_sgpr_workgroup_info 0
		.amdhsa_system_vgpr_workitem_id 0
		.amdhsa_next_free_vgpr 10
		.amdhsa_next_free_sgpr 22
		.amdhsa_reserve_vcc 1
		.amdhsa_float_round_mode_32 0
		.amdhsa_float_round_mode_16_64 0
		.amdhsa_float_denorm_mode_32 3
		.amdhsa_float_denorm_mode_16_64 3
		.amdhsa_dx10_clamp 1
		.amdhsa_ieee_mode 1
		.amdhsa_fp16_overflow 0
		.amdhsa_workgroup_processor_mode 1
		.amdhsa_memory_ordered 1
		.amdhsa_forward_progress 0
		.amdhsa_shared_vgpr_count 0
		.amdhsa_exception_fp_ieee_invalid_op 0
		.amdhsa_exception_fp_denorm_src 0
		.amdhsa_exception_fp_ieee_div_zero 0
		.amdhsa_exception_fp_ieee_overflow 0
		.amdhsa_exception_fp_ieee_underflow 0
		.amdhsa_exception_fp_ieee_inexact 0
		.amdhsa_exception_int_div_zero 0
	.end_amdhsa_kernel
	.section	.text._ZL24rocblas_dot_kernel_magsqIlLb0ELi512ELi8ELb1EDF16_PKDF16_DF16_EviT5_lT_liPT6_PT4_,"axG",@progbits,_ZL24rocblas_dot_kernel_magsqIlLb0ELi512ELi8ELb1EDF16_PKDF16_DF16_EviT5_lT_liPT6_PT4_,comdat
.Lfunc_end510:
	.size	_ZL24rocblas_dot_kernel_magsqIlLb0ELi512ELi8ELb1EDF16_PKDF16_DF16_EviT5_lT_liPT6_PT4_, .Lfunc_end510-_ZL24rocblas_dot_kernel_magsqIlLb0ELi512ELi8ELb1EDF16_PKDF16_DF16_EviT5_lT_liPT6_PT4_
                                        ; -- End function
	.section	.AMDGPU.csdata,"",@progbits
; Kernel info:
; codeLenInByte = 1100
; NumSgprs: 24
; NumVgprs: 10
; ScratchSize: 0
; MemoryBound: 0
; FloatMode: 240
; IeeeMode: 1
; LDSByteSize: 64 bytes/workgroup (compile time only)
; SGPRBlocks: 2
; VGPRBlocks: 1
; NumSGPRsForWavesPerEU: 24
; NumVGPRsForWavesPerEU: 10
; Occupancy: 16
; WaveLimiterHint : 0
; COMPUTE_PGM_RSRC2:SCRATCH_EN: 0
; COMPUTE_PGM_RSRC2:USER_SGPR: 14
; COMPUTE_PGM_RSRC2:TRAP_HANDLER: 0
; COMPUTE_PGM_RSRC2:TGID_X_EN: 1
; COMPUTE_PGM_RSRC2:TGID_Y_EN: 0
; COMPUTE_PGM_RSRC2:TGID_Z_EN: 1
; COMPUTE_PGM_RSRC2:TIDIG_COMP_CNT: 0
	.section	.text._ZL28rocblas_dot_batched_4_kernelIiLi32ELi4ELb1EDF16_DF16_PKPKDF16_EviT5_lT_lS4_lS5_liPT4_,"axG",@progbits,_ZL28rocblas_dot_batched_4_kernelIiLi32ELi4ELb1EDF16_DF16_PKPKDF16_EviT5_lT_lS4_lS5_liPT4_,comdat
	.globl	_ZL28rocblas_dot_batched_4_kernelIiLi32ELi4ELb1EDF16_DF16_PKPKDF16_EviT5_lT_lS4_lS5_liPT4_ ; -- Begin function _ZL28rocblas_dot_batched_4_kernelIiLi32ELi4ELb1EDF16_DF16_PKPKDF16_EviT5_lT_lS4_lS5_liPT4_
	.p2align	8
	.type	_ZL28rocblas_dot_batched_4_kernelIiLi32ELi4ELb1EDF16_DF16_PKPKDF16_EviT5_lT_lS4_lS5_liPT4_,@function
_ZL28rocblas_dot_batched_4_kernelIiLi32ELi4ELb1EDF16_DF16_PKPKDF16_EviT5_lT_lS4_lS5_liPT4_: ; @_ZL28rocblas_dot_batched_4_kernelIiLi32ELi4ELb1EDF16_DF16_PKPKDF16_EviT5_lT_lS4_lS5_liPT4_
; %bb.0:
	s_load_b32 s2, s[0:1], 0x48
	v_bfe_u32 v1, v0, 10, 10
	s_delay_alu instid0(VALU_DEP_1) | instskip(SKIP_1) | instid1(VALU_DEP_1)
	v_lshl_add_u32 v1, s15, 2, v1
	s_waitcnt lgkmcnt(0)
	v_cmp_gt_u32_e32 vcc_lo, s2, v1
	s_and_saveexec_b32 s2, vcc_lo
	s_cbranch_execz .LBB511_7
; %bb.1:
	s_clause 0x1
	s_load_b32 s12, s[0:1], 0x0
	s_load_b64 s[2:3], s[0:1], 0x50
	v_mov_b32_e32 v2, 0
	v_and_b32_e32 v0, 0x3ff, v0
	s_mov_b32 s13, exec_lo
	s_delay_alu instid0(VALU_DEP_2) | instskip(SKIP_1) | instid1(VALU_DEP_2)
	v_mov_b32_e32 v7, v2
	s_waitcnt lgkmcnt(0)
	v_cmpx_gt_i32_e64 s12, v0
	s_cbranch_execz .LBB511_5
; %bb.2:
	s_clause 0x1
	s_load_b128 s[4:7], s[0:1], 0x8
	s_load_b128 s[8:11], s[0:1], 0x28
	v_lshlrev_b64 v[3:4], 3, v[1:2]
	s_clause 0x1
	s_load_b32 s14, s[0:1], 0x18
	s_load_b32 s0, s[0:1], 0x38
	v_mov_b32_e32 v7, 0
	s_waitcnt lgkmcnt(0)
	v_add_co_u32 v5, vcc_lo, s4, v3
	v_add_co_ci_u32_e32 v6, vcc_lo, s5, v4, vcc_lo
	v_add_co_u32 v3, vcc_lo, s8, v3
	v_add_co_ci_u32_e32 v4, vcc_lo, s9, v4, vcc_lo
	v_mad_i64_i32 v[10:11], null, s0, v0, 0
	global_load_b64 v[5:6], v[5:6], off
	global_load_b64 v[8:9], v[3:4], off
	v_mad_i64_i32 v[3:4], null, s14, v0, 0
	s_lshl_b64 s[4:5], s[6:7], 1
	s_lshl_b64 s[6:7], s[10:11], 1
	s_ashr_i32 s15, s14, 31
	v_lshlrev_b64 v[10:11], 1, v[10:11]
	s_ashr_i32 s1, s0, 31
	s_delay_alu instid0(VALU_DEP_2) | instskip(NEXT) | instid1(VALU_DEP_1)
	v_lshlrev_b64 v[3:4], 1, v[3:4]
	v_add_co_u32 v3, vcc_lo, v3, s4
	s_delay_alu instid0(VALU_DEP_2) | instskip(NEXT) | instid1(VALU_DEP_4)
	v_add_co_ci_u32_e32 v4, vcc_lo, s5, v4, vcc_lo
	v_add_co_u32 v10, vcc_lo, v10, s6
	v_add_co_ci_u32_e32 v11, vcc_lo, s7, v11, vcc_lo
	s_lshl_b64 s[4:5], s[14:15], 6
	s_lshl_b64 s[6:7], s[0:1], 6
	s_mov_b32 s1, 0
	s_waitcnt vmcnt(1)
	v_add_co_u32 v3, vcc_lo, v5, v3
	v_add_co_ci_u32_e32 v4, vcc_lo, v6, v4, vcc_lo
	s_waitcnt vmcnt(0)
	v_add_co_u32 v5, vcc_lo, v8, v10
	v_mov_b32_e32 v8, v0
	v_add_co_ci_u32_e32 v6, vcc_lo, v9, v11, vcc_lo
	.p2align	6
.LBB511_3:                              ; =>This Inner Loop Header: Depth=1
	global_load_u16 v9, v[3:4], off
	global_load_u16 v10, v[5:6], off
	v_add_nc_u32_e32 v8, 32, v8
	v_add_co_u32 v3, vcc_lo, v3, s4
	v_add_co_ci_u32_e32 v4, vcc_lo, s5, v4, vcc_lo
	v_add_co_u32 v5, vcc_lo, v5, s6
	s_delay_alu instid0(VALU_DEP_4) | instskip(SKIP_1) | instid1(VALU_DEP_2)
	v_cmp_le_i32_e64 s0, s12, v8
	v_add_co_ci_u32_e32 v6, vcc_lo, s7, v6, vcc_lo
	s_or_b32 s1, s0, s1
	s_waitcnt vmcnt(0)
	v_fmac_f16_e32 v7, v9, v10
	s_and_not1_b32 exec_lo, exec_lo, s1
	s_cbranch_execnz .LBB511_3
; %bb.4:
	s_or_b32 exec_lo, exec_lo, s1
.LBB511_5:
	s_delay_alu instid0(SALU_CYCLE_1)
	s_or_b32 exec_lo, exec_lo, s13
	v_mbcnt_lo_u32_b32 v4, -1, 0
	v_and_b32_e32 v5, 0xffff, v7
	s_barrier
	buffer_gl0_inv
	v_cmp_gt_u32_e32 vcc_lo, 16, v4
	v_cndmask_b32_e64 v3, 0, 1, vcc_lo
	v_cmp_gt_u32_e32 vcc_lo, 24, v4
	s_delay_alu instid0(VALU_DEP_2) | instskip(NEXT) | instid1(VALU_DEP_1)
	v_lshlrev_b32_e32 v3, 4, v3
	v_add_lshl_u32 v3, v3, v4, 2
	ds_bpermute_b32 v3, v3, v5
	v_cndmask_b32_e64 v5, 0, 1, vcc_lo
	v_cmp_gt_u32_e32 vcc_lo, 28, v4
	s_delay_alu instid0(VALU_DEP_2) | instskip(NEXT) | instid1(VALU_DEP_1)
	v_lshlrev_b32_e32 v5, 3, v5
	v_add_lshl_u32 v5, v5, v4, 2
	s_waitcnt lgkmcnt(0)
	v_add_f16_e32 v6, v7, v3
	s_delay_alu instid0(VALU_DEP_1) | instskip(NEXT) | instid1(VALU_DEP_1)
	v_and_b32_e32 v7, 0xffff, v6
	v_and_or_b32 v3, 0xffff0000, v3, v7
	ds_bpermute_b32 v3, v5, v3
	v_cndmask_b32_e64 v5, 0, 1, vcc_lo
	v_cmp_gt_u32_e32 vcc_lo, 30, v4
	s_delay_alu instid0(VALU_DEP_2) | instskip(NEXT) | instid1(VALU_DEP_1)
	v_lshlrev_b32_e32 v5, 2, v5
	v_add_lshl_u32 v5, v5, v4, 2
	s_waitcnt lgkmcnt(0)
	v_add_f16_e32 v6, v6, v3
	s_delay_alu instid0(VALU_DEP_1) | instskip(NEXT) | instid1(VALU_DEP_1)
	v_and_b32_e32 v7, 0xffff, v6
	v_and_or_b32 v3, 0xffff0000, v3, v7
	ds_bpermute_b32 v3, v5, v3
	v_cndmask_b32_e64 v5, 0, 1, vcc_lo
	v_cmp_ne_u32_e32 vcc_lo, 31, v4
	s_delay_alu instid0(VALU_DEP_2) | instskip(NEXT) | instid1(VALU_DEP_1)
	v_lshlrev_b32_e32 v5, 1, v5
	v_add_lshl_u32 v5, v5, v4, 2
	v_add_co_ci_u32_e32 v4, vcc_lo, 0, v4, vcc_lo
	v_cmp_eq_u32_e32 vcc_lo, 0, v0
	s_delay_alu instid0(VALU_DEP_2) | instskip(SKIP_2) | instid1(VALU_DEP_1)
	v_lshlrev_b32_e32 v4, 2, v4
	s_waitcnt lgkmcnt(0)
	v_add_f16_e32 v6, v6, v3
	v_and_b32_e32 v7, 0xffff, v6
	s_delay_alu instid0(VALU_DEP_1) | instskip(SKIP_3) | instid1(VALU_DEP_1)
	v_and_or_b32 v3, 0xffff0000, v3, v7
	ds_bpermute_b32 v5, v5, v3
	s_waitcnt lgkmcnt(0)
	v_add_f16_e32 v3, v6, v5
	v_and_b32_e32 v6, 0xffff, v3
	s_delay_alu instid0(VALU_DEP_1)
	v_and_or_b32 v5, 0xffff0000, v5, v6
	ds_bpermute_b32 v4, v4, v5
	s_and_b32 exec_lo, exec_lo, vcc_lo
	s_cbranch_execz .LBB511_7
; %bb.6:
	v_lshlrev_b64 v[0:1], 1, v[1:2]
	s_waitcnt lgkmcnt(0)
	v_add_f16_e32 v2, v3, v4
	s_delay_alu instid0(VALU_DEP_2) | instskip(NEXT) | instid1(VALU_DEP_3)
	v_add_co_u32 v0, vcc_lo, s2, v0
	v_add_co_ci_u32_e32 v1, vcc_lo, s3, v1, vcc_lo
	global_store_b16 v[0:1], v2, off
.LBB511_7:
	s_nop 0
	s_sendmsg sendmsg(MSG_DEALLOC_VGPRS)
	s_endpgm
	.section	.rodata,"a",@progbits
	.p2align	6, 0x0
	.amdhsa_kernel _ZL28rocblas_dot_batched_4_kernelIiLi32ELi4ELb1EDF16_DF16_PKPKDF16_EviT5_lT_lS4_lS5_liPT4_
		.amdhsa_group_segment_fixed_size 0
		.amdhsa_private_segment_fixed_size 0
		.amdhsa_kernarg_size 88
		.amdhsa_user_sgpr_count 15
		.amdhsa_user_sgpr_dispatch_ptr 0
		.amdhsa_user_sgpr_queue_ptr 0
		.amdhsa_user_sgpr_kernarg_segment_ptr 1
		.amdhsa_user_sgpr_dispatch_id 0
		.amdhsa_user_sgpr_private_segment_size 0
		.amdhsa_wavefront_size32 1
		.amdhsa_uses_dynamic_stack 0
		.amdhsa_enable_private_segment 0
		.amdhsa_system_sgpr_workgroup_id_x 1
		.amdhsa_system_sgpr_workgroup_id_y 0
		.amdhsa_system_sgpr_workgroup_id_z 0
		.amdhsa_system_sgpr_workgroup_info 0
		.amdhsa_system_vgpr_workitem_id 1
		.amdhsa_next_free_vgpr 12
		.amdhsa_next_free_sgpr 16
		.amdhsa_reserve_vcc 1
		.amdhsa_float_round_mode_32 0
		.amdhsa_float_round_mode_16_64 0
		.amdhsa_float_denorm_mode_32 3
		.amdhsa_float_denorm_mode_16_64 3
		.amdhsa_dx10_clamp 1
		.amdhsa_ieee_mode 1
		.amdhsa_fp16_overflow 0
		.amdhsa_workgroup_processor_mode 1
		.amdhsa_memory_ordered 1
		.amdhsa_forward_progress 0
		.amdhsa_shared_vgpr_count 0
		.amdhsa_exception_fp_ieee_invalid_op 0
		.amdhsa_exception_fp_denorm_src 0
		.amdhsa_exception_fp_ieee_div_zero 0
		.amdhsa_exception_fp_ieee_overflow 0
		.amdhsa_exception_fp_ieee_underflow 0
		.amdhsa_exception_fp_ieee_inexact 0
		.amdhsa_exception_int_div_zero 0
	.end_amdhsa_kernel
	.section	.text._ZL28rocblas_dot_batched_4_kernelIiLi32ELi4ELb1EDF16_DF16_PKPKDF16_EviT5_lT_lS4_lS5_liPT4_,"axG",@progbits,_ZL28rocblas_dot_batched_4_kernelIiLi32ELi4ELb1EDF16_DF16_PKPKDF16_EviT5_lT_lS4_lS5_liPT4_,comdat
.Lfunc_end511:
	.size	_ZL28rocblas_dot_batched_4_kernelIiLi32ELi4ELb1EDF16_DF16_PKPKDF16_EviT5_lT_lS4_lS5_liPT4_, .Lfunc_end511-_ZL28rocblas_dot_batched_4_kernelIiLi32ELi4ELb1EDF16_DF16_PKPKDF16_EviT5_lT_lS4_lS5_liPT4_
                                        ; -- End function
	.section	.AMDGPU.csdata,"",@progbits
; Kernel info:
; codeLenInByte = 804
; NumSgprs: 18
; NumVgprs: 12
; ScratchSize: 0
; MemoryBound: 0
; FloatMode: 240
; IeeeMode: 1
; LDSByteSize: 0 bytes/workgroup (compile time only)
; SGPRBlocks: 2
; VGPRBlocks: 1
; NumSGPRsForWavesPerEU: 18
; NumVGPRsForWavesPerEU: 12
; Occupancy: 16
; WaveLimiterHint : 0
; COMPUTE_PGM_RSRC2:SCRATCH_EN: 0
; COMPUTE_PGM_RSRC2:USER_SGPR: 15
; COMPUTE_PGM_RSRC2:TRAP_HANDLER: 0
; COMPUTE_PGM_RSRC2:TGID_X_EN: 1
; COMPUTE_PGM_RSRC2:TGID_Y_EN: 0
; COMPUTE_PGM_RSRC2:TGID_Z_EN: 0
; COMPUTE_PGM_RSRC2:TIDIG_COMP_CNT: 1
	.section	.text._ZL28rocblas_dot_batched_4_kernelIiLi64ELi4ELb1EDF16_DF16_PKPKDF16_EviT5_lT_lS4_lS5_liPT4_,"axG",@progbits,_ZL28rocblas_dot_batched_4_kernelIiLi64ELi4ELb1EDF16_DF16_PKPKDF16_EviT5_lT_lS4_lS5_liPT4_,comdat
	.globl	_ZL28rocblas_dot_batched_4_kernelIiLi64ELi4ELb1EDF16_DF16_PKPKDF16_EviT5_lT_lS4_lS5_liPT4_ ; -- Begin function _ZL28rocblas_dot_batched_4_kernelIiLi64ELi4ELb1EDF16_DF16_PKPKDF16_EviT5_lT_lS4_lS5_liPT4_
	.p2align	8
	.type	_ZL28rocblas_dot_batched_4_kernelIiLi64ELi4ELb1EDF16_DF16_PKPKDF16_EviT5_lT_lS4_lS5_liPT4_,@function
_ZL28rocblas_dot_batched_4_kernelIiLi64ELi4ELb1EDF16_DF16_PKPKDF16_EviT5_lT_lS4_lS5_liPT4_: ; @_ZL28rocblas_dot_batched_4_kernelIiLi64ELi4ELb1EDF16_DF16_PKPKDF16_EviT5_lT_lS4_lS5_liPT4_
; %bb.0:
	s_load_b32 s2, s[0:1], 0x48
	v_bfe_u32 v1, v0, 10, 10
	s_delay_alu instid0(VALU_DEP_1) | instskip(SKIP_1) | instid1(VALU_DEP_1)
	v_lshl_add_u32 v1, s15, 2, v1
	s_waitcnt lgkmcnt(0)
	v_cmp_gt_u32_e32 vcc_lo, s2, v1
	s_and_saveexec_b32 s2, vcc_lo
	s_cbranch_execz .LBB512_7
; %bb.1:
	s_clause 0x1
	s_load_b32 s12, s[0:1], 0x0
	s_load_b64 s[2:3], s[0:1], 0x50
	v_mov_b32_e32 v2, 0
	v_and_b32_e32 v0, 0x3ff, v0
	s_mov_b32 s13, exec_lo
	s_delay_alu instid0(VALU_DEP_2) | instskip(SKIP_1) | instid1(VALU_DEP_2)
	v_mov_b32_e32 v7, v2
	s_waitcnt lgkmcnt(0)
	v_cmpx_gt_i32_e64 s12, v0
	s_cbranch_execz .LBB512_5
; %bb.2:
	s_clause 0x1
	s_load_b128 s[4:7], s[0:1], 0x8
	s_load_b128 s[8:11], s[0:1], 0x28
	v_lshlrev_b64 v[3:4], 3, v[1:2]
	s_clause 0x1
	s_load_b32 s14, s[0:1], 0x18
	s_load_b32 s0, s[0:1], 0x38
	v_mov_b32_e32 v7, 0
	s_waitcnt lgkmcnt(0)
	v_add_co_u32 v5, vcc_lo, s4, v3
	v_add_co_ci_u32_e32 v6, vcc_lo, s5, v4, vcc_lo
	v_add_co_u32 v3, vcc_lo, s8, v3
	v_add_co_ci_u32_e32 v4, vcc_lo, s9, v4, vcc_lo
	v_mad_i64_i32 v[10:11], null, s0, v0, 0
	global_load_b64 v[5:6], v[5:6], off
	global_load_b64 v[8:9], v[3:4], off
	v_mad_i64_i32 v[3:4], null, s14, v0, 0
	s_lshl_b64 s[4:5], s[6:7], 1
	s_lshl_b64 s[6:7], s[10:11], 1
	s_ashr_i32 s15, s14, 31
	v_lshlrev_b64 v[10:11], 1, v[10:11]
	s_ashr_i32 s1, s0, 31
	s_delay_alu instid0(VALU_DEP_2) | instskip(NEXT) | instid1(VALU_DEP_1)
	v_lshlrev_b64 v[3:4], 1, v[3:4]
	v_add_co_u32 v3, vcc_lo, v3, s4
	s_delay_alu instid0(VALU_DEP_2) | instskip(NEXT) | instid1(VALU_DEP_4)
	v_add_co_ci_u32_e32 v4, vcc_lo, s5, v4, vcc_lo
	v_add_co_u32 v10, vcc_lo, v10, s6
	v_add_co_ci_u32_e32 v11, vcc_lo, s7, v11, vcc_lo
	s_lshl_b64 s[4:5], s[14:15], 7
	s_lshl_b64 s[6:7], s[0:1], 7
	s_mov_b32 s1, 0
	s_waitcnt vmcnt(1)
	v_add_co_u32 v3, vcc_lo, v5, v3
	v_add_co_ci_u32_e32 v4, vcc_lo, v6, v4, vcc_lo
	s_waitcnt vmcnt(0)
	v_add_co_u32 v5, vcc_lo, v8, v10
	v_mov_b32_e32 v8, v0
	v_add_co_ci_u32_e32 v6, vcc_lo, v9, v11, vcc_lo
	.p2align	6
.LBB512_3:                              ; =>This Inner Loop Header: Depth=1
	global_load_u16 v9, v[3:4], off
	global_load_u16 v10, v[5:6], off
	v_add_nc_u32_e32 v8, 64, v8
	v_add_co_u32 v3, vcc_lo, v3, s4
	v_add_co_ci_u32_e32 v4, vcc_lo, s5, v4, vcc_lo
	v_add_co_u32 v5, vcc_lo, v5, s6
	s_delay_alu instid0(VALU_DEP_4) | instskip(SKIP_1) | instid1(VALU_DEP_2)
	v_cmp_le_i32_e64 s0, s12, v8
	v_add_co_ci_u32_e32 v6, vcc_lo, s7, v6, vcc_lo
	s_or_b32 s1, s0, s1
	s_waitcnt vmcnt(0)
	v_fmac_f16_e32 v7, v9, v10
	s_and_not1_b32 exec_lo, exec_lo, s1
	s_cbranch_execnz .LBB512_3
; %bb.4:
	s_or_b32 exec_lo, exec_lo, s1
.LBB512_5:
	s_delay_alu instid0(SALU_CYCLE_1)
	s_or_b32 exec_lo, exec_lo, s13
	v_mbcnt_lo_u32_b32 v4, -1, 0
	v_and_b32_e32 v3, 0xffff, v7
	s_barrier
	buffer_gl0_inv
	v_lshlrev_b32_e32 v5, 2, v4
	v_cmp_gt_u32_e32 vcc_lo, 16, v4
	ds_bpermute_b32 v3, v5, v3
	v_cndmask_b32_e64 v5, 0, 1, vcc_lo
	v_cmp_gt_u32_e32 vcc_lo, 24, v4
	s_delay_alu instid0(VALU_DEP_2) | instskip(NEXT) | instid1(VALU_DEP_1)
	v_lshlrev_b32_e32 v5, 4, v5
	v_add_lshl_u32 v5, v5, v4, 2
	s_waitcnt lgkmcnt(0)
	v_add_f16_e32 v6, v7, v3
	s_delay_alu instid0(VALU_DEP_1) | instskip(NEXT) | instid1(VALU_DEP_1)
	v_and_b32_e32 v7, 0xffff, v6
	v_and_or_b32 v3, 0xffff0000, v3, v7
	ds_bpermute_b32 v3, v5, v3
	v_cndmask_b32_e64 v5, 0, 1, vcc_lo
	v_cmp_gt_u32_e32 vcc_lo, 28, v4
	s_delay_alu instid0(VALU_DEP_2) | instskip(NEXT) | instid1(VALU_DEP_1)
	v_lshlrev_b32_e32 v5, 3, v5
	v_add_lshl_u32 v5, v5, v4, 2
	s_waitcnt lgkmcnt(0)
	v_add_f16_e32 v6, v6, v3
	s_delay_alu instid0(VALU_DEP_1) | instskip(NEXT) | instid1(VALU_DEP_1)
	v_and_b32_e32 v7, 0xffff, v6
	v_and_or_b32 v3, 0xffff0000, v3, v7
	ds_bpermute_b32 v3, v5, v3
	v_cndmask_b32_e64 v5, 0, 1, vcc_lo
	v_cmp_gt_u32_e32 vcc_lo, 30, v4
	s_delay_alu instid0(VALU_DEP_2) | instskip(NEXT) | instid1(VALU_DEP_1)
	v_lshlrev_b32_e32 v5, 2, v5
	v_add_lshl_u32 v5, v5, v4, 2
	s_waitcnt lgkmcnt(0)
	v_add_f16_e32 v6, v6, v3
	s_delay_alu instid0(VALU_DEP_1) | instskip(NEXT) | instid1(VALU_DEP_1)
	v_and_b32_e32 v7, 0xffff, v6
	v_and_or_b32 v3, 0xffff0000, v3, v7
	ds_bpermute_b32 v3, v5, v3
	v_cndmask_b32_e64 v5, 0, 1, vcc_lo
	v_cmp_ne_u32_e32 vcc_lo, 31, v4
	s_delay_alu instid0(VALU_DEP_2) | instskip(NEXT) | instid1(VALU_DEP_1)
	v_lshlrev_b32_e32 v5, 1, v5
	v_add_lshl_u32 v5, v5, v4, 2
	v_add_co_ci_u32_e32 v4, vcc_lo, 0, v4, vcc_lo
	v_cmp_eq_u32_e32 vcc_lo, 0, v0
	s_delay_alu instid0(VALU_DEP_2) | instskip(SKIP_2) | instid1(VALU_DEP_1)
	v_lshlrev_b32_e32 v4, 2, v4
	s_waitcnt lgkmcnt(0)
	v_add_f16_e32 v6, v6, v3
	v_and_b32_e32 v7, 0xffff, v6
	s_delay_alu instid0(VALU_DEP_1) | instskip(SKIP_3) | instid1(VALU_DEP_1)
	v_and_or_b32 v3, 0xffff0000, v3, v7
	ds_bpermute_b32 v5, v5, v3
	s_waitcnt lgkmcnt(0)
	v_add_f16_e32 v3, v6, v5
	v_and_b32_e32 v6, 0xffff, v3
	s_delay_alu instid0(VALU_DEP_1)
	v_and_or_b32 v5, 0xffff0000, v5, v6
	ds_bpermute_b32 v4, v4, v5
	s_and_b32 exec_lo, exec_lo, vcc_lo
	s_cbranch_execz .LBB512_7
; %bb.6:
	v_lshlrev_b64 v[0:1], 1, v[1:2]
	s_waitcnt lgkmcnt(0)
	v_add_f16_e32 v2, v3, v4
	s_delay_alu instid0(VALU_DEP_2) | instskip(NEXT) | instid1(VALU_DEP_3)
	v_add_co_u32 v0, vcc_lo, s2, v0
	v_add_co_ci_u32_e32 v1, vcc_lo, s3, v1, vcc_lo
	global_store_b16 v[0:1], v2, off
.LBB512_7:
	s_nop 0
	s_sendmsg sendmsg(MSG_DEALLOC_VGPRS)
	s_endpgm
	.section	.rodata,"a",@progbits
	.p2align	6, 0x0
	.amdhsa_kernel _ZL28rocblas_dot_batched_4_kernelIiLi64ELi4ELb1EDF16_DF16_PKPKDF16_EviT5_lT_lS4_lS5_liPT4_
		.amdhsa_group_segment_fixed_size 0
		.amdhsa_private_segment_fixed_size 0
		.amdhsa_kernarg_size 88
		.amdhsa_user_sgpr_count 15
		.amdhsa_user_sgpr_dispatch_ptr 0
		.amdhsa_user_sgpr_queue_ptr 0
		.amdhsa_user_sgpr_kernarg_segment_ptr 1
		.amdhsa_user_sgpr_dispatch_id 0
		.amdhsa_user_sgpr_private_segment_size 0
		.amdhsa_wavefront_size32 1
		.amdhsa_uses_dynamic_stack 0
		.amdhsa_enable_private_segment 0
		.amdhsa_system_sgpr_workgroup_id_x 1
		.amdhsa_system_sgpr_workgroup_id_y 0
		.amdhsa_system_sgpr_workgroup_id_z 0
		.amdhsa_system_sgpr_workgroup_info 0
		.amdhsa_system_vgpr_workitem_id 1
		.amdhsa_next_free_vgpr 12
		.amdhsa_next_free_sgpr 16
		.amdhsa_reserve_vcc 1
		.amdhsa_float_round_mode_32 0
		.amdhsa_float_round_mode_16_64 0
		.amdhsa_float_denorm_mode_32 3
		.amdhsa_float_denorm_mode_16_64 3
		.amdhsa_dx10_clamp 1
		.amdhsa_ieee_mode 1
		.amdhsa_fp16_overflow 0
		.amdhsa_workgroup_processor_mode 1
		.amdhsa_memory_ordered 1
		.amdhsa_forward_progress 0
		.amdhsa_shared_vgpr_count 0
		.amdhsa_exception_fp_ieee_invalid_op 0
		.amdhsa_exception_fp_denorm_src 0
		.amdhsa_exception_fp_ieee_div_zero 0
		.amdhsa_exception_fp_ieee_overflow 0
		.amdhsa_exception_fp_ieee_underflow 0
		.amdhsa_exception_fp_ieee_inexact 0
		.amdhsa_exception_int_div_zero 0
	.end_amdhsa_kernel
	.section	.text._ZL28rocblas_dot_batched_4_kernelIiLi64ELi4ELb1EDF16_DF16_PKPKDF16_EviT5_lT_lS4_lS5_liPT4_,"axG",@progbits,_ZL28rocblas_dot_batched_4_kernelIiLi64ELi4ELb1EDF16_DF16_PKPKDF16_EviT5_lT_lS4_lS5_liPT4_,comdat
.Lfunc_end512:
	.size	_ZL28rocblas_dot_batched_4_kernelIiLi64ELi4ELb1EDF16_DF16_PKPKDF16_EviT5_lT_lS4_lS5_liPT4_, .Lfunc_end512-_ZL28rocblas_dot_batched_4_kernelIiLi64ELi4ELb1EDF16_DF16_PKPKDF16_EviT5_lT_lS4_lS5_liPT4_
                                        ; -- End function
	.section	.AMDGPU.csdata,"",@progbits
; Kernel info:
; codeLenInByte = 848
; NumSgprs: 18
; NumVgprs: 12
; ScratchSize: 0
; MemoryBound: 0
; FloatMode: 240
; IeeeMode: 1
; LDSByteSize: 0 bytes/workgroup (compile time only)
; SGPRBlocks: 2
; VGPRBlocks: 1
; NumSGPRsForWavesPerEU: 18
; NumVGPRsForWavesPerEU: 12
; Occupancy: 16
; WaveLimiterHint : 0
; COMPUTE_PGM_RSRC2:SCRATCH_EN: 0
; COMPUTE_PGM_RSRC2:USER_SGPR: 15
; COMPUTE_PGM_RSRC2:TRAP_HANDLER: 0
; COMPUTE_PGM_RSRC2:TGID_X_EN: 1
; COMPUTE_PGM_RSRC2:TGID_Y_EN: 0
; COMPUTE_PGM_RSRC2:TGID_Z_EN: 0
; COMPUTE_PGM_RSRC2:TIDIG_COMP_CNT: 1
	.section	.text._ZL26rocblas_dot_kernel_inc1by2ILb1ELi1024ELi32ELb1EDF16_PKPKDF16_DF16_EviT4_llS4_lliPT5_PT3_,"axG",@progbits,_ZL26rocblas_dot_kernel_inc1by2ILb1ELi1024ELi32ELb1EDF16_PKPKDF16_DF16_EviT4_llS4_lliPT5_PT3_,comdat
	.globl	_ZL26rocblas_dot_kernel_inc1by2ILb1ELi1024ELi32ELb1EDF16_PKPKDF16_DF16_EviT4_llS4_lliPT5_PT3_ ; -- Begin function _ZL26rocblas_dot_kernel_inc1by2ILb1ELi1024ELi32ELb1EDF16_PKPKDF16_DF16_EviT4_llS4_lliPT5_PT3_
	.p2align	8
	.type	_ZL26rocblas_dot_kernel_inc1by2ILb1ELi1024ELi32ELb1EDF16_PKPKDF16_DF16_EviT4_llS4_lliPT5_PT3_,@function
_ZL26rocblas_dot_kernel_inc1by2ILb1ELi1024ELi32ELb1EDF16_PKPKDF16_DF16_EviT4_llS4_lliPT5_PT3_: ; @_ZL26rocblas_dot_kernel_inc1by2ILb1ELi1024ELi32ELb1EDF16_PKPKDF16_DF16_EviT4_llS4_lliPT5_PT3_
; %bb.0:
	s_clause 0x1
	s_load_b128 s[8:11], s[0:1], 0x8
	s_load_b128 s[4:7], s[0:1], 0x20
	s_mov_b32 s2, s15
	s_mov_b32 s3, 0
	s_clause 0x1
	s_load_b32 s14, s[0:1], 0x0
	s_load_b64 s[12:13], s[0:1], 0x48
	s_lshl_b64 s[16:17], s[2:3], 3
	v_dual_mov_b32 v5, 0 :: v_dual_lshlrev_b32 v6, 1, v0
	s_waitcnt lgkmcnt(0)
	s_add_u32 s0, s8, s16
	s_addc_u32 s1, s9, s17
	s_add_u32 s4, s4, s16
	s_addc_u32 s5, s5, s17
	s_load_b64 s[8:9], s[0:1], 0x0
	s_load_b64 s[4:5], s[4:5], 0x0
	s_add_i32 s0, s14, -1
	s_mov_b32 s1, exec_lo
	v_cmpx_gt_i32_e64 s0, v6
	s_cbranch_execz .LBB513_4
; %bb.1:
	v_lshlrev_b32_e32 v3, 2, v0
	s_lshl_b64 s[16:17], s[6:7], 1
	v_mov_b32_e32 v5, 0
	s_waitcnt lgkmcnt(0)
	s_add_u32 s15, s4, s16
	s_addc_u32 s18, s5, s17
	s_lshl_b64 s[16:17], s[10:11], 1
	v_add_co_u32 v1, s15, s15, v3
	s_delay_alu instid0(VALU_DEP_1) | instskip(SKIP_3) | instid1(VALU_DEP_1)
	v_add_co_ci_u32_e64 v2, null, s18, 0, s15
	s_add_u32 s15, s8, s16
	s_addc_u32 s16, s9, s17
	v_add_co_u32 v3, s15, s15, v3
	v_add_co_ci_u32_e64 v4, null, s16, 0, s15
	s_mov_b32 s15, s3
	s_mov_b32 s16, s3
	.p2align	6
.LBB513_2:                              ; =>This Inner Loop Header: Depth=1
	global_load_b32 v7, v[1:2], off
	global_load_b32 v8, v[3:4], off
	v_add_co_u32 v1, vcc_lo, 0x1000, v1
	v_add_nc_u32_e32 v6, 0x800, v6
	v_add_co_ci_u32_e32 v2, vcc_lo, 0, v2, vcc_lo
	v_add_co_u32 v3, vcc_lo, 0x1000, v3
	v_add_co_ci_u32_e32 v4, vcc_lo, 0, v4, vcc_lo
	s_add_i32 s17, s16, 1
	v_cmp_le_i32_e32 vcc_lo, s0, v6
	s_cmp_gt_u32 s16, 30
	s_cselect_b32 s16, -1, 0
	s_delay_alu instid0(SALU_CYCLE_1) | instskip(NEXT) | instid1(SALU_CYCLE_1)
	s_or_b32 s16, s16, vcc_lo
	s_and_b32 s16, exec_lo, s16
	s_delay_alu instid0(SALU_CYCLE_1) | instskip(SKIP_3) | instid1(VALU_DEP_1)
	s_or_b32 s15, s16, s15
	s_mov_b32 s16, s17
	s_waitcnt vmcnt(0)
	v_pk_mul_f16 v7, v7, v8
	v_add_f16_e32 v5, v5, v7
	v_lshrrev_b32_e32 v7, 16, v7
	s_delay_alu instid0(VALU_DEP_1)
	v_add_f16_e32 v5, v5, v7
	s_and_not1_b32 exec_lo, exec_lo, s15
	s_cbranch_execnz .LBB513_2
; %bb.3:
	s_or_b32 exec_lo, exec_lo, s15
.LBB513_4:
	s_delay_alu instid0(SALU_CYCLE_1) | instskip(SKIP_3) | instid1(SALU_CYCLE_1)
	s_or_b32 exec_lo, exec_lo, s1
	v_cmp_eq_u32_e32 vcc_lo, s0, v6
	s_bitcmp1_b32 s14, 0
	s_cselect_b32 s1, -1, 0
	s_and_b32 s1, s1, vcc_lo
	s_delay_alu instid0(SALU_CYCLE_1)
	s_and_saveexec_b32 s14, s1
	s_cbranch_execz .LBB513_6
; %bb.5:
	s_lshl_b64 s[10:11], s[10:11], 1
	s_mov_b32 s1, 0
	s_waitcnt lgkmcnt(0)
	s_add_u32 s8, s8, s10
	s_addc_u32 s9, s9, s11
	s_lshl_b64 s[6:7], s[6:7], 1
	v_mov_b32_e32 v1, 0
	s_add_u32 s6, s4, s6
	s_addc_u32 s7, s5, s7
	s_lshl_b64 s[0:1], s[0:1], 1
	s_delay_alu instid0(SALU_CYCLE_1)
	s_add_u32 s4, s8, s0
	s_addc_u32 s5, s9, s1
	s_add_u32 s0, s6, s0
	s_addc_u32 s1, s7, s1
	s_clause 0x1
	global_load_u16 v2, v1, s[0:1]
	global_load_u16 v1, v1, s[4:5]
	s_waitcnt vmcnt(0)
	v_fmac_f16_e32 v5, v2, v1
.LBB513_6:
	s_or_b32 exec_lo, exec_lo, s14
	v_and_b32_e32 v6, 31, v0
	v_cmp_gt_u32_e32 vcc_lo, 32, v0
	s_delay_alu instid0(VALU_DEP_2)
	v_lshlrev_b32_e32 v1, 1, v6
	s_and_saveexec_b32 s0, vcc_lo
	s_cbranch_execz .LBB513_8
; %bb.7:
	v_mov_b32_e32 v2, 0
	ds_store_b16 v1, v2
.LBB513_8:
	s_or_b32 exec_lo, exec_lo, s0
	v_mbcnt_lo_u32_b32 v7, -1, 0
	v_and_b32_e32 v3, 0xffff, v5
	s_mov_b32 s1, exec_lo
	s_waitcnt lgkmcnt(0)
	s_barrier
	v_cmp_gt_u32_e64 s0, 16, v7
	buffer_gl0_inv
	v_cndmask_b32_e64 v2, 0, 1, s0
	v_cmp_gt_u32_e64 s0, 24, v7
	s_delay_alu instid0(VALU_DEP_2) | instskip(NEXT) | instid1(VALU_DEP_1)
	v_lshlrev_b32_e32 v2, 4, v2
	v_add_lshl_u32 v2, v2, v7, 2
	ds_bpermute_b32 v4, v2, v3
	v_cndmask_b32_e64 v3, 0, 1, s0
	v_cmp_gt_u32_e64 s0, 28, v7
	s_delay_alu instid0(VALU_DEP_2) | instskip(NEXT) | instid1(VALU_DEP_1)
	v_lshlrev_b32_e32 v3, 3, v3
	v_add_lshl_u32 v3, v3, v7, 2
	s_waitcnt lgkmcnt(0)
	v_add_f16_e32 v5, v5, v4
	s_delay_alu instid0(VALU_DEP_1) | instskip(NEXT) | instid1(VALU_DEP_1)
	v_and_b32_e32 v8, 0xffff, v5
	v_and_or_b32 v4, 0xffff0000, v4, v8
	ds_bpermute_b32 v8, v3, v4
	v_cndmask_b32_e64 v4, 0, 1, s0
	v_cmp_gt_u32_e64 s0, 30, v7
	s_delay_alu instid0(VALU_DEP_2) | instskip(NEXT) | instid1(VALU_DEP_1)
	v_lshlrev_b32_e32 v4, 2, v4
	v_add_lshl_u32 v4, v4, v7, 2
	s_waitcnt lgkmcnt(0)
	v_add_f16_e32 v5, v5, v8
	s_delay_alu instid0(VALU_DEP_1) | instskip(NEXT) | instid1(VALU_DEP_1)
	v_and_b32_e32 v9, 0xffff, v5
	v_and_or_b32 v8, 0xffff0000, v8, v9
	v_cndmask_b32_e64 v9, 0, 1, s0
	v_cmp_ne_u32_e64 s0, 31, v7
	ds_bpermute_b32 v8, v4, v8
	s_waitcnt lgkmcnt(0)
	v_add_f16_e32 v10, v5, v8
	v_lshlrev_b32_e32 v5, 1, v9
	s_delay_alu instid0(VALU_DEP_2) | instskip(NEXT) | instid1(VALU_DEP_2)
	v_and_b32_e32 v9, 0xffff, v10
	v_add_lshl_u32 v5, v5, v7, 2
	v_add_co_ci_u32_e64 v7, s0, 0, v7, s0
	s_delay_alu instid0(VALU_DEP_3) | instskip(NEXT) | instid1(VALU_DEP_2)
	v_and_or_b32 v8, 0xffff0000, v8, v9
	v_lshlrev_b32_e32 v7, 2, v7
	ds_bpermute_b32 v9, v5, v8
	s_waitcnt lgkmcnt(0)
	v_add_f16_e32 v8, v10, v9
	s_delay_alu instid0(VALU_DEP_1) | instskip(NEXT) | instid1(VALU_DEP_1)
	v_and_b32_e32 v10, 0xffff, v8
	v_and_or_b32 v9, 0xffff0000, v9, v10
	ds_bpermute_b32 v9, v7, v9
	v_cmpx_eq_u32_e32 0, v6
	s_cbranch_execz .LBB513_10
; %bb.9:
	v_lshrrev_b32_e32 v6, 4, v0
	s_waitcnt lgkmcnt(0)
	v_add_f16_e32 v8, v8, v9
	s_delay_alu instid0(VALU_DEP_2)
	v_and_b32_e32 v6, 62, v6
	ds_store_b16 v6, v8
.LBB513_10:
	s_or_b32 exec_lo, exec_lo, s1
	v_mov_b32_e32 v6, 0
	s_waitcnt lgkmcnt(0)
	s_barrier
	buffer_gl0_inv
	s_and_saveexec_b32 s0, vcc_lo
	s_cbranch_execz .LBB513_12
; %bb.11:
	ds_load_u16 v6, v1
.LBB513_12:
	s_or_b32 exec_lo, exec_lo, s0
	s_and_saveexec_b32 s0, vcc_lo
	s_cbranch_execz .LBB513_14
; %bb.13:
	s_waitcnt lgkmcnt(0)
	v_and_b32_e32 v1, 0xffff, v6
	ds_bpermute_b32 v1, v2, v1
	s_waitcnt lgkmcnt(0)
	v_add_f16_e32 v2, v6, v1
	s_delay_alu instid0(VALU_DEP_1) | instskip(NEXT) | instid1(VALU_DEP_1)
	v_and_b32_e32 v6, 0xffff, v2
	v_and_or_b32 v1, 0xffff0000, v1, v6
	ds_bpermute_b32 v1, v3, v1
	s_waitcnt lgkmcnt(0)
	v_add_f16_e32 v2, v2, v1
	s_delay_alu instid0(VALU_DEP_1) | instskip(NEXT) | instid1(VALU_DEP_1)
	v_and_b32_e32 v3, 0xffff, v2
	v_and_or_b32 v1, 0xffff0000, v1, v3
	;; [unrolled: 6-line block ×4, first 2 shown]
	ds_bpermute_b32 v1, v7, v1
	s_waitcnt lgkmcnt(0)
	v_add_f16_e32 v6, v2, v1
.LBB513_14:
	s_or_b32 exec_lo, exec_lo, s0
	s_delay_alu instid0(SALU_CYCLE_1)
	s_mov_b32 s0, exec_lo
	v_cmpx_eq_u32_e32 0, v0
	s_cbranch_execz .LBB513_16
; %bb.15:
	s_lshl_b64 s[0:1], s[2:3], 1
	v_mov_b32_e32 v0, 0
	s_add_u32 s0, s12, s0
	s_addc_u32 s1, s13, s1
	s_waitcnt lgkmcnt(0)
	global_store_b16 v0, v6, s[0:1]
.LBB513_16:
	s_nop 0
	s_sendmsg sendmsg(MSG_DEALLOC_VGPRS)
	s_endpgm
	.section	.rodata,"a",@progbits
	.p2align	6, 0x0
	.amdhsa_kernel _ZL26rocblas_dot_kernel_inc1by2ILb1ELi1024ELi32ELb1EDF16_PKPKDF16_DF16_EviT4_llS4_lliPT5_PT3_
		.amdhsa_group_segment_fixed_size 64
		.amdhsa_private_segment_fixed_size 0
		.amdhsa_kernarg_size 80
		.amdhsa_user_sgpr_count 14
		.amdhsa_user_sgpr_dispatch_ptr 0
		.amdhsa_user_sgpr_queue_ptr 0
		.amdhsa_user_sgpr_kernarg_segment_ptr 1
		.amdhsa_user_sgpr_dispatch_id 0
		.amdhsa_user_sgpr_private_segment_size 0
		.amdhsa_wavefront_size32 1
		.amdhsa_uses_dynamic_stack 0
		.amdhsa_enable_private_segment 0
		.amdhsa_system_sgpr_workgroup_id_x 1
		.amdhsa_system_sgpr_workgroup_id_y 0
		.amdhsa_system_sgpr_workgroup_id_z 1
		.amdhsa_system_sgpr_workgroup_info 0
		.amdhsa_system_vgpr_workitem_id 0
		.amdhsa_next_free_vgpr 11
		.amdhsa_next_free_sgpr 19
		.amdhsa_reserve_vcc 1
		.amdhsa_float_round_mode_32 0
		.amdhsa_float_round_mode_16_64 0
		.amdhsa_float_denorm_mode_32 3
		.amdhsa_float_denorm_mode_16_64 3
		.amdhsa_dx10_clamp 1
		.amdhsa_ieee_mode 1
		.amdhsa_fp16_overflow 0
		.amdhsa_workgroup_processor_mode 1
		.amdhsa_memory_ordered 1
		.amdhsa_forward_progress 0
		.amdhsa_shared_vgpr_count 0
		.amdhsa_exception_fp_ieee_invalid_op 0
		.amdhsa_exception_fp_denorm_src 0
		.amdhsa_exception_fp_ieee_div_zero 0
		.amdhsa_exception_fp_ieee_overflow 0
		.amdhsa_exception_fp_ieee_underflow 0
		.amdhsa_exception_fp_ieee_inexact 0
		.amdhsa_exception_int_div_zero 0
	.end_amdhsa_kernel
	.section	.text._ZL26rocblas_dot_kernel_inc1by2ILb1ELi1024ELi32ELb1EDF16_PKPKDF16_DF16_EviT4_llS4_lliPT5_PT3_,"axG",@progbits,_ZL26rocblas_dot_kernel_inc1by2ILb1ELi1024ELi32ELb1EDF16_PKPKDF16_DF16_EviT4_llS4_lliPT5_PT3_,comdat
.Lfunc_end513:
	.size	_ZL26rocblas_dot_kernel_inc1by2ILb1ELi1024ELi32ELb1EDF16_PKPKDF16_DF16_EviT4_llS4_lliPT5_PT3_, .Lfunc_end513-_ZL26rocblas_dot_kernel_inc1by2ILb1ELi1024ELi32ELb1EDF16_PKPKDF16_DF16_EviT4_llS4_lliPT5_PT3_
                                        ; -- End function
	.section	.AMDGPU.csdata,"",@progbits
; Kernel info:
; codeLenInByte = 1188
; NumSgprs: 21
; NumVgprs: 11
; ScratchSize: 0
; MemoryBound: 0
; FloatMode: 240
; IeeeMode: 1
; LDSByteSize: 64 bytes/workgroup (compile time only)
; SGPRBlocks: 2
; VGPRBlocks: 1
; NumSGPRsForWavesPerEU: 21
; NumVGPRsForWavesPerEU: 11
; Occupancy: 16
; WaveLimiterHint : 1
; COMPUTE_PGM_RSRC2:SCRATCH_EN: 0
; COMPUTE_PGM_RSRC2:USER_SGPR: 14
; COMPUTE_PGM_RSRC2:TRAP_HANDLER: 0
; COMPUTE_PGM_RSRC2:TGID_X_EN: 1
; COMPUTE_PGM_RSRC2:TGID_Y_EN: 0
; COMPUTE_PGM_RSRC2:TGID_Z_EN: 1
; COMPUTE_PGM_RSRC2:TIDIG_COMP_CNT: 0
	.section	.text._ZL18rocblas_dot_kernelIiLb1ELi1024ELi32ELb1EDF16_PKPKDF16_DF16_EviT5_lT_lS4_lS5_liPT6_PT4_,"axG",@progbits,_ZL18rocblas_dot_kernelIiLb1ELi1024ELi32ELb1EDF16_PKPKDF16_DF16_EviT5_lT_lS4_lS5_liPT6_PT4_,comdat
	.globl	_ZL18rocblas_dot_kernelIiLb1ELi1024ELi32ELb1EDF16_PKPKDF16_DF16_EviT5_lT_lS4_lS5_liPT6_PT4_ ; -- Begin function _ZL18rocblas_dot_kernelIiLb1ELi1024ELi32ELb1EDF16_PKPKDF16_DF16_EviT5_lT_lS4_lS5_liPT6_PT4_
	.p2align	8
	.type	_ZL18rocblas_dot_kernelIiLb1ELi1024ELi32ELb1EDF16_PKPKDF16_DF16_EviT5_lT_lS4_lS5_liPT6_PT4_,@function
_ZL18rocblas_dot_kernelIiLb1ELi1024ELi32ELb1EDF16_PKPKDF16_DF16_EviT5_lT_lS4_lS5_liPT6_PT4_: ; @_ZL18rocblas_dot_kernelIiLb1ELi1024ELi32ELb1EDF16_PKPKDF16_DF16_EviT5_lT_lS4_lS5_liPT6_PT4_
; %bb.0:
	s_clause 0x1
	s_load_b32 s10, s[0:1], 0x0
	s_load_b64 s[2:3], s[0:1], 0x58
	v_mov_b32_e32 v5, 0
	s_mov_b32 s8, s15
	s_mov_b32 s9, 0
	s_mov_b32 s11, exec_lo
	s_waitcnt lgkmcnt(0)
	v_cmpx_gt_i32_e64 s10, v0
	s_cbranch_execz .LBB514_4
; %bb.1:
	s_clause 0x4
	s_load_b128 s[12:15], s[0:1], 0x8
	s_load_b128 s[4:7], s[0:1], 0x28
	s_load_b32 s18, s[0:1], 0x18
	s_load_b32 s20, s[0:1], 0x38
	;; [unrolled: 1-line block ×3, first 2 shown]
	s_lshl_b64 s[0:1], s[8:9], 3
	v_mov_b32_e32 v5, 0
	s_waitcnt lgkmcnt(0)
	s_add_u32 s12, s12, s0
	s_addc_u32 s13, s13, s1
	s_add_u32 s0, s4, s0
	s_load_b64 s[12:13], s[12:13], 0x0
	s_addc_u32 s1, s5, s1
	v_mad_i64_i32 v[1:2], null, s18, v0, 0
	s_load_b64 s[16:17], s[0:1], 0x0
	v_mad_i64_i32 v[3:4], null, s20, v0, 0
	s_lshl_b32 s1, s19, 10
	s_lshl_b64 s[4:5], s[14:15], 1
	s_mul_hi_i32 s15, s18, s1
	s_delay_alu instid0(VALU_DEP_2) | instskip(SKIP_2) | instid1(VALU_DEP_3)
	v_lshlrev_b64 v[1:2], 1, v[1:2]
	s_mul_i32 s14, s18, s1
	v_or_b32_e32 v6, s1, v0
	v_lshlrev_b64 v[3:4], 1, v[3:4]
	s_mul_hi_i32 s19, s20, s1
	s_mul_i32 s18, s20, s1
	s_waitcnt lgkmcnt(0)
	s_add_u32 s0, s12, s4
	s_addc_u32 s12, s13, s5
	s_lshl_b64 s[6:7], s[6:7], 1
	s_lshl_b64 s[4:5], s[14:15], 1
	v_add_co_u32 v1, vcc_lo, s0, v1
	s_add_u32 s0, s16, s6
	v_add_co_ci_u32_e32 v2, vcc_lo, s12, v2, vcc_lo
	s_addc_u32 s6, s17, s7
	v_add_co_u32 v3, vcc_lo, s0, v3
	v_add_co_ci_u32_e32 v4, vcc_lo, s6, v4, vcc_lo
	s_lshl_b64 s[6:7], s[18:19], 1
	s_mov_b32 s12, s9
	s_mov_b32 s13, s9
	.p2align	6
.LBB514_2:                              ; =>This Inner Loop Header: Depth=1
	global_load_u16 v7, v[3:4], off
	global_load_u16 v8, v[1:2], off
	v_add_co_u32 v1, s0, v1, s4
	s_delay_alu instid0(VALU_DEP_1)
	v_add_co_ci_u32_e64 v2, s0, s5, v2, s0
	s_add_i32 s14, s13, 1
	v_cmp_le_i32_e32 vcc_lo, s10, v6
	v_add_co_u32 v3, s0, v3, s6
	s_cmp_gt_u32 s13, 30
	v_add_co_ci_u32_e64 v4, s0, s7, v4, s0
	s_cselect_b32 s0, -1, 0
	v_add_nc_u32_e32 v6, s1, v6
	s_or_b32 s0, s0, vcc_lo
	s_mov_b32 s13, s14
	s_and_b32 s0, exec_lo, s0
	s_delay_alu instid0(SALU_CYCLE_1)
	s_or_b32 s12, s0, s12
	s_waitcnt vmcnt(0)
	v_fmac_f16_e32 v5, v7, v8
	s_and_not1_b32 exec_lo, exec_lo, s12
	s_cbranch_execnz .LBB514_2
; %bb.3:
	s_or_b32 exec_lo, exec_lo, s12
.LBB514_4:
	s_delay_alu instid0(SALU_CYCLE_1) | instskip(SKIP_2) | instid1(VALU_DEP_2)
	s_or_b32 exec_lo, exec_lo, s11
	v_and_b32_e32 v6, 31, v0
	v_cmp_gt_u32_e32 vcc_lo, 32, v0
	v_lshlrev_b32_e32 v1, 1, v6
	s_and_saveexec_b32 s0, vcc_lo
	s_cbranch_execz .LBB514_6
; %bb.5:
	v_mov_b32_e32 v2, 0
	ds_store_b16 v1, v2
.LBB514_6:
	s_or_b32 exec_lo, exec_lo, s0
	v_mbcnt_lo_u32_b32 v7, -1, 0
	v_and_b32_e32 v3, 0xffff, v5
	s_mov_b32 s1, exec_lo
	s_waitcnt lgkmcnt(0)
	s_barrier
	v_cmp_gt_u32_e64 s0, 16, v7
	buffer_gl0_inv
	v_cndmask_b32_e64 v2, 0, 1, s0
	v_cmp_gt_u32_e64 s0, 24, v7
	s_delay_alu instid0(VALU_DEP_2) | instskip(NEXT) | instid1(VALU_DEP_1)
	v_lshlrev_b32_e32 v2, 4, v2
	v_add_lshl_u32 v2, v2, v7, 2
	ds_bpermute_b32 v4, v2, v3
	v_cndmask_b32_e64 v3, 0, 1, s0
	v_cmp_gt_u32_e64 s0, 28, v7
	s_delay_alu instid0(VALU_DEP_2) | instskip(NEXT) | instid1(VALU_DEP_1)
	v_lshlrev_b32_e32 v3, 3, v3
	v_add_lshl_u32 v3, v3, v7, 2
	s_waitcnt lgkmcnt(0)
	v_add_f16_e32 v5, v5, v4
	s_delay_alu instid0(VALU_DEP_1) | instskip(NEXT) | instid1(VALU_DEP_1)
	v_and_b32_e32 v8, 0xffff, v5
	v_and_or_b32 v4, 0xffff0000, v4, v8
	ds_bpermute_b32 v8, v3, v4
	v_cndmask_b32_e64 v4, 0, 1, s0
	v_cmp_gt_u32_e64 s0, 30, v7
	s_delay_alu instid0(VALU_DEP_2) | instskip(NEXT) | instid1(VALU_DEP_1)
	v_lshlrev_b32_e32 v4, 2, v4
	v_add_lshl_u32 v4, v4, v7, 2
	s_waitcnt lgkmcnt(0)
	v_add_f16_e32 v5, v5, v8
	s_delay_alu instid0(VALU_DEP_1) | instskip(NEXT) | instid1(VALU_DEP_1)
	v_and_b32_e32 v9, 0xffff, v5
	v_and_or_b32 v8, 0xffff0000, v8, v9
	v_cndmask_b32_e64 v9, 0, 1, s0
	v_cmp_ne_u32_e64 s0, 31, v7
	ds_bpermute_b32 v8, v4, v8
	s_waitcnt lgkmcnt(0)
	v_add_f16_e32 v10, v5, v8
	v_lshlrev_b32_e32 v5, 1, v9
	s_delay_alu instid0(VALU_DEP_2) | instskip(NEXT) | instid1(VALU_DEP_2)
	v_and_b32_e32 v9, 0xffff, v10
	v_add_lshl_u32 v5, v5, v7, 2
	v_add_co_ci_u32_e64 v7, s0, 0, v7, s0
	s_delay_alu instid0(VALU_DEP_3) | instskip(NEXT) | instid1(VALU_DEP_2)
	v_and_or_b32 v8, 0xffff0000, v8, v9
	v_lshlrev_b32_e32 v7, 2, v7
	ds_bpermute_b32 v9, v5, v8
	s_waitcnt lgkmcnt(0)
	v_add_f16_e32 v8, v10, v9
	s_delay_alu instid0(VALU_DEP_1) | instskip(NEXT) | instid1(VALU_DEP_1)
	v_and_b32_e32 v10, 0xffff, v8
	v_and_or_b32 v9, 0xffff0000, v9, v10
	ds_bpermute_b32 v9, v7, v9
	v_cmpx_eq_u32_e32 0, v6
	s_cbranch_execz .LBB514_8
; %bb.7:
	v_lshrrev_b32_e32 v6, 4, v0
	s_waitcnt lgkmcnt(0)
	v_add_f16_e32 v8, v8, v9
	s_delay_alu instid0(VALU_DEP_2)
	v_and_b32_e32 v6, 62, v6
	ds_store_b16 v6, v8
.LBB514_8:
	s_or_b32 exec_lo, exec_lo, s1
	v_mov_b32_e32 v6, 0
	s_waitcnt lgkmcnt(0)
	s_barrier
	buffer_gl0_inv
	s_and_saveexec_b32 s0, vcc_lo
	s_cbranch_execz .LBB514_10
; %bb.9:
	ds_load_u16 v6, v1
.LBB514_10:
	s_or_b32 exec_lo, exec_lo, s0
	s_and_saveexec_b32 s0, vcc_lo
	s_cbranch_execz .LBB514_12
; %bb.11:
	s_waitcnt lgkmcnt(0)
	v_and_b32_e32 v1, 0xffff, v6
	ds_bpermute_b32 v1, v2, v1
	s_waitcnt lgkmcnt(0)
	v_add_f16_e32 v2, v6, v1
	s_delay_alu instid0(VALU_DEP_1) | instskip(NEXT) | instid1(VALU_DEP_1)
	v_and_b32_e32 v6, 0xffff, v2
	v_and_or_b32 v1, 0xffff0000, v1, v6
	ds_bpermute_b32 v1, v3, v1
	s_waitcnt lgkmcnt(0)
	v_add_f16_e32 v2, v2, v1
	s_delay_alu instid0(VALU_DEP_1) | instskip(NEXT) | instid1(VALU_DEP_1)
	v_and_b32_e32 v3, 0xffff, v2
	v_and_or_b32 v1, 0xffff0000, v1, v3
	;; [unrolled: 6-line block ×4, first 2 shown]
	ds_bpermute_b32 v1, v7, v1
	s_waitcnt lgkmcnt(0)
	v_add_f16_e32 v6, v2, v1
.LBB514_12:
	s_or_b32 exec_lo, exec_lo, s0
	s_delay_alu instid0(SALU_CYCLE_1)
	s_mov_b32 s0, exec_lo
	v_cmpx_eq_u32_e32 0, v0
	s_cbranch_execz .LBB514_14
; %bb.13:
	s_lshl_b64 s[0:1], s[8:9], 1
	v_mov_b32_e32 v0, 0
	s_add_u32 s0, s2, s0
	s_addc_u32 s1, s3, s1
	s_waitcnt lgkmcnt(0)
	global_store_b16 v0, v6, s[0:1]
.LBB514_14:
	s_nop 0
	s_sendmsg sendmsg(MSG_DEALLOC_VGPRS)
	s_endpgm
	.section	.rodata,"a",@progbits
	.p2align	6, 0x0
	.amdhsa_kernel _ZL18rocblas_dot_kernelIiLb1ELi1024ELi32ELb1EDF16_PKPKDF16_DF16_EviT5_lT_lS4_lS5_liPT6_PT4_
		.amdhsa_group_segment_fixed_size 64
		.amdhsa_private_segment_fixed_size 0
		.amdhsa_kernarg_size 352
		.amdhsa_user_sgpr_count 14
		.amdhsa_user_sgpr_dispatch_ptr 0
		.amdhsa_user_sgpr_queue_ptr 0
		.amdhsa_user_sgpr_kernarg_segment_ptr 1
		.amdhsa_user_sgpr_dispatch_id 0
		.amdhsa_user_sgpr_private_segment_size 0
		.amdhsa_wavefront_size32 1
		.amdhsa_uses_dynamic_stack 0
		.amdhsa_enable_private_segment 0
		.amdhsa_system_sgpr_workgroup_id_x 1
		.amdhsa_system_sgpr_workgroup_id_y 0
		.amdhsa_system_sgpr_workgroup_id_z 1
		.amdhsa_system_sgpr_workgroup_info 0
		.amdhsa_system_vgpr_workitem_id 0
		.amdhsa_next_free_vgpr 11
		.amdhsa_next_free_sgpr 21
		.amdhsa_reserve_vcc 1
		.amdhsa_float_round_mode_32 0
		.amdhsa_float_round_mode_16_64 0
		.amdhsa_float_denorm_mode_32 3
		.amdhsa_float_denorm_mode_16_64 3
		.amdhsa_dx10_clamp 1
		.amdhsa_ieee_mode 1
		.amdhsa_fp16_overflow 0
		.amdhsa_workgroup_processor_mode 1
		.amdhsa_memory_ordered 1
		.amdhsa_forward_progress 0
		.amdhsa_shared_vgpr_count 0
		.amdhsa_exception_fp_ieee_invalid_op 0
		.amdhsa_exception_fp_denorm_src 0
		.amdhsa_exception_fp_ieee_div_zero 0
		.amdhsa_exception_fp_ieee_overflow 0
		.amdhsa_exception_fp_ieee_underflow 0
		.amdhsa_exception_fp_ieee_inexact 0
		.amdhsa_exception_int_div_zero 0
	.end_amdhsa_kernel
	.section	.text._ZL18rocblas_dot_kernelIiLb1ELi1024ELi32ELb1EDF16_PKPKDF16_DF16_EviT5_lT_lS4_lS5_liPT6_PT4_,"axG",@progbits,_ZL18rocblas_dot_kernelIiLb1ELi1024ELi32ELb1EDF16_PKPKDF16_DF16_EviT5_lT_lS4_lS5_liPT6_PT4_,comdat
.Lfunc_end514:
	.size	_ZL18rocblas_dot_kernelIiLb1ELi1024ELi32ELb1EDF16_PKPKDF16_DF16_EviT5_lT_lS4_lS5_liPT6_PT4_, .Lfunc_end514-_ZL18rocblas_dot_kernelIiLb1ELi1024ELi32ELb1EDF16_PKPKDF16_DF16_EviT5_lT_lS4_lS5_liPT6_PT4_
                                        ; -- End function
	.section	.AMDGPU.csdata,"",@progbits
; Kernel info:
; codeLenInByte = 1112
; NumSgprs: 23
; NumVgprs: 11
; ScratchSize: 0
; MemoryBound: 0
; FloatMode: 240
; IeeeMode: 1
; LDSByteSize: 64 bytes/workgroup (compile time only)
; SGPRBlocks: 2
; VGPRBlocks: 1
; NumSGPRsForWavesPerEU: 23
; NumVGPRsForWavesPerEU: 11
; Occupancy: 16
; WaveLimiterHint : 0
; COMPUTE_PGM_RSRC2:SCRATCH_EN: 0
; COMPUTE_PGM_RSRC2:USER_SGPR: 14
; COMPUTE_PGM_RSRC2:TRAP_HANDLER: 0
; COMPUTE_PGM_RSRC2:TGID_X_EN: 1
; COMPUTE_PGM_RSRC2:TGID_Y_EN: 0
; COMPUTE_PGM_RSRC2:TGID_Z_EN: 1
; COMPUTE_PGM_RSRC2:TIDIG_COMP_CNT: 0
	.section	.text._ZL24rocblas_dot_kernel_magsqIiLb1ELi1024ELi32ELb1EDF16_PKPKDF16_DF16_EviT5_lT_liPT6_PT4_,"axG",@progbits,_ZL24rocblas_dot_kernel_magsqIiLb1ELi1024ELi32ELb1EDF16_PKPKDF16_DF16_EviT5_lT_liPT6_PT4_,comdat
	.globl	_ZL24rocblas_dot_kernel_magsqIiLb1ELi1024ELi32ELb1EDF16_PKPKDF16_DF16_EviT5_lT_liPT6_PT4_ ; -- Begin function _ZL24rocblas_dot_kernel_magsqIiLb1ELi1024ELi32ELb1EDF16_PKPKDF16_DF16_EviT5_lT_liPT6_PT4_
	.p2align	8
	.type	_ZL24rocblas_dot_kernel_magsqIiLb1ELi1024ELi32ELb1EDF16_PKPKDF16_DF16_EviT5_lT_liPT6_PT4_,@function
_ZL24rocblas_dot_kernel_magsqIiLb1ELi1024ELi32ELb1EDF16_PKPKDF16_DF16_EviT5_lT_liPT6_PT4_: ; @_ZL24rocblas_dot_kernel_magsqIiLb1ELi1024ELi32ELb1EDF16_PKPKDF16_DF16_EviT5_lT_liPT6_PT4_
; %bb.0:
	s_clause 0x1
	s_load_b32 s8, s[0:1], 0x0
	s_load_b64 s[2:3], s[0:1], 0x38
	v_mov_b32_e32 v3, 0
	s_mov_b32 s4, s15
	s_mov_b32 s5, 0
	s_mov_b32 s9, exec_lo
	s_waitcnt lgkmcnt(0)
	v_cmpx_gt_i32_e64 s8, v0
	s_cbranch_execz .LBB515_4
; %bb.1:
	s_clause 0x2
	s_load_b128 s[12:15], s[0:1], 0x8
	s_load_b32 s16, s[0:1], 0x18
	s_load_b32 s10, s[0:1], 0x40
	s_lshl_b64 s[0:1], s[4:5], 3
	v_mov_b32_e32 v3, 0
	s_waitcnt lgkmcnt(0)
	s_add_u32 s0, s12, s0
	s_addc_u32 s1, s13, s1
	v_mad_i64_i32 v[1:2], null, s16, v0, 0
	s_load_b64 s[6:7], s[0:1], 0x0
	s_lshl_b32 s1, s10, 10
	s_lshl_b64 s[10:11], s[14:15], 1
	v_or_b32_e32 v4, s1, v0
	s_mul_hi_i32 s13, s16, s1
	s_mul_i32 s12, s16, s1
	s_delay_alu instid0(VALU_DEP_2) | instskip(SKIP_3) | instid1(VALU_DEP_1)
	v_lshlrev_b64 v[1:2], 1, v[1:2]
	s_waitcnt lgkmcnt(0)
	s_add_u32 s0, s6, s10
	s_addc_u32 s6, s7, s11
	v_add_co_u32 v1, vcc_lo, s0, v1
	s_delay_alu instid0(VALU_DEP_2)
	v_add_co_ci_u32_e32 v2, vcc_lo, s6, v2, vcc_lo
	s_lshl_b64 s[6:7], s[12:13], 1
	s_mov_b32 s10, s5
	s_mov_b32 s11, s5
	.p2align	6
.LBB515_2:                              ; =>This Inner Loop Header: Depth=1
	global_load_u16 v5, v[1:2], off
	s_add_i32 s12, s11, 1
	v_cmp_le_i32_e32 vcc_lo, s8, v4
	v_add_co_u32 v1, s0, v1, s6
	s_cmp_gt_u32 s11, 30
	v_add_co_ci_u32_e64 v2, s0, s7, v2, s0
	s_cselect_b32 s0, -1, 0
	v_add_nc_u32_e32 v4, s1, v4
	s_or_b32 s0, s0, vcc_lo
	s_mov_b32 s11, s12
	s_and_b32 s0, exec_lo, s0
	s_delay_alu instid0(SALU_CYCLE_1)
	s_or_b32 s10, s0, s10
	s_waitcnt vmcnt(0)
	v_fmac_f16_e32 v3, v5, v5
	s_and_not1_b32 exec_lo, exec_lo, s10
	s_cbranch_execnz .LBB515_2
; %bb.3:
	s_or_b32 exec_lo, exec_lo, s10
.LBB515_4:
	s_delay_alu instid0(SALU_CYCLE_1) | instskip(SKIP_2) | instid1(VALU_DEP_2)
	s_or_b32 exec_lo, exec_lo, s9
	v_and_b32_e32 v5, 31, v0
	v_cmp_gt_u32_e32 vcc_lo, 32, v0
	v_lshlrev_b32_e32 v1, 1, v5
	s_and_saveexec_b32 s0, vcc_lo
	s_cbranch_execz .LBB515_6
; %bb.5:
	v_mov_b32_e32 v2, 0
	ds_store_b16 v1, v2
.LBB515_6:
	s_or_b32 exec_lo, exec_lo, s0
	v_mbcnt_lo_u32_b32 v7, -1, 0
	v_and_b32_e32 v4, 0xffff, v3
	s_mov_b32 s1, exec_lo
	s_waitcnt lgkmcnt(0)
	s_barrier
	v_cmp_gt_u32_e64 s0, 16, v7
	buffer_gl0_inv
	v_cndmask_b32_e64 v2, 0, 1, s0
	v_cmp_gt_u32_e64 s0, 24, v7
	s_delay_alu instid0(VALU_DEP_2) | instskip(NEXT) | instid1(VALU_DEP_2)
	v_lshlrev_b32_e32 v2, 4, v2
	v_cndmask_b32_e64 v6, 0, 1, s0
	v_cmp_gt_u32_e64 s0, 28, v7
	s_delay_alu instid0(VALU_DEP_3) | instskip(SKIP_4) | instid1(VALU_DEP_2)
	v_add_lshl_u32 v2, v2, v7, 2
	ds_bpermute_b32 v4, v2, v4
	s_waitcnt lgkmcnt(0)
	v_add_f16_e32 v8, v3, v4
	v_lshlrev_b32_e32 v3, 3, v6
	v_and_b32_e32 v6, 0xffff, v8
	s_delay_alu instid0(VALU_DEP_2) | instskip(NEXT) | instid1(VALU_DEP_2)
	v_add_lshl_u32 v3, v3, v7, 2
	v_and_or_b32 v4, 0xffff0000, v4, v6
	ds_bpermute_b32 v6, v3, v4
	v_cndmask_b32_e64 v4, 0, 1, s0
	v_cmp_gt_u32_e64 s0, 30, v7
	s_delay_alu instid0(VALU_DEP_2) | instskip(NEXT) | instid1(VALU_DEP_1)
	v_lshlrev_b32_e32 v4, 2, v4
	v_add_lshl_u32 v4, v4, v7, 2
	s_waitcnt lgkmcnt(0)
	v_add_f16_e32 v8, v8, v6
	s_delay_alu instid0(VALU_DEP_1) | instskip(NEXT) | instid1(VALU_DEP_1)
	v_and_b32_e32 v9, 0xffff, v8
	v_and_or_b32 v6, 0xffff0000, v6, v9
	ds_bpermute_b32 v9, v4, v6
	v_cndmask_b32_e64 v6, 0, 1, s0
	v_cmp_ne_u32_e64 s0, 31, v7
	s_delay_alu instid0(VALU_DEP_2) | instskip(NEXT) | instid1(VALU_DEP_1)
	v_lshlrev_b32_e32 v6, 1, v6
	v_add_lshl_u32 v6, v6, v7, 2
	s_delay_alu instid0(VALU_DEP_3) | instskip(NEXT) | instid1(VALU_DEP_1)
	v_add_co_ci_u32_e64 v7, s0, 0, v7, s0
	v_lshlrev_b32_e32 v7, 2, v7
	s_waitcnt lgkmcnt(0)
	v_add_f16_e32 v8, v8, v9
	s_delay_alu instid0(VALU_DEP_1) | instskip(NEXT) | instid1(VALU_DEP_1)
	v_and_b32_e32 v10, 0xffff, v8
	v_and_or_b32 v9, 0xffff0000, v9, v10
	ds_bpermute_b32 v9, v6, v9
	s_waitcnt lgkmcnt(0)
	v_add_f16_e32 v8, v8, v9
	s_delay_alu instid0(VALU_DEP_1) | instskip(NEXT) | instid1(VALU_DEP_1)
	v_and_b32_e32 v10, 0xffff, v8
	v_and_or_b32 v9, 0xffff0000, v9, v10
	ds_bpermute_b32 v9, v7, v9
	v_cmpx_eq_u32_e32 0, v5
	s_cbranch_execz .LBB515_8
; %bb.7:
	v_lshrrev_b32_e32 v5, 4, v0
	s_waitcnt lgkmcnt(0)
	v_add_f16_e32 v8, v8, v9
	s_delay_alu instid0(VALU_DEP_2)
	v_and_b32_e32 v5, 62, v5
	ds_store_b16 v5, v8
.LBB515_8:
	s_or_b32 exec_lo, exec_lo, s1
	v_mov_b32_e32 v5, 0
	s_waitcnt lgkmcnt(0)
	s_barrier
	buffer_gl0_inv
	s_and_saveexec_b32 s0, vcc_lo
	s_cbranch_execz .LBB515_10
; %bb.9:
	ds_load_u16 v5, v1
.LBB515_10:
	s_or_b32 exec_lo, exec_lo, s0
	s_and_saveexec_b32 s0, vcc_lo
	s_cbranch_execz .LBB515_12
; %bb.11:
	s_waitcnt lgkmcnt(0)
	v_and_b32_e32 v1, 0xffff, v5
	ds_bpermute_b32 v1, v2, v1
	s_waitcnt lgkmcnt(0)
	v_add_f16_e32 v2, v5, v1
	s_delay_alu instid0(VALU_DEP_1) | instskip(NEXT) | instid1(VALU_DEP_1)
	v_and_b32_e32 v5, 0xffff, v2
	v_and_or_b32 v1, 0xffff0000, v1, v5
	ds_bpermute_b32 v1, v3, v1
	s_waitcnt lgkmcnt(0)
	v_add_f16_e32 v2, v2, v1
	s_delay_alu instid0(VALU_DEP_1) | instskip(NEXT) | instid1(VALU_DEP_1)
	v_and_b32_e32 v3, 0xffff, v2
	v_and_or_b32 v1, 0xffff0000, v1, v3
	;; [unrolled: 6-line block ×4, first 2 shown]
	ds_bpermute_b32 v1, v7, v1
	s_waitcnt lgkmcnt(0)
	v_add_f16_e32 v5, v2, v1
.LBB515_12:
	s_or_b32 exec_lo, exec_lo, s0
	s_delay_alu instid0(SALU_CYCLE_1)
	s_mov_b32 s0, exec_lo
	v_cmpx_eq_u32_e32 0, v0
	s_cbranch_execz .LBB515_14
; %bb.13:
	s_lshl_b64 s[0:1], s[4:5], 1
	v_mov_b32_e32 v0, 0
	s_add_u32 s0, s2, s0
	s_addc_u32 s1, s3, s1
	s_waitcnt lgkmcnt(0)
	global_store_b16 v0, v5, s[0:1]
.LBB515_14:
	s_nop 0
	s_sendmsg sendmsg(MSG_DEALLOC_VGPRS)
	s_endpgm
	.section	.rodata,"a",@progbits
	.p2align	6, 0x0
	.amdhsa_kernel _ZL24rocblas_dot_kernel_magsqIiLb1ELi1024ELi32ELb1EDF16_PKPKDF16_DF16_EviT5_lT_liPT6_PT4_
		.amdhsa_group_segment_fixed_size 64
		.amdhsa_private_segment_fixed_size 0
		.amdhsa_kernarg_size 320
		.amdhsa_user_sgpr_count 14
		.amdhsa_user_sgpr_dispatch_ptr 0
		.amdhsa_user_sgpr_queue_ptr 0
		.amdhsa_user_sgpr_kernarg_segment_ptr 1
		.amdhsa_user_sgpr_dispatch_id 0
		.amdhsa_user_sgpr_private_segment_size 0
		.amdhsa_wavefront_size32 1
		.amdhsa_uses_dynamic_stack 0
		.amdhsa_enable_private_segment 0
		.amdhsa_system_sgpr_workgroup_id_x 1
		.amdhsa_system_sgpr_workgroup_id_y 0
		.amdhsa_system_sgpr_workgroup_id_z 1
		.amdhsa_system_sgpr_workgroup_info 0
		.amdhsa_system_vgpr_workitem_id 0
		.amdhsa_next_free_vgpr 11
		.amdhsa_next_free_sgpr 17
		.amdhsa_reserve_vcc 1
		.amdhsa_float_round_mode_32 0
		.amdhsa_float_round_mode_16_64 0
		.amdhsa_float_denorm_mode_32 3
		.amdhsa_float_denorm_mode_16_64 3
		.amdhsa_dx10_clamp 1
		.amdhsa_ieee_mode 1
		.amdhsa_fp16_overflow 0
		.amdhsa_workgroup_processor_mode 1
		.amdhsa_memory_ordered 1
		.amdhsa_forward_progress 0
		.amdhsa_shared_vgpr_count 0
		.amdhsa_exception_fp_ieee_invalid_op 0
		.amdhsa_exception_fp_denorm_src 0
		.amdhsa_exception_fp_ieee_div_zero 0
		.amdhsa_exception_fp_ieee_overflow 0
		.amdhsa_exception_fp_ieee_underflow 0
		.amdhsa_exception_fp_ieee_inexact 0
		.amdhsa_exception_int_div_zero 0
	.end_amdhsa_kernel
	.section	.text._ZL24rocblas_dot_kernel_magsqIiLb1ELi1024ELi32ELb1EDF16_PKPKDF16_DF16_EviT5_lT_liPT6_PT4_,"axG",@progbits,_ZL24rocblas_dot_kernel_magsqIiLb1ELi1024ELi32ELb1EDF16_PKPKDF16_DF16_EviT5_lT_liPT6_PT4_,comdat
.Lfunc_end515:
	.size	_ZL24rocblas_dot_kernel_magsqIiLb1ELi1024ELi32ELb1EDF16_PKPKDF16_DF16_EviT5_lT_liPT6_PT4_, .Lfunc_end515-_ZL24rocblas_dot_kernel_magsqIiLb1ELi1024ELi32ELb1EDF16_PKPKDF16_DF16_EviT5_lT_liPT6_PT4_
                                        ; -- End function
	.section	.AMDGPU.csdata,"",@progbits
; Kernel info:
; codeLenInByte = 1008
; NumSgprs: 19
; NumVgprs: 11
; ScratchSize: 0
; MemoryBound: 0
; FloatMode: 240
; IeeeMode: 1
; LDSByteSize: 64 bytes/workgroup (compile time only)
; SGPRBlocks: 2
; VGPRBlocks: 1
; NumSGPRsForWavesPerEU: 19
; NumVGPRsForWavesPerEU: 11
; Occupancy: 16
; WaveLimiterHint : 0
; COMPUTE_PGM_RSRC2:SCRATCH_EN: 0
; COMPUTE_PGM_RSRC2:USER_SGPR: 14
; COMPUTE_PGM_RSRC2:TRAP_HANDLER: 0
; COMPUTE_PGM_RSRC2:TGID_X_EN: 1
; COMPUTE_PGM_RSRC2:TGID_Y_EN: 0
; COMPUTE_PGM_RSRC2:TGID_Z_EN: 1
; COMPUTE_PGM_RSRC2:TIDIG_COMP_CNT: 0
	.section	.text._ZL23rocblas_dot_kernel_inc1ILb0ELi512ELi8ELb1EDF16_PKPKDF16_DF16_EviT4_llS4_lliPT5_PT3_,"axG",@progbits,_ZL23rocblas_dot_kernel_inc1ILb0ELi512ELi8ELb1EDF16_PKPKDF16_DF16_EviT4_llS4_lliPT5_PT3_,comdat
	.globl	_ZL23rocblas_dot_kernel_inc1ILb0ELi512ELi8ELb1EDF16_PKPKDF16_DF16_EviT4_llS4_lliPT5_PT3_ ; -- Begin function _ZL23rocblas_dot_kernel_inc1ILb0ELi512ELi8ELb1EDF16_PKPKDF16_DF16_EviT4_llS4_lliPT5_PT3_
	.p2align	8
	.type	_ZL23rocblas_dot_kernel_inc1ILb0ELi512ELi8ELb1EDF16_PKPKDF16_DF16_EviT4_llS4_lliPT5_PT3_,@function
_ZL23rocblas_dot_kernel_inc1ILb0ELi512ELi8ELb1EDF16_PKPKDF16_DF16_EviT4_llS4_lliPT5_PT3_: ; @_ZL23rocblas_dot_kernel_inc1ILb0ELi512ELi8ELb1EDF16_PKPKDF16_DF16_EviT4_llS4_lliPT5_PT3_
; %bb.0:
	s_clause 0x2
	s_load_b32 s12, s[0:1], 0x50
	s_load_b32 s13, s[0:1], 0x0
	s_load_b128 s[4:7], s[0:1], 0x40
	v_lshl_or_b32 v3, s14, 9, v0
	v_mov_b32_e32 v5, 0
	s_mov_b32 s2, s15
	s_mov_b32 s3, 0
	s_mov_b32 s15, exec_lo
	s_waitcnt lgkmcnt(0)
	v_cmpx_gt_i32_e64 s13, v3
	s_cbranch_execz .LBB516_4
; %bb.1:
	s_clause 0x1
	s_load_b128 s[8:11], s[0:1], 0x8
	s_load_b128 s[20:23], s[0:1], 0x20
	s_lshl_b64 s[18:19], s[2:3], 3
	v_ashrrev_i32_e32 v4, 31, v3
	v_mov_b32_e32 v5, 0
	s_delay_alu instid0(VALU_DEP_2)
	v_lshlrev_b64 v[1:2], 1, v[3:4]
	s_waitcnt lgkmcnt(0)
	s_add_u32 s0, s8, s18
	s_addc_u32 s1, s9, s19
	s_lshl_b64 s[10:11], s[10:11], 1
	s_load_b64 s[8:9], s[0:1], 0x0
	s_waitcnt lgkmcnt(0)
	s_add_u32 s1, s8, s10
	s_addc_u32 s16, s9, s11
	s_add_u32 s8, s20, s18
	s_addc_u32 s9, s21, s19
	s_lshl_b64 s[10:11], s[22:23], 1
	s_load_b64 s[8:9], s[8:9], 0x0
	s_mov_b32 s19, s3
	s_waitcnt lgkmcnt(0)
	s_add_u32 s17, s8, s10
	s_addc_u32 s18, s9, s11
	s_lshl_b32 s8, s12, 9
	s_delay_alu instid0(SALU_CYCLE_1) | instskip(SKIP_1) | instid1(SALU_CYCLE_1)
	v_add_nc_u32_e32 v3, s8, v3
	s_ashr_i32 s9, s8, 31
	s_lshl_b64 s[10:11], s[8:9], 1
	s_mov_b32 s9, s3
	.p2align	6
.LBB516_2:                              ; =>This Inner Loop Header: Depth=1
	v_add_co_u32 v6, vcc_lo, s17, v1
	v_add_co_ci_u32_e32 v7, vcc_lo, s18, v2, vcc_lo
	v_add_co_u32 v8, vcc_lo, s1, v1
	v_add_co_ci_u32_e32 v9, vcc_lo, s16, v2, vcc_lo
	s_add_i32 s20, s19, 1
	global_load_u16 v4, v[6:7], off
	global_load_u16 v6, v[8:9], off
	v_cmp_le_i32_e32 vcc_lo, s13, v3
	v_add_co_u32 v1, s0, v1, s10
	s_cmp_gt_u32 s19, 6
	v_add_co_ci_u32_e64 v2, s0, s11, v2, s0
	s_cselect_b32 s0, -1, 0
	v_add_nc_u32_e32 v3, s8, v3
	s_or_b32 s0, s0, vcc_lo
	s_mov_b32 s19, s20
	s_and_b32 s0, exec_lo, s0
	s_delay_alu instid0(SALU_CYCLE_1)
	s_or_b32 s9, s0, s9
	s_waitcnt vmcnt(0)
	v_fmac_f16_e32 v5, v4, v6
	s_and_not1_b32 exec_lo, exec_lo, s9
	s_cbranch_execnz .LBB516_2
; %bb.3:
	s_or_b32 exec_lo, exec_lo, s9
.LBB516_4:
	s_delay_alu instid0(SALU_CYCLE_1) | instskip(SKIP_2) | instid1(VALU_DEP_2)
	s_or_b32 exec_lo, exec_lo, s15
	v_and_b32_e32 v2, 31, v0
	v_cmp_gt_u32_e32 vcc_lo, 32, v0
	v_lshlrev_b32_e32 v1, 1, v2
	s_and_saveexec_b32 s0, vcc_lo
	s_cbranch_execz .LBB516_6
; %bb.5:
	v_mov_b32_e32 v3, 0
	ds_store_b16 v1, v3
.LBB516_6:
	s_or_b32 exec_lo, exec_lo, s0
	v_mbcnt_lo_u32_b32 v6, -1, 0
	v_and_b32_e32 v4, 0xffff, v5
	s_mov_b32 s1, exec_lo
	s_waitcnt lgkmcnt(0)
	s_barrier
	v_cmp_gt_u32_e64 s0, 16, v6
	buffer_gl0_inv
	v_cndmask_b32_e64 v3, 0, 1, s0
	v_cmp_gt_u32_e64 s0, 24, v6
	s_delay_alu instid0(VALU_DEP_2) | instskip(NEXT) | instid1(VALU_DEP_1)
	v_lshlrev_b32_e32 v3, 4, v3
	v_add_lshl_u32 v3, v3, v6, 2
	ds_bpermute_b32 v4, v3, v4
	v_cndmask_b32_e64 v3, 0, 1, s0
	v_cmp_gt_u32_e64 s0, 28, v6
	s_delay_alu instid0(VALU_DEP_2) | instskip(NEXT) | instid1(VALU_DEP_1)
	v_lshlrev_b32_e32 v3, 3, v3
	v_add_lshl_u32 v3, v3, v6, 2
	s_waitcnt lgkmcnt(0)
	v_add_f16_e32 v5, v5, v4
	s_delay_alu instid0(VALU_DEP_1) | instskip(NEXT) | instid1(VALU_DEP_1)
	v_and_b32_e32 v7, 0xffff, v5
	v_and_or_b32 v4, 0xffff0000, v4, v7
	ds_bpermute_b32 v7, v3, v4
	v_cndmask_b32_e64 v4, 0, 1, s0
	v_cmp_gt_u32_e64 s0, 30, v6
	s_delay_alu instid0(VALU_DEP_2) | instskip(NEXT) | instid1(VALU_DEP_1)
	v_lshlrev_b32_e32 v4, 2, v4
	v_add_lshl_u32 v4, v4, v6, 2
	s_waitcnt lgkmcnt(0)
	v_add_f16_e32 v5, v5, v7
	s_delay_alu instid0(VALU_DEP_1) | instskip(NEXT) | instid1(VALU_DEP_1)
	v_and_b32_e32 v8, 0xffff, v5
	v_and_or_b32 v7, 0xffff0000, v7, v8
	v_cndmask_b32_e64 v8, 0, 1, s0
	v_cmp_ne_u32_e64 s0, 31, v6
	ds_bpermute_b32 v7, v4, v7
	s_waitcnt lgkmcnt(0)
	v_add_f16_e32 v9, v5, v7
	v_lshlrev_b32_e32 v5, 1, v8
	s_delay_alu instid0(VALU_DEP_2) | instskip(NEXT) | instid1(VALU_DEP_2)
	v_and_b32_e32 v8, 0xffff, v9
	v_add_lshl_u32 v5, v5, v6, 2
	v_add_co_ci_u32_e64 v6, s0, 0, v6, s0
	s_delay_alu instid0(VALU_DEP_3) | instskip(NEXT) | instid1(VALU_DEP_2)
	v_and_or_b32 v7, 0xffff0000, v7, v8
	v_lshlrev_b32_e32 v6, 2, v6
	ds_bpermute_b32 v8, v5, v7
	s_waitcnt lgkmcnt(0)
	v_add_f16_e32 v7, v9, v8
	s_delay_alu instid0(VALU_DEP_1) | instskip(NEXT) | instid1(VALU_DEP_1)
	v_and_b32_e32 v9, 0xffff, v7
	v_and_or_b32 v8, 0xffff0000, v8, v9
	ds_bpermute_b32 v8, v6, v8
	v_cmpx_eq_u32_e32 0, v2
	s_cbranch_execz .LBB516_8
; %bb.7:
	v_lshrrev_b32_e32 v2, 4, v0
	s_waitcnt lgkmcnt(0)
	v_add_f16_e32 v7, v7, v8
	s_delay_alu instid0(VALU_DEP_2)
	v_and_b32_e32 v2, 30, v2
	ds_store_b16 v2, v7
.LBB516_8:
	s_or_b32 exec_lo, exec_lo, s1
	v_mov_b32_e32 v2, 0
	s_mov_b32 s1, exec_lo
	s_waitcnt lgkmcnt(0)
	s_barrier
	buffer_gl0_inv
	v_cmpx_gt_u32_e32 16, v0
	s_cbranch_execz .LBB516_10
; %bb.9:
	ds_load_u16 v2, v1
.LBB516_10:
	s_or_b32 exec_lo, exec_lo, s1
	s_and_saveexec_b32 s0, vcc_lo
	s_cbranch_execz .LBB516_12
; %bb.11:
	s_waitcnt lgkmcnt(0)
	v_and_b32_e32 v1, 0xffff, v2
	ds_bpermute_b32 v1, v3, v1
	s_waitcnt lgkmcnt(0)
	v_add_f16_e32 v2, v2, v1
	s_delay_alu instid0(VALU_DEP_1) | instskip(NEXT) | instid1(VALU_DEP_1)
	v_and_b32_e32 v3, 0xffff, v2
	v_and_or_b32 v1, 0xffff0000, v1, v3
	ds_bpermute_b32 v1, v4, v1
	s_waitcnt lgkmcnt(0)
	v_add_f16_e32 v2, v2, v1
	s_delay_alu instid0(VALU_DEP_1) | instskip(NEXT) | instid1(VALU_DEP_1)
	v_and_b32_e32 v3, 0xffff, v2
	v_and_or_b32 v1, 0xffff0000, v1, v3
	;; [unrolled: 6-line block ×3, first 2 shown]
	ds_bpermute_b32 v1, v6, v1
	s_waitcnt lgkmcnt(0)
	v_add_f16_e32 v2, v2, v1
.LBB516_12:
	s_or_b32 exec_lo, exec_lo, s0
	s_delay_alu instid0(SALU_CYCLE_1)
	s_mov_b32 s0, exec_lo
	v_cmpx_eq_u32_e32 0, v0
	s_cbranch_execz .LBB516_18
; %bb.13:
	s_cmp_lg_u32 s12, 1
	s_cbranch_scc0 .LBB516_15
; %bb.14:
	s_mul_hi_u32 s1, s12, s2
	s_mul_i32 s0, s12, s2
	s_mov_b32 s15, 0
	s_lshl_b64 s[0:1], s[0:1], 1
	s_delay_alu instid0(SALU_CYCLE_1) | instskip(SKIP_2) | instid1(SALU_CYCLE_1)
	s_add_u32 s4, s4, s0
	s_addc_u32 s5, s5, s1
	s_lshl_b64 s[0:1], s[14:15], 1
	s_add_u32 s0, s4, s0
	s_addc_u32 s1, s5, s1
	s_cbranch_execz .LBB516_16
	s_branch .LBB516_17
.LBB516_15:
                                        ; implicit-def: $sgpr0_sgpr1
.LBB516_16:
	s_lshl_b64 s[0:1], s[2:3], 1
	s_delay_alu instid0(SALU_CYCLE_1)
	s_add_u32 s0, s6, s0
	s_addc_u32 s1, s7, s1
.LBB516_17:
	v_mov_b32_e32 v0, 0
	s_waitcnt lgkmcnt(0)
	global_store_b16 v0, v2, s[0:1]
.LBB516_18:
	s_nop 0
	s_sendmsg sendmsg(MSG_DEALLOC_VGPRS)
	s_endpgm
	.section	.rodata,"a",@progbits
	.p2align	6, 0x0
	.amdhsa_kernel _ZL23rocblas_dot_kernel_inc1ILb0ELi512ELi8ELb1EDF16_PKPKDF16_DF16_EviT4_llS4_lliPT5_PT3_
		.amdhsa_group_segment_fixed_size 64
		.amdhsa_private_segment_fixed_size 0
		.amdhsa_kernarg_size 336
		.amdhsa_user_sgpr_count 14
		.amdhsa_user_sgpr_dispatch_ptr 0
		.amdhsa_user_sgpr_queue_ptr 0
		.amdhsa_user_sgpr_kernarg_segment_ptr 1
		.amdhsa_user_sgpr_dispatch_id 0
		.amdhsa_user_sgpr_private_segment_size 0
		.amdhsa_wavefront_size32 1
		.amdhsa_uses_dynamic_stack 0
		.amdhsa_enable_private_segment 0
		.amdhsa_system_sgpr_workgroup_id_x 1
		.amdhsa_system_sgpr_workgroup_id_y 0
		.amdhsa_system_sgpr_workgroup_id_z 1
		.amdhsa_system_sgpr_workgroup_info 0
		.amdhsa_system_vgpr_workitem_id 0
		.amdhsa_next_free_vgpr 10
		.amdhsa_next_free_sgpr 24
		.amdhsa_reserve_vcc 1
		.amdhsa_float_round_mode_32 0
		.amdhsa_float_round_mode_16_64 0
		.amdhsa_float_denorm_mode_32 3
		.amdhsa_float_denorm_mode_16_64 3
		.amdhsa_dx10_clamp 1
		.amdhsa_ieee_mode 1
		.amdhsa_fp16_overflow 0
		.amdhsa_workgroup_processor_mode 1
		.amdhsa_memory_ordered 1
		.amdhsa_forward_progress 0
		.amdhsa_shared_vgpr_count 0
		.amdhsa_exception_fp_ieee_invalid_op 0
		.amdhsa_exception_fp_denorm_src 0
		.amdhsa_exception_fp_ieee_div_zero 0
		.amdhsa_exception_fp_ieee_overflow 0
		.amdhsa_exception_fp_ieee_underflow 0
		.amdhsa_exception_fp_ieee_inexact 0
		.amdhsa_exception_int_div_zero 0
	.end_amdhsa_kernel
	.section	.text._ZL23rocblas_dot_kernel_inc1ILb0ELi512ELi8ELb1EDF16_PKPKDF16_DF16_EviT4_llS4_lliPT5_PT3_,"axG",@progbits,_ZL23rocblas_dot_kernel_inc1ILb0ELi512ELi8ELb1EDF16_PKPKDF16_DF16_EviT4_llS4_lliPT5_PT3_,comdat
.Lfunc_end516:
	.size	_ZL23rocblas_dot_kernel_inc1ILb0ELi512ELi8ELb1EDF16_PKPKDF16_DF16_EviT4_llS4_lliPT5_PT3_, .Lfunc_end516-_ZL23rocblas_dot_kernel_inc1ILb0ELi512ELi8ELb1EDF16_PKPKDF16_DF16_EviT4_llS4_lliPT5_PT3_
                                        ; -- End function
	.section	.AMDGPU.csdata,"",@progbits
; Kernel info:
; codeLenInByte = 1080
; NumSgprs: 26
; NumVgprs: 10
; ScratchSize: 0
; MemoryBound: 0
; FloatMode: 240
; IeeeMode: 1
; LDSByteSize: 64 bytes/workgroup (compile time only)
; SGPRBlocks: 3
; VGPRBlocks: 1
; NumSGPRsForWavesPerEU: 26
; NumVGPRsForWavesPerEU: 10
; Occupancy: 16
; WaveLimiterHint : 1
; COMPUTE_PGM_RSRC2:SCRATCH_EN: 0
; COMPUTE_PGM_RSRC2:USER_SGPR: 14
; COMPUTE_PGM_RSRC2:TRAP_HANDLER: 0
; COMPUTE_PGM_RSRC2:TGID_X_EN: 1
; COMPUTE_PGM_RSRC2:TGID_Y_EN: 0
; COMPUTE_PGM_RSRC2:TGID_Z_EN: 1
; COMPUTE_PGM_RSRC2:TIDIG_COMP_CNT: 0
	.section	.text._ZL18rocblas_dot_kernelIiLb0ELi512ELi8ELb1EDF16_PKPKDF16_DF16_EviT5_lT_lS4_lS5_liPT6_PT4_,"axG",@progbits,_ZL18rocblas_dot_kernelIiLb0ELi512ELi8ELb1EDF16_PKPKDF16_DF16_EviT5_lT_lS4_lS5_liPT6_PT4_,comdat
	.globl	_ZL18rocblas_dot_kernelIiLb0ELi512ELi8ELb1EDF16_PKPKDF16_DF16_EviT5_lT_lS4_lS5_liPT6_PT4_ ; -- Begin function _ZL18rocblas_dot_kernelIiLb0ELi512ELi8ELb1EDF16_PKPKDF16_DF16_EviT5_lT_lS4_lS5_liPT6_PT4_
	.p2align	8
	.type	_ZL18rocblas_dot_kernelIiLb0ELi512ELi8ELb1EDF16_PKPKDF16_DF16_EviT5_lT_lS4_lS5_liPT6_PT4_,@function
_ZL18rocblas_dot_kernelIiLb0ELi512ELi8ELb1EDF16_PKPKDF16_DF16_EviT5_lT_lS4_lS5_liPT6_PT4_: ; @_ZL18rocblas_dot_kernelIiLb0ELi512ELi8ELb1EDF16_PKPKDF16_DF16_EviT5_lT_lS4_lS5_liPT6_PT4_
; %bb.0:
	s_clause 0x2
	s_load_b32 s12, s[0:1], 0x60
	s_load_b32 s13, s[0:1], 0x0
	s_load_b128 s[4:7], s[0:1], 0x50
	v_lshl_or_b32 v1, s14, 9, v0
	v_mov_b32_e32 v5, 0
	s_mov_b32 s2, s15
	s_mov_b32 s3, 0
	s_mov_b32 s15, exec_lo
	s_waitcnt lgkmcnt(0)
	v_cmpx_gt_i32_e64 s13, v1
	s_cbranch_execz .LBB517_4
; %bb.1:
	s_clause 0x3
	s_load_b128 s[16:19], s[0:1], 0x8
	s_load_b128 s[8:11], s[0:1], 0x28
	s_load_b32 s22, s[0:1], 0x18
	s_load_b32 s24, s[0:1], 0x38
	s_lshl_b64 s[0:1], s[2:3], 3
	s_waitcnt lgkmcnt(0)
	s_add_u32 s16, s16, s0
	s_addc_u32 s17, s17, s1
	s_add_u32 s0, s8, s0
	s_load_b64 s[16:17], s[16:17], 0x0
	s_addc_u32 s1, s9, s1
	v_mad_i64_i32 v[2:3], null, s22, v1, 0
	s_load_b64 s[20:21], s[0:1], 0x0
	v_mad_i64_i32 v[4:5], null, s24, v1, 0
	s_lshl_b32 s1, s12, 9
	s_lshl_b64 s[8:9], s[18:19], 1
	v_add_nc_u32_e32 v6, s1, v1
	s_delay_alu instid0(VALU_DEP_3) | instskip(SKIP_2) | instid1(VALU_DEP_3)
	v_lshlrev_b64 v[1:2], 1, v[2:3]
	s_mul_hi_i32 s19, s22, s1
	s_mul_i32 s18, s22, s1
	v_lshlrev_b64 v[3:4], 1, v[4:5]
	v_mov_b32_e32 v5, 0
	s_mul_hi_i32 s23, s24, s1
	s_mul_i32 s22, s24, s1
	s_waitcnt lgkmcnt(0)
	s_add_u32 s0, s16, s8
	s_addc_u32 s16, s17, s9
	s_lshl_b64 s[10:11], s[10:11], 1
	s_lshl_b64 s[8:9], s[18:19], 1
	v_add_co_u32 v1, vcc_lo, s0, v1
	s_add_u32 s0, s20, s10
	v_add_co_ci_u32_e32 v2, vcc_lo, s16, v2, vcc_lo
	s_addc_u32 s10, s21, s11
	v_add_co_u32 v3, vcc_lo, s0, v3
	v_add_co_ci_u32_e32 v4, vcc_lo, s10, v4, vcc_lo
	s_lshl_b64 s[10:11], s[22:23], 1
	s_mov_b32 s16, s3
	s_mov_b32 s17, s3
	.p2align	6
.LBB517_2:                              ; =>This Inner Loop Header: Depth=1
	global_load_u16 v7, v[3:4], off
	global_load_u16 v8, v[1:2], off
	v_add_co_u32 v1, s0, v1, s8
	s_delay_alu instid0(VALU_DEP_1)
	v_add_co_ci_u32_e64 v2, s0, s9, v2, s0
	s_add_i32 s18, s17, 1
	v_cmp_le_i32_e32 vcc_lo, s13, v6
	v_add_co_u32 v3, s0, v3, s10
	s_cmp_gt_u32 s17, 6
	v_add_co_ci_u32_e64 v4, s0, s11, v4, s0
	s_cselect_b32 s0, -1, 0
	v_add_nc_u32_e32 v6, s1, v6
	s_or_b32 s0, s0, vcc_lo
	s_mov_b32 s17, s18
	s_and_b32 s0, exec_lo, s0
	s_delay_alu instid0(SALU_CYCLE_1)
	s_or_b32 s16, s0, s16
	s_waitcnt vmcnt(0)
	v_fmac_f16_e32 v5, v7, v8
	s_and_not1_b32 exec_lo, exec_lo, s16
	s_cbranch_execnz .LBB517_2
; %bb.3:
	s_or_b32 exec_lo, exec_lo, s16
.LBB517_4:
	s_delay_alu instid0(SALU_CYCLE_1) | instskip(SKIP_2) | instid1(VALU_DEP_2)
	s_or_b32 exec_lo, exec_lo, s15
	v_and_b32_e32 v2, 31, v0
	v_cmp_gt_u32_e32 vcc_lo, 32, v0
	v_lshlrev_b32_e32 v1, 1, v2
	s_and_saveexec_b32 s0, vcc_lo
	s_cbranch_execz .LBB517_6
; %bb.5:
	v_mov_b32_e32 v3, 0
	ds_store_b16 v1, v3
.LBB517_6:
	s_or_b32 exec_lo, exec_lo, s0
	v_mbcnt_lo_u32_b32 v6, -1, 0
	v_and_b32_e32 v4, 0xffff, v5
	s_mov_b32 s1, exec_lo
	s_waitcnt lgkmcnt(0)
	s_barrier
	v_cmp_gt_u32_e64 s0, 16, v6
	buffer_gl0_inv
	v_cndmask_b32_e64 v3, 0, 1, s0
	v_cmp_gt_u32_e64 s0, 24, v6
	s_delay_alu instid0(VALU_DEP_2) | instskip(NEXT) | instid1(VALU_DEP_1)
	v_lshlrev_b32_e32 v3, 4, v3
	v_add_lshl_u32 v3, v3, v6, 2
	ds_bpermute_b32 v4, v3, v4
	v_cndmask_b32_e64 v3, 0, 1, s0
	v_cmp_gt_u32_e64 s0, 28, v6
	s_delay_alu instid0(VALU_DEP_2) | instskip(NEXT) | instid1(VALU_DEP_1)
	v_lshlrev_b32_e32 v3, 3, v3
	v_add_lshl_u32 v3, v3, v6, 2
	s_waitcnt lgkmcnt(0)
	v_add_f16_e32 v5, v5, v4
	s_delay_alu instid0(VALU_DEP_1) | instskip(NEXT) | instid1(VALU_DEP_1)
	v_and_b32_e32 v7, 0xffff, v5
	v_and_or_b32 v4, 0xffff0000, v4, v7
	ds_bpermute_b32 v7, v3, v4
	v_cndmask_b32_e64 v4, 0, 1, s0
	v_cmp_gt_u32_e64 s0, 30, v6
	s_delay_alu instid0(VALU_DEP_2) | instskip(NEXT) | instid1(VALU_DEP_1)
	v_lshlrev_b32_e32 v4, 2, v4
	v_add_lshl_u32 v4, v4, v6, 2
	s_waitcnt lgkmcnt(0)
	v_add_f16_e32 v5, v5, v7
	s_delay_alu instid0(VALU_DEP_1) | instskip(NEXT) | instid1(VALU_DEP_1)
	v_and_b32_e32 v8, 0xffff, v5
	v_and_or_b32 v7, 0xffff0000, v7, v8
	v_cndmask_b32_e64 v8, 0, 1, s0
	v_cmp_ne_u32_e64 s0, 31, v6
	ds_bpermute_b32 v7, v4, v7
	s_waitcnt lgkmcnt(0)
	v_add_f16_e32 v9, v5, v7
	v_lshlrev_b32_e32 v5, 1, v8
	s_delay_alu instid0(VALU_DEP_2) | instskip(NEXT) | instid1(VALU_DEP_2)
	v_and_b32_e32 v8, 0xffff, v9
	v_add_lshl_u32 v5, v5, v6, 2
	v_add_co_ci_u32_e64 v6, s0, 0, v6, s0
	s_delay_alu instid0(VALU_DEP_3) | instskip(NEXT) | instid1(VALU_DEP_2)
	v_and_or_b32 v7, 0xffff0000, v7, v8
	v_lshlrev_b32_e32 v6, 2, v6
	ds_bpermute_b32 v8, v5, v7
	s_waitcnt lgkmcnt(0)
	v_add_f16_e32 v7, v9, v8
	s_delay_alu instid0(VALU_DEP_1) | instskip(NEXT) | instid1(VALU_DEP_1)
	v_and_b32_e32 v9, 0xffff, v7
	v_and_or_b32 v8, 0xffff0000, v8, v9
	ds_bpermute_b32 v8, v6, v8
	v_cmpx_eq_u32_e32 0, v2
	s_cbranch_execz .LBB517_8
; %bb.7:
	v_lshrrev_b32_e32 v2, 4, v0
	s_waitcnt lgkmcnt(0)
	v_add_f16_e32 v7, v7, v8
	s_delay_alu instid0(VALU_DEP_2)
	v_and_b32_e32 v2, 30, v2
	ds_store_b16 v2, v7
.LBB517_8:
	s_or_b32 exec_lo, exec_lo, s1
	v_mov_b32_e32 v2, 0
	s_mov_b32 s1, exec_lo
	s_waitcnt lgkmcnt(0)
	s_barrier
	buffer_gl0_inv
	v_cmpx_gt_u32_e32 16, v0
	s_cbranch_execz .LBB517_10
; %bb.9:
	ds_load_u16 v2, v1
.LBB517_10:
	s_or_b32 exec_lo, exec_lo, s1
	s_and_saveexec_b32 s0, vcc_lo
	s_cbranch_execz .LBB517_12
; %bb.11:
	s_waitcnt lgkmcnt(0)
	v_and_b32_e32 v1, 0xffff, v2
	ds_bpermute_b32 v1, v3, v1
	s_waitcnt lgkmcnt(0)
	v_add_f16_e32 v2, v2, v1
	s_delay_alu instid0(VALU_DEP_1) | instskip(NEXT) | instid1(VALU_DEP_1)
	v_and_b32_e32 v3, 0xffff, v2
	v_and_or_b32 v1, 0xffff0000, v1, v3
	ds_bpermute_b32 v1, v4, v1
	s_waitcnt lgkmcnt(0)
	v_add_f16_e32 v2, v2, v1
	s_delay_alu instid0(VALU_DEP_1) | instskip(NEXT) | instid1(VALU_DEP_1)
	v_and_b32_e32 v3, 0xffff, v2
	v_and_or_b32 v1, 0xffff0000, v1, v3
	;; [unrolled: 6-line block ×3, first 2 shown]
	ds_bpermute_b32 v1, v6, v1
	s_waitcnt lgkmcnt(0)
	v_add_f16_e32 v2, v2, v1
.LBB517_12:
	s_or_b32 exec_lo, exec_lo, s0
	s_delay_alu instid0(SALU_CYCLE_1)
	s_mov_b32 s0, exec_lo
	v_cmpx_eq_u32_e32 0, v0
	s_cbranch_execz .LBB517_18
; %bb.13:
	s_cmp_lg_u32 s12, 1
	s_cbranch_scc0 .LBB517_15
; %bb.14:
	s_mul_hi_u32 s1, s12, s2
	s_mul_i32 s0, s12, s2
	s_mov_b32 s15, 0
	s_lshl_b64 s[0:1], s[0:1], 1
	s_delay_alu instid0(SALU_CYCLE_1) | instskip(SKIP_2) | instid1(SALU_CYCLE_1)
	s_add_u32 s4, s4, s0
	s_addc_u32 s5, s5, s1
	s_lshl_b64 s[0:1], s[14:15], 1
	s_add_u32 s0, s4, s0
	s_addc_u32 s1, s5, s1
	s_cbranch_execz .LBB517_16
	s_branch .LBB517_17
.LBB517_15:
                                        ; implicit-def: $sgpr0_sgpr1
.LBB517_16:
	s_lshl_b64 s[0:1], s[2:3], 1
	s_delay_alu instid0(SALU_CYCLE_1)
	s_add_u32 s0, s6, s0
	s_addc_u32 s1, s7, s1
.LBB517_17:
	v_mov_b32_e32 v0, 0
	s_waitcnt lgkmcnt(0)
	global_store_b16 v0, v2, s[0:1]
.LBB517_18:
	s_nop 0
	s_sendmsg sendmsg(MSG_DEALLOC_VGPRS)
	s_endpgm
	.section	.rodata,"a",@progbits
	.p2align	6, 0x0
	.amdhsa_kernel _ZL18rocblas_dot_kernelIiLb0ELi512ELi8ELb1EDF16_PKPKDF16_DF16_EviT5_lT_lS4_lS5_liPT6_PT4_
		.amdhsa_group_segment_fixed_size 64
		.amdhsa_private_segment_fixed_size 0
		.amdhsa_kernarg_size 352
		.amdhsa_user_sgpr_count 14
		.amdhsa_user_sgpr_dispatch_ptr 0
		.amdhsa_user_sgpr_queue_ptr 0
		.amdhsa_user_sgpr_kernarg_segment_ptr 1
		.amdhsa_user_sgpr_dispatch_id 0
		.amdhsa_user_sgpr_private_segment_size 0
		.amdhsa_wavefront_size32 1
		.amdhsa_uses_dynamic_stack 0
		.amdhsa_enable_private_segment 0
		.amdhsa_system_sgpr_workgroup_id_x 1
		.amdhsa_system_sgpr_workgroup_id_y 0
		.amdhsa_system_sgpr_workgroup_id_z 1
		.amdhsa_system_sgpr_workgroup_info 0
		.amdhsa_system_vgpr_workitem_id 0
		.amdhsa_next_free_vgpr 10
		.amdhsa_next_free_sgpr 25
		.amdhsa_reserve_vcc 1
		.amdhsa_float_round_mode_32 0
		.amdhsa_float_round_mode_16_64 0
		.amdhsa_float_denorm_mode_32 3
		.amdhsa_float_denorm_mode_16_64 3
		.amdhsa_dx10_clamp 1
		.amdhsa_ieee_mode 1
		.amdhsa_fp16_overflow 0
		.amdhsa_workgroup_processor_mode 1
		.amdhsa_memory_ordered 1
		.amdhsa_forward_progress 0
		.amdhsa_shared_vgpr_count 0
		.amdhsa_exception_fp_ieee_invalid_op 0
		.amdhsa_exception_fp_denorm_src 0
		.amdhsa_exception_fp_ieee_div_zero 0
		.amdhsa_exception_fp_ieee_overflow 0
		.amdhsa_exception_fp_ieee_underflow 0
		.amdhsa_exception_fp_ieee_inexact 0
		.amdhsa_exception_int_div_zero 0
	.end_amdhsa_kernel
	.section	.text._ZL18rocblas_dot_kernelIiLb0ELi512ELi8ELb1EDF16_PKPKDF16_DF16_EviT5_lT_lS4_lS5_liPT6_PT4_,"axG",@progbits,_ZL18rocblas_dot_kernelIiLb0ELi512ELi8ELb1EDF16_PKPKDF16_DF16_EviT5_lT_lS4_lS5_liPT6_PT4_,comdat
.Lfunc_end517:
	.size	_ZL18rocblas_dot_kernelIiLb0ELi512ELi8ELb1EDF16_PKPKDF16_DF16_EviT5_lT_lS4_lS5_liPT6_PT4_, .Lfunc_end517-_ZL18rocblas_dot_kernelIiLb0ELi512ELi8ELb1EDF16_PKPKDF16_DF16_EviT5_lT_lS4_lS5_liPT6_PT4_
                                        ; -- End function
	.section	.AMDGPU.csdata,"",@progbits
; Kernel info:
; codeLenInByte = 1144
; NumSgprs: 27
; NumVgprs: 10
; ScratchSize: 0
; MemoryBound: 0
; FloatMode: 240
; IeeeMode: 1
; LDSByteSize: 64 bytes/workgroup (compile time only)
; SGPRBlocks: 3
; VGPRBlocks: 1
; NumSGPRsForWavesPerEU: 27
; NumVGPRsForWavesPerEU: 10
; Occupancy: 16
; WaveLimiterHint : 0
; COMPUTE_PGM_RSRC2:SCRATCH_EN: 0
; COMPUTE_PGM_RSRC2:USER_SGPR: 14
; COMPUTE_PGM_RSRC2:TRAP_HANDLER: 0
; COMPUTE_PGM_RSRC2:TGID_X_EN: 1
; COMPUTE_PGM_RSRC2:TGID_Y_EN: 0
; COMPUTE_PGM_RSRC2:TGID_Z_EN: 1
; COMPUTE_PGM_RSRC2:TIDIG_COMP_CNT: 0
	.section	.text._ZL24rocblas_dot_kernel_magsqIiLb0ELi512ELi8ELb1EDF16_PKPKDF16_DF16_EviT5_lT_liPT6_PT4_,"axG",@progbits,_ZL24rocblas_dot_kernel_magsqIiLb0ELi512ELi8ELb1EDF16_PKPKDF16_DF16_EviT5_lT_liPT6_PT4_,comdat
	.globl	_ZL24rocblas_dot_kernel_magsqIiLb0ELi512ELi8ELb1EDF16_PKPKDF16_DF16_EviT5_lT_liPT6_PT4_ ; -- Begin function _ZL24rocblas_dot_kernel_magsqIiLb0ELi512ELi8ELb1EDF16_PKPKDF16_DF16_EviT5_lT_liPT6_PT4_
	.p2align	8
	.type	_ZL24rocblas_dot_kernel_magsqIiLb0ELi512ELi8ELb1EDF16_PKPKDF16_DF16_EviT5_lT_liPT6_PT4_,@function
_ZL24rocblas_dot_kernel_magsqIiLb0ELi512ELi8ELb1EDF16_PKPKDF16_DF16_EviT5_lT_liPT6_PT4_: ; @_ZL24rocblas_dot_kernel_magsqIiLb0ELi512ELi8ELb1EDF16_PKPKDF16_DF16_EviT5_lT_liPT6_PT4_
; %bb.0:
	s_clause 0x2
	s_load_b32 s11, s[0:1], 0x0
	s_load_b128 s[4:7], s[0:1], 0x30
	s_load_b32 s10, s[0:1], 0x40
	v_lshl_or_b32 v1, s14, 9, v0
	v_mov_b32_e32 v3, 0
	s_mov_b32 s2, s15
	s_mov_b32 s3, 0
	s_mov_b32 s12, exec_lo
	s_waitcnt lgkmcnt(0)
	v_cmpx_gt_i32_e64 s11, v1
	s_cbranch_execz .LBB518_4
; %bb.1:
	s_clause 0x1
	s_load_b128 s[16:19], s[0:1], 0x8
	s_load_b32 s13, s[0:1], 0x18
	s_lshl_b64 s[0:1], s[2:3], 3
	s_mov_b32 s15, s3
	s_waitcnt lgkmcnt(0)
	s_add_u32 s0, s16, s0
	s_addc_u32 s1, s17, s1
	v_mad_i64_i32 v[2:3], null, s13, v1, 0
	s_load_b64 s[8:9], s[0:1], 0x0
	s_lshl_b32 s1, s10, 9
	s_lshl_b64 s[16:17], s[18:19], 1
	v_add_nc_u32_e32 v4, s1, v1
	s_mul_hi_i32 s19, s13, s1
	s_mul_i32 s18, s13, s1
	s_delay_alu instid0(VALU_DEP_2)
	v_lshlrev_b64 v[1:2], 1, v[2:3]
	v_mov_b32_e32 v3, 0
	s_mov_b32 s13, s3
	s_waitcnt lgkmcnt(0)
	s_add_u32 s0, s8, s16
	s_addc_u32 s8, s9, s17
	v_add_co_u32 v1, vcc_lo, s0, v1
	v_add_co_ci_u32_e32 v2, vcc_lo, s8, v2, vcc_lo
	s_lshl_b64 s[8:9], s[18:19], 1
	.p2align	6
.LBB518_2:                              ; =>This Inner Loop Header: Depth=1
	global_load_u16 v5, v[1:2], off
	s_add_i32 s16, s15, 1
	v_cmp_le_i32_e32 vcc_lo, s11, v4
	v_add_co_u32 v1, s0, v1, s8
	s_cmp_gt_u32 s15, 6
	v_add_co_ci_u32_e64 v2, s0, s9, v2, s0
	s_cselect_b32 s0, -1, 0
	v_add_nc_u32_e32 v4, s1, v4
	s_or_b32 s0, s0, vcc_lo
	s_mov_b32 s15, s16
	s_and_b32 s0, exec_lo, s0
	s_delay_alu instid0(SALU_CYCLE_1)
	s_or_b32 s13, s0, s13
	s_waitcnt vmcnt(0)
	v_fmac_f16_e32 v3, v5, v5
	s_and_not1_b32 exec_lo, exec_lo, s13
	s_cbranch_execnz .LBB518_2
; %bb.3:
	s_or_b32 exec_lo, exec_lo, s13
.LBB518_4:
	s_delay_alu instid0(SALU_CYCLE_1) | instskip(SKIP_2) | instid1(VALU_DEP_2)
	s_or_b32 exec_lo, exec_lo, s12
	v_and_b32_e32 v2, 31, v0
	v_cmp_gt_u32_e32 vcc_lo, 32, v0
	v_lshlrev_b32_e32 v1, 1, v2
	s_and_saveexec_b32 s0, vcc_lo
	s_cbranch_execz .LBB518_6
; %bb.5:
	v_mov_b32_e32 v4, 0
	ds_store_b16 v1, v4
.LBB518_6:
	s_or_b32 exec_lo, exec_lo, s0
	v_mbcnt_lo_u32_b32 v6, -1, 0
	v_and_b32_e32 v5, 0xffff, v3
	s_mov_b32 s1, exec_lo
	s_waitcnt lgkmcnt(0)
	s_barrier
	v_cmp_gt_u32_e64 s0, 16, v6
	buffer_gl0_inv
	v_cndmask_b32_e64 v4, 0, 1, s0
	v_cmp_gt_u32_e64 s0, 24, v6
	s_delay_alu instid0(VALU_DEP_2) | instskip(NEXT) | instid1(VALU_DEP_1)
	v_lshlrev_b32_e32 v4, 4, v4
	v_add_lshl_u32 v4, v4, v6, 2
	ds_bpermute_b32 v4, v4, v5
	v_cndmask_b32_e64 v5, 0, 1, s0
	v_cmp_gt_u32_e64 s0, 28, v6
	s_waitcnt lgkmcnt(0)
	v_add_f16_e32 v7, v3, v4
	s_delay_alu instid0(VALU_DEP_3) | instskip(NEXT) | instid1(VALU_DEP_2)
	v_lshlrev_b32_e32 v3, 3, v5
	v_and_b32_e32 v5, 0xffff, v7
	s_delay_alu instid0(VALU_DEP_2) | instskip(NEXT) | instid1(VALU_DEP_2)
	v_add_lshl_u32 v3, v3, v6, 2
	v_and_or_b32 v4, 0xffff0000, v4, v5
	ds_bpermute_b32 v5, v3, v4
	v_cndmask_b32_e64 v4, 0, 1, s0
	v_cmp_gt_u32_e64 s0, 30, v6
	s_delay_alu instid0(VALU_DEP_2) | instskip(NEXT) | instid1(VALU_DEP_1)
	v_lshlrev_b32_e32 v4, 2, v4
	v_add_lshl_u32 v4, v4, v6, 2
	s_waitcnt lgkmcnt(0)
	v_add_f16_e32 v7, v7, v5
	s_delay_alu instid0(VALU_DEP_1) | instskip(NEXT) | instid1(VALU_DEP_1)
	v_and_b32_e32 v8, 0xffff, v7
	v_and_or_b32 v5, 0xffff0000, v5, v8
	ds_bpermute_b32 v8, v4, v5
	v_cndmask_b32_e64 v5, 0, 1, s0
	v_cmp_ne_u32_e64 s0, 31, v6
	s_delay_alu instid0(VALU_DEP_2) | instskip(NEXT) | instid1(VALU_DEP_1)
	v_lshlrev_b32_e32 v5, 1, v5
	v_add_lshl_u32 v5, v5, v6, 2
	s_delay_alu instid0(VALU_DEP_3) | instskip(NEXT) | instid1(VALU_DEP_1)
	v_add_co_ci_u32_e64 v6, s0, 0, v6, s0
	v_lshlrev_b32_e32 v6, 2, v6
	s_waitcnt lgkmcnt(0)
	v_add_f16_e32 v7, v7, v8
	s_delay_alu instid0(VALU_DEP_1) | instskip(NEXT) | instid1(VALU_DEP_1)
	v_and_b32_e32 v9, 0xffff, v7
	v_and_or_b32 v8, 0xffff0000, v8, v9
	ds_bpermute_b32 v8, v5, v8
	s_waitcnt lgkmcnt(0)
	v_add_f16_e32 v7, v7, v8
	s_delay_alu instid0(VALU_DEP_1) | instskip(NEXT) | instid1(VALU_DEP_1)
	v_and_b32_e32 v9, 0xffff, v7
	v_and_or_b32 v8, 0xffff0000, v8, v9
	ds_bpermute_b32 v8, v6, v8
	v_cmpx_eq_u32_e32 0, v2
	s_cbranch_execz .LBB518_8
; %bb.7:
	v_lshrrev_b32_e32 v2, 4, v0
	s_waitcnt lgkmcnt(0)
	v_add_f16_e32 v7, v7, v8
	s_delay_alu instid0(VALU_DEP_2)
	v_and_b32_e32 v2, 30, v2
	ds_store_b16 v2, v7
.LBB518_8:
	s_or_b32 exec_lo, exec_lo, s1
	v_mov_b32_e32 v2, 0
	s_mov_b32 s1, exec_lo
	s_waitcnt lgkmcnt(0)
	s_barrier
	buffer_gl0_inv
	v_cmpx_gt_u32_e32 16, v0
	s_cbranch_execz .LBB518_10
; %bb.9:
	ds_load_u16 v2, v1
.LBB518_10:
	s_or_b32 exec_lo, exec_lo, s1
	s_and_saveexec_b32 s0, vcc_lo
	s_cbranch_execz .LBB518_12
; %bb.11:
	s_waitcnt lgkmcnt(0)
	v_and_b32_e32 v1, 0xffff, v2
	ds_bpermute_b32 v1, v3, v1
	s_waitcnt lgkmcnt(0)
	v_add_f16_e32 v2, v2, v1
	s_delay_alu instid0(VALU_DEP_1) | instskip(NEXT) | instid1(VALU_DEP_1)
	v_and_b32_e32 v3, 0xffff, v2
	v_and_or_b32 v1, 0xffff0000, v1, v3
	ds_bpermute_b32 v1, v4, v1
	s_waitcnt lgkmcnt(0)
	v_add_f16_e32 v2, v2, v1
	s_delay_alu instid0(VALU_DEP_1) | instskip(NEXT) | instid1(VALU_DEP_1)
	v_and_b32_e32 v3, 0xffff, v2
	v_and_or_b32 v1, 0xffff0000, v1, v3
	;; [unrolled: 6-line block ×3, first 2 shown]
	ds_bpermute_b32 v1, v6, v1
	s_waitcnt lgkmcnt(0)
	v_add_f16_e32 v2, v2, v1
.LBB518_12:
	s_or_b32 exec_lo, exec_lo, s0
	s_delay_alu instid0(SALU_CYCLE_1)
	s_mov_b32 s0, exec_lo
	v_cmpx_eq_u32_e32 0, v0
	s_cbranch_execz .LBB518_18
; %bb.13:
	s_cmp_lg_u32 s10, 1
	s_cbranch_scc0 .LBB518_15
; %bb.14:
	s_mul_hi_u32 s1, s10, s2
	s_mul_i32 s0, s10, s2
	s_mov_b32 s15, 0
	s_lshl_b64 s[0:1], s[0:1], 1
	s_delay_alu instid0(SALU_CYCLE_1) | instskip(SKIP_2) | instid1(SALU_CYCLE_1)
	s_add_u32 s4, s4, s0
	s_addc_u32 s5, s5, s1
	s_lshl_b64 s[0:1], s[14:15], 1
	s_add_u32 s0, s4, s0
	s_addc_u32 s1, s5, s1
	s_cbranch_execz .LBB518_16
	s_branch .LBB518_17
.LBB518_15:
                                        ; implicit-def: $sgpr0_sgpr1
.LBB518_16:
	s_lshl_b64 s[0:1], s[2:3], 1
	s_delay_alu instid0(SALU_CYCLE_1)
	s_add_u32 s0, s6, s0
	s_addc_u32 s1, s7, s1
.LBB518_17:
	v_mov_b32_e32 v0, 0
	s_waitcnt lgkmcnt(0)
	global_store_b16 v0, v2, s[0:1]
.LBB518_18:
	s_nop 0
	s_sendmsg sendmsg(MSG_DEALLOC_VGPRS)
	s_endpgm
	.section	.rodata,"a",@progbits
	.p2align	6, 0x0
	.amdhsa_kernel _ZL24rocblas_dot_kernel_magsqIiLb0ELi512ELi8ELb1EDF16_PKPKDF16_DF16_EviT5_lT_liPT6_PT4_
		.amdhsa_group_segment_fixed_size 64
		.amdhsa_private_segment_fixed_size 0
		.amdhsa_kernarg_size 320
		.amdhsa_user_sgpr_count 14
		.amdhsa_user_sgpr_dispatch_ptr 0
		.amdhsa_user_sgpr_queue_ptr 0
		.amdhsa_user_sgpr_kernarg_segment_ptr 1
		.amdhsa_user_sgpr_dispatch_id 0
		.amdhsa_user_sgpr_private_segment_size 0
		.amdhsa_wavefront_size32 1
		.amdhsa_uses_dynamic_stack 0
		.amdhsa_enable_private_segment 0
		.amdhsa_system_sgpr_workgroup_id_x 1
		.amdhsa_system_sgpr_workgroup_id_y 0
		.amdhsa_system_sgpr_workgroup_id_z 1
		.amdhsa_system_sgpr_workgroup_info 0
		.amdhsa_system_vgpr_workitem_id 0
		.amdhsa_next_free_vgpr 10
		.amdhsa_next_free_sgpr 20
		.amdhsa_reserve_vcc 1
		.amdhsa_float_round_mode_32 0
		.amdhsa_float_round_mode_16_64 0
		.amdhsa_float_denorm_mode_32 3
		.amdhsa_float_denorm_mode_16_64 3
		.amdhsa_dx10_clamp 1
		.amdhsa_ieee_mode 1
		.amdhsa_fp16_overflow 0
		.amdhsa_workgroup_processor_mode 1
		.amdhsa_memory_ordered 1
		.amdhsa_forward_progress 0
		.amdhsa_shared_vgpr_count 0
		.amdhsa_exception_fp_ieee_invalid_op 0
		.amdhsa_exception_fp_denorm_src 0
		.amdhsa_exception_fp_ieee_div_zero 0
		.amdhsa_exception_fp_ieee_overflow 0
		.amdhsa_exception_fp_ieee_underflow 0
		.amdhsa_exception_fp_ieee_inexact 0
		.amdhsa_exception_int_div_zero 0
	.end_amdhsa_kernel
	.section	.text._ZL24rocblas_dot_kernel_magsqIiLb0ELi512ELi8ELb1EDF16_PKPKDF16_DF16_EviT5_lT_liPT6_PT4_,"axG",@progbits,_ZL24rocblas_dot_kernel_magsqIiLb0ELi512ELi8ELb1EDF16_PKPKDF16_DF16_EviT5_lT_liPT6_PT4_,comdat
.Lfunc_end518:
	.size	_ZL24rocblas_dot_kernel_magsqIiLb0ELi512ELi8ELb1EDF16_PKPKDF16_DF16_EviT5_lT_liPT6_PT4_, .Lfunc_end518-_ZL24rocblas_dot_kernel_magsqIiLb0ELi512ELi8ELb1EDF16_PKPKDF16_DF16_EviT5_lT_liPT6_PT4_
                                        ; -- End function
	.section	.AMDGPU.csdata,"",@progbits
; Kernel info:
; codeLenInByte = 1036
; NumSgprs: 22
; NumVgprs: 10
; ScratchSize: 0
; MemoryBound: 0
; FloatMode: 240
; IeeeMode: 1
; LDSByteSize: 64 bytes/workgroup (compile time only)
; SGPRBlocks: 2
; VGPRBlocks: 1
; NumSGPRsForWavesPerEU: 22
; NumVGPRsForWavesPerEU: 10
; Occupancy: 16
; WaveLimiterHint : 0
; COMPUTE_PGM_RSRC2:SCRATCH_EN: 0
; COMPUTE_PGM_RSRC2:USER_SGPR: 14
; COMPUTE_PGM_RSRC2:TRAP_HANDLER: 0
; COMPUTE_PGM_RSRC2:TGID_X_EN: 1
; COMPUTE_PGM_RSRC2:TGID_Y_EN: 0
; COMPUTE_PGM_RSRC2:TGID_Z_EN: 1
; COMPUTE_PGM_RSRC2:TIDIG_COMP_CNT: 0
	.section	.text._ZL28rocblas_dot_batched_4_kernelIlLi32ELi4ELb1EDF16_DF16_PKPKDF16_EviT5_lT_lS4_lS5_liPT4_,"axG",@progbits,_ZL28rocblas_dot_batched_4_kernelIlLi32ELi4ELb1EDF16_DF16_PKPKDF16_EviT5_lT_lS4_lS5_liPT4_,comdat
	.globl	_ZL28rocblas_dot_batched_4_kernelIlLi32ELi4ELb1EDF16_DF16_PKPKDF16_EviT5_lT_lS4_lS5_liPT4_ ; -- Begin function _ZL28rocblas_dot_batched_4_kernelIlLi32ELi4ELb1EDF16_DF16_PKPKDF16_EviT5_lT_lS4_lS5_liPT4_
	.p2align	8
	.type	_ZL28rocblas_dot_batched_4_kernelIlLi32ELi4ELb1EDF16_DF16_PKPKDF16_EviT5_lT_lS4_lS5_liPT4_,@function
_ZL28rocblas_dot_batched_4_kernelIlLi32ELi4ELb1EDF16_DF16_PKPKDF16_EviT5_lT_lS4_lS5_liPT4_: ; @_ZL28rocblas_dot_batched_4_kernelIlLi32ELi4ELb1EDF16_DF16_PKPKDF16_EviT5_lT_lS4_lS5_liPT4_
; %bb.0:
	s_load_b32 s2, s[0:1], 0x48
	v_bfe_u32 v1, v0, 10, 10
	s_delay_alu instid0(VALU_DEP_1) | instskip(SKIP_1) | instid1(VALU_DEP_1)
	v_lshl_add_u32 v1, s15, 2, v1
	s_waitcnt lgkmcnt(0)
	v_cmp_gt_u32_e32 vcc_lo, s2, v1
	s_and_saveexec_b32 s2, vcc_lo
	s_cbranch_execz .LBB519_7
; %bb.1:
	s_clause 0x1
	s_load_b32 s10, s[0:1], 0x0
	s_load_b64 s[8:9], s[0:1], 0x50
	v_mov_b32_e32 v2, 0
	v_and_b32_e32 v0, 0x3ff, v0
	s_mov_b32 s11, exec_lo
	s_delay_alu instid0(VALU_DEP_2) | instskip(SKIP_1) | instid1(VALU_DEP_2)
	v_mov_b32_e32 v7, v2
	s_waitcnt lgkmcnt(0)
	v_cmpx_gt_i32_e64 s10, v0
	s_cbranch_execz .LBB519_5
; %bb.2:
	s_clause 0x1
	s_load_b64 s[12:13], s[0:1], 0x8
	s_load_b64 s[14:15], s[0:1], 0x28
	v_lshlrev_b64 v[3:4], 3, v[1:2]
	s_clause 0x1
	s_load_b128 s[4:7], s[0:1], 0x10
	s_load_b128 s[0:3], s[0:1], 0x30
	s_waitcnt lgkmcnt(0)
	s_delay_alu instid0(VALU_DEP_1)
	v_add_co_u32 v5, vcc_lo, s12, v3
	v_add_co_ci_u32_e32 v6, vcc_lo, s13, v4, vcc_lo
	v_add_co_u32 v3, vcc_lo, s14, v3
	v_add_co_ci_u32_e32 v4, vcc_lo, s15, v4, vcc_lo
	v_mad_u64_u32 v[10:11], null, s2, v0, 0
	global_load_b64 v[5:6], v[5:6], off
	global_load_b64 v[8:9], v[3:4], off
	v_mad_u64_u32 v[3:4], null, s6, v0, 0
	s_lshl_b64 s[4:5], s[4:5], 1
	s_lshl_b64 s[0:1], s[0:1], 1
	v_mov_b32_e32 v7, v11
	s_waitcnt vmcnt(1)
	s_delay_alu instid0(VALU_DEP_2) | instskip(SKIP_1) | instid1(VALU_DEP_2)
	v_mad_u64_u32 v[11:12], null, s7, v0, v[4:5]
	s_waitcnt vmcnt(0)
	v_mad_u64_u32 v[12:13], null, s3, v0, v[7:8]
	v_mov_b32_e32 v7, 0
	s_lshl_b64 s[2:3], s[2:3], 6
	s_delay_alu instid0(VALU_DEP_2) | instskip(NEXT) | instid1(VALU_DEP_1)
	v_dual_mov_b32 v4, v11 :: v_dual_mov_b32 v11, v12
	v_lshlrev_b64 v[3:4], 1, v[3:4]
	s_delay_alu instid0(VALU_DEP_2) | instskip(NEXT) | instid1(VALU_DEP_2)
	v_lshlrev_b64 v[10:11], 1, v[10:11]
	v_add_co_u32 v3, vcc_lo, v3, s4
	s_delay_alu instid0(VALU_DEP_3) | instskip(NEXT) | instid1(VALU_DEP_3)
	v_add_co_ci_u32_e32 v4, vcc_lo, s5, v4, vcc_lo
	v_add_co_u32 v10, vcc_lo, v10, s0
	s_delay_alu instid0(VALU_DEP_4) | instskip(NEXT) | instid1(VALU_DEP_4)
	v_add_co_ci_u32_e32 v11, vcc_lo, s1, v11, vcc_lo
	v_add_co_u32 v3, vcc_lo, v5, v3
	s_delay_alu instid0(VALU_DEP_4) | instskip(NEXT) | instid1(VALU_DEP_4)
	v_add_co_ci_u32_e32 v4, vcc_lo, v6, v4, vcc_lo
	v_add_co_u32 v5, vcc_lo, v8, v10
	s_delay_alu instid0(VALU_DEP_4)
	v_add_co_ci_u32_e32 v6, vcc_lo, v9, v11, vcc_lo
	v_mov_b32_e32 v8, v0
	s_lshl_b64 s[4:5], s[6:7], 6
	s_mov_b32 s1, 0
	.p2align	6
.LBB519_3:                              ; =>This Inner Loop Header: Depth=1
	global_load_u16 v9, v[3:4], off
	global_load_u16 v10, v[5:6], off
	v_add_nc_u32_e32 v8, 32, v8
	v_add_co_u32 v3, vcc_lo, v3, s4
	v_add_co_ci_u32_e32 v4, vcc_lo, s5, v4, vcc_lo
	v_add_co_u32 v5, vcc_lo, v5, s2
	s_delay_alu instid0(VALU_DEP_4) | instskip(SKIP_1) | instid1(VALU_DEP_2)
	v_cmp_le_i32_e64 s0, s10, v8
	v_add_co_ci_u32_e32 v6, vcc_lo, s3, v6, vcc_lo
	s_or_b32 s1, s0, s1
	s_waitcnt vmcnt(0)
	v_fmac_f16_e32 v7, v9, v10
	s_and_not1_b32 exec_lo, exec_lo, s1
	s_cbranch_execnz .LBB519_3
; %bb.4:
	s_or_b32 exec_lo, exec_lo, s1
.LBB519_5:
	s_delay_alu instid0(SALU_CYCLE_1)
	s_or_b32 exec_lo, exec_lo, s11
	v_mbcnt_lo_u32_b32 v4, -1, 0
	v_and_b32_e32 v5, 0xffff, v7
	s_barrier
	buffer_gl0_inv
	v_cmp_gt_u32_e32 vcc_lo, 16, v4
	v_cndmask_b32_e64 v3, 0, 1, vcc_lo
	v_cmp_gt_u32_e32 vcc_lo, 24, v4
	s_delay_alu instid0(VALU_DEP_2) | instskip(NEXT) | instid1(VALU_DEP_1)
	v_lshlrev_b32_e32 v3, 4, v3
	v_add_lshl_u32 v3, v3, v4, 2
	ds_bpermute_b32 v3, v3, v5
	v_cndmask_b32_e64 v5, 0, 1, vcc_lo
	v_cmp_gt_u32_e32 vcc_lo, 28, v4
	s_delay_alu instid0(VALU_DEP_2) | instskip(NEXT) | instid1(VALU_DEP_1)
	v_lshlrev_b32_e32 v5, 3, v5
	v_add_lshl_u32 v5, v5, v4, 2
	s_waitcnt lgkmcnt(0)
	v_add_f16_e32 v6, v7, v3
	s_delay_alu instid0(VALU_DEP_1) | instskip(NEXT) | instid1(VALU_DEP_1)
	v_and_b32_e32 v7, 0xffff, v6
	v_and_or_b32 v3, 0xffff0000, v3, v7
	ds_bpermute_b32 v3, v5, v3
	v_cndmask_b32_e64 v5, 0, 1, vcc_lo
	v_cmp_gt_u32_e32 vcc_lo, 30, v4
	s_delay_alu instid0(VALU_DEP_2) | instskip(NEXT) | instid1(VALU_DEP_1)
	v_lshlrev_b32_e32 v5, 2, v5
	v_add_lshl_u32 v5, v5, v4, 2
	s_waitcnt lgkmcnt(0)
	v_add_f16_e32 v6, v6, v3
	s_delay_alu instid0(VALU_DEP_1) | instskip(NEXT) | instid1(VALU_DEP_1)
	v_and_b32_e32 v7, 0xffff, v6
	v_and_or_b32 v3, 0xffff0000, v3, v7
	ds_bpermute_b32 v3, v5, v3
	v_cndmask_b32_e64 v5, 0, 1, vcc_lo
	v_cmp_ne_u32_e32 vcc_lo, 31, v4
	s_delay_alu instid0(VALU_DEP_2) | instskip(NEXT) | instid1(VALU_DEP_1)
	v_lshlrev_b32_e32 v5, 1, v5
	v_add_lshl_u32 v5, v5, v4, 2
	v_add_co_ci_u32_e32 v4, vcc_lo, 0, v4, vcc_lo
	v_cmp_eq_u32_e32 vcc_lo, 0, v0
	s_delay_alu instid0(VALU_DEP_2) | instskip(SKIP_2) | instid1(VALU_DEP_1)
	v_lshlrev_b32_e32 v4, 2, v4
	s_waitcnt lgkmcnt(0)
	v_add_f16_e32 v6, v6, v3
	v_and_b32_e32 v7, 0xffff, v6
	s_delay_alu instid0(VALU_DEP_1) | instskip(SKIP_3) | instid1(VALU_DEP_1)
	v_and_or_b32 v3, 0xffff0000, v3, v7
	ds_bpermute_b32 v5, v5, v3
	s_waitcnt lgkmcnt(0)
	v_add_f16_e32 v3, v6, v5
	v_and_b32_e32 v6, 0xffff, v3
	s_delay_alu instid0(VALU_DEP_1)
	v_and_or_b32 v5, 0xffff0000, v5, v6
	ds_bpermute_b32 v4, v4, v5
	s_and_b32 exec_lo, exec_lo, vcc_lo
	s_cbranch_execz .LBB519_7
; %bb.6:
	v_lshlrev_b64 v[0:1], 1, v[1:2]
	s_waitcnt lgkmcnt(0)
	v_add_f16_e32 v2, v3, v4
	s_delay_alu instid0(VALU_DEP_2) | instskip(NEXT) | instid1(VALU_DEP_3)
	v_add_co_u32 v0, vcc_lo, s8, v0
	v_add_co_ci_u32_e32 v1, vcc_lo, s9, v1, vcc_lo
	global_store_b16 v[0:1], v2, off
.LBB519_7:
	s_nop 0
	s_sendmsg sendmsg(MSG_DEALLOC_VGPRS)
	s_endpgm
	.section	.rodata,"a",@progbits
	.p2align	6, 0x0
	.amdhsa_kernel _ZL28rocblas_dot_batched_4_kernelIlLi32ELi4ELb1EDF16_DF16_PKPKDF16_EviT5_lT_lS4_lS5_liPT4_
		.amdhsa_group_segment_fixed_size 0
		.amdhsa_private_segment_fixed_size 0
		.amdhsa_kernarg_size 88
		.amdhsa_user_sgpr_count 15
		.amdhsa_user_sgpr_dispatch_ptr 0
		.amdhsa_user_sgpr_queue_ptr 0
		.amdhsa_user_sgpr_kernarg_segment_ptr 1
		.amdhsa_user_sgpr_dispatch_id 0
		.amdhsa_user_sgpr_private_segment_size 0
		.amdhsa_wavefront_size32 1
		.amdhsa_uses_dynamic_stack 0
		.amdhsa_enable_private_segment 0
		.amdhsa_system_sgpr_workgroup_id_x 1
		.amdhsa_system_sgpr_workgroup_id_y 0
		.amdhsa_system_sgpr_workgroup_id_z 0
		.amdhsa_system_sgpr_workgroup_info 0
		.amdhsa_system_vgpr_workitem_id 1
		.amdhsa_next_free_vgpr 14
		.amdhsa_next_free_sgpr 16
		.amdhsa_reserve_vcc 1
		.amdhsa_float_round_mode_32 0
		.amdhsa_float_round_mode_16_64 0
		.amdhsa_float_denorm_mode_32 3
		.amdhsa_float_denorm_mode_16_64 3
		.amdhsa_dx10_clamp 1
		.amdhsa_ieee_mode 1
		.amdhsa_fp16_overflow 0
		.amdhsa_workgroup_processor_mode 1
		.amdhsa_memory_ordered 1
		.amdhsa_forward_progress 0
		.amdhsa_shared_vgpr_count 0
		.amdhsa_exception_fp_ieee_invalid_op 0
		.amdhsa_exception_fp_denorm_src 0
		.amdhsa_exception_fp_ieee_div_zero 0
		.amdhsa_exception_fp_ieee_overflow 0
		.amdhsa_exception_fp_ieee_underflow 0
		.amdhsa_exception_fp_ieee_inexact 0
		.amdhsa_exception_int_div_zero 0
	.end_amdhsa_kernel
	.section	.text._ZL28rocblas_dot_batched_4_kernelIlLi32ELi4ELb1EDF16_DF16_PKPKDF16_EviT5_lT_lS4_lS5_liPT4_,"axG",@progbits,_ZL28rocblas_dot_batched_4_kernelIlLi32ELi4ELb1EDF16_DF16_PKPKDF16_EviT5_lT_lS4_lS5_liPT4_,comdat
.Lfunc_end519:
	.size	_ZL28rocblas_dot_batched_4_kernelIlLi32ELi4ELb1EDF16_DF16_PKPKDF16_EviT5_lT_lS4_lS5_liPT4_, .Lfunc_end519-_ZL28rocblas_dot_batched_4_kernelIlLi32ELi4ELb1EDF16_DF16_PKPKDF16_EviT5_lT_lS4_lS5_liPT4_
                                        ; -- End function
	.section	.AMDGPU.csdata,"",@progbits
; Kernel info:
; codeLenInByte = 848
; NumSgprs: 18
; NumVgprs: 14
; ScratchSize: 0
; MemoryBound: 0
; FloatMode: 240
; IeeeMode: 1
; LDSByteSize: 0 bytes/workgroup (compile time only)
; SGPRBlocks: 2
; VGPRBlocks: 1
; NumSGPRsForWavesPerEU: 18
; NumVGPRsForWavesPerEU: 14
; Occupancy: 16
; WaveLimiterHint : 0
; COMPUTE_PGM_RSRC2:SCRATCH_EN: 0
; COMPUTE_PGM_RSRC2:USER_SGPR: 15
; COMPUTE_PGM_RSRC2:TRAP_HANDLER: 0
; COMPUTE_PGM_RSRC2:TGID_X_EN: 1
; COMPUTE_PGM_RSRC2:TGID_Y_EN: 0
; COMPUTE_PGM_RSRC2:TGID_Z_EN: 0
; COMPUTE_PGM_RSRC2:TIDIG_COMP_CNT: 1
	.section	.text._ZL28rocblas_dot_batched_4_kernelIlLi64ELi4ELb1EDF16_DF16_PKPKDF16_EviT5_lT_lS4_lS5_liPT4_,"axG",@progbits,_ZL28rocblas_dot_batched_4_kernelIlLi64ELi4ELb1EDF16_DF16_PKPKDF16_EviT5_lT_lS4_lS5_liPT4_,comdat
	.globl	_ZL28rocblas_dot_batched_4_kernelIlLi64ELi4ELb1EDF16_DF16_PKPKDF16_EviT5_lT_lS4_lS5_liPT4_ ; -- Begin function _ZL28rocblas_dot_batched_4_kernelIlLi64ELi4ELb1EDF16_DF16_PKPKDF16_EviT5_lT_lS4_lS5_liPT4_
	.p2align	8
	.type	_ZL28rocblas_dot_batched_4_kernelIlLi64ELi4ELb1EDF16_DF16_PKPKDF16_EviT5_lT_lS4_lS5_liPT4_,@function
_ZL28rocblas_dot_batched_4_kernelIlLi64ELi4ELb1EDF16_DF16_PKPKDF16_EviT5_lT_lS4_lS5_liPT4_: ; @_ZL28rocblas_dot_batched_4_kernelIlLi64ELi4ELb1EDF16_DF16_PKPKDF16_EviT5_lT_lS4_lS5_liPT4_
; %bb.0:
	s_load_b32 s2, s[0:1], 0x48
	v_bfe_u32 v1, v0, 10, 10
	s_delay_alu instid0(VALU_DEP_1) | instskip(SKIP_1) | instid1(VALU_DEP_1)
	v_lshl_add_u32 v1, s15, 2, v1
	s_waitcnt lgkmcnt(0)
	v_cmp_gt_u32_e32 vcc_lo, s2, v1
	s_and_saveexec_b32 s2, vcc_lo
	s_cbranch_execz .LBB520_7
; %bb.1:
	s_clause 0x1
	s_load_b32 s10, s[0:1], 0x0
	s_load_b64 s[8:9], s[0:1], 0x50
	v_mov_b32_e32 v2, 0
	v_and_b32_e32 v0, 0x3ff, v0
	s_mov_b32 s11, exec_lo
	s_delay_alu instid0(VALU_DEP_2) | instskip(SKIP_1) | instid1(VALU_DEP_2)
	v_mov_b32_e32 v7, v2
	s_waitcnt lgkmcnt(0)
	v_cmpx_gt_i32_e64 s10, v0
	s_cbranch_execz .LBB520_5
; %bb.2:
	s_clause 0x1
	s_load_b64 s[12:13], s[0:1], 0x8
	s_load_b64 s[14:15], s[0:1], 0x28
	v_lshlrev_b64 v[3:4], 3, v[1:2]
	s_clause 0x1
	s_load_b128 s[4:7], s[0:1], 0x10
	s_load_b128 s[0:3], s[0:1], 0x30
	s_waitcnt lgkmcnt(0)
	s_delay_alu instid0(VALU_DEP_1)
	v_add_co_u32 v5, vcc_lo, s12, v3
	v_add_co_ci_u32_e32 v6, vcc_lo, s13, v4, vcc_lo
	v_add_co_u32 v3, vcc_lo, s14, v3
	v_add_co_ci_u32_e32 v4, vcc_lo, s15, v4, vcc_lo
	v_mad_u64_u32 v[10:11], null, s2, v0, 0
	global_load_b64 v[5:6], v[5:6], off
	global_load_b64 v[8:9], v[3:4], off
	v_mad_u64_u32 v[3:4], null, s6, v0, 0
	s_lshl_b64 s[4:5], s[4:5], 1
	s_lshl_b64 s[0:1], s[0:1], 1
	v_mov_b32_e32 v7, v11
	s_waitcnt vmcnt(1)
	s_delay_alu instid0(VALU_DEP_2) | instskip(SKIP_1) | instid1(VALU_DEP_2)
	v_mad_u64_u32 v[11:12], null, s7, v0, v[4:5]
	s_waitcnt vmcnt(0)
	v_mad_u64_u32 v[12:13], null, s3, v0, v[7:8]
	v_mov_b32_e32 v7, 0
	s_lshl_b64 s[2:3], s[2:3], 7
	s_delay_alu instid0(VALU_DEP_2) | instskip(NEXT) | instid1(VALU_DEP_1)
	v_dual_mov_b32 v4, v11 :: v_dual_mov_b32 v11, v12
	v_lshlrev_b64 v[3:4], 1, v[3:4]
	s_delay_alu instid0(VALU_DEP_2) | instskip(NEXT) | instid1(VALU_DEP_2)
	v_lshlrev_b64 v[10:11], 1, v[10:11]
	v_add_co_u32 v3, vcc_lo, v3, s4
	s_delay_alu instid0(VALU_DEP_3) | instskip(NEXT) | instid1(VALU_DEP_3)
	v_add_co_ci_u32_e32 v4, vcc_lo, s5, v4, vcc_lo
	v_add_co_u32 v10, vcc_lo, v10, s0
	s_delay_alu instid0(VALU_DEP_4) | instskip(NEXT) | instid1(VALU_DEP_4)
	v_add_co_ci_u32_e32 v11, vcc_lo, s1, v11, vcc_lo
	v_add_co_u32 v3, vcc_lo, v5, v3
	s_delay_alu instid0(VALU_DEP_4) | instskip(NEXT) | instid1(VALU_DEP_4)
	v_add_co_ci_u32_e32 v4, vcc_lo, v6, v4, vcc_lo
	v_add_co_u32 v5, vcc_lo, v8, v10
	s_delay_alu instid0(VALU_DEP_4)
	v_add_co_ci_u32_e32 v6, vcc_lo, v9, v11, vcc_lo
	v_mov_b32_e32 v8, v0
	s_lshl_b64 s[4:5], s[6:7], 7
	s_mov_b32 s1, 0
	.p2align	6
.LBB520_3:                              ; =>This Inner Loop Header: Depth=1
	global_load_u16 v9, v[3:4], off
	global_load_u16 v10, v[5:6], off
	v_add_nc_u32_e32 v8, 64, v8
	v_add_co_u32 v3, vcc_lo, v3, s4
	v_add_co_ci_u32_e32 v4, vcc_lo, s5, v4, vcc_lo
	v_add_co_u32 v5, vcc_lo, v5, s2
	s_delay_alu instid0(VALU_DEP_4) | instskip(SKIP_1) | instid1(VALU_DEP_2)
	v_cmp_le_i32_e64 s0, s10, v8
	v_add_co_ci_u32_e32 v6, vcc_lo, s3, v6, vcc_lo
	s_or_b32 s1, s0, s1
	s_waitcnt vmcnt(0)
	v_fmac_f16_e32 v7, v9, v10
	s_and_not1_b32 exec_lo, exec_lo, s1
	s_cbranch_execnz .LBB520_3
; %bb.4:
	s_or_b32 exec_lo, exec_lo, s1
.LBB520_5:
	s_delay_alu instid0(SALU_CYCLE_1)
	s_or_b32 exec_lo, exec_lo, s11
	v_mbcnt_lo_u32_b32 v4, -1, 0
	v_and_b32_e32 v3, 0xffff, v7
	s_barrier
	buffer_gl0_inv
	v_lshlrev_b32_e32 v5, 2, v4
	v_cmp_gt_u32_e32 vcc_lo, 16, v4
	ds_bpermute_b32 v3, v5, v3
	v_cndmask_b32_e64 v5, 0, 1, vcc_lo
	v_cmp_gt_u32_e32 vcc_lo, 24, v4
	s_delay_alu instid0(VALU_DEP_2) | instskip(NEXT) | instid1(VALU_DEP_1)
	v_lshlrev_b32_e32 v5, 4, v5
	v_add_lshl_u32 v5, v5, v4, 2
	s_waitcnt lgkmcnt(0)
	v_add_f16_e32 v6, v7, v3
	s_delay_alu instid0(VALU_DEP_1) | instskip(NEXT) | instid1(VALU_DEP_1)
	v_and_b32_e32 v7, 0xffff, v6
	v_and_or_b32 v3, 0xffff0000, v3, v7
	ds_bpermute_b32 v3, v5, v3
	v_cndmask_b32_e64 v5, 0, 1, vcc_lo
	v_cmp_gt_u32_e32 vcc_lo, 28, v4
	s_delay_alu instid0(VALU_DEP_2) | instskip(NEXT) | instid1(VALU_DEP_1)
	v_lshlrev_b32_e32 v5, 3, v5
	v_add_lshl_u32 v5, v5, v4, 2
	s_waitcnt lgkmcnt(0)
	v_add_f16_e32 v6, v6, v3
	s_delay_alu instid0(VALU_DEP_1) | instskip(NEXT) | instid1(VALU_DEP_1)
	v_and_b32_e32 v7, 0xffff, v6
	v_and_or_b32 v3, 0xffff0000, v3, v7
	;; [unrolled: 11-line block ×3, first 2 shown]
	ds_bpermute_b32 v3, v5, v3
	v_cndmask_b32_e64 v5, 0, 1, vcc_lo
	v_cmp_ne_u32_e32 vcc_lo, 31, v4
	s_delay_alu instid0(VALU_DEP_2) | instskip(NEXT) | instid1(VALU_DEP_1)
	v_lshlrev_b32_e32 v5, 1, v5
	v_add_lshl_u32 v5, v5, v4, 2
	v_add_co_ci_u32_e32 v4, vcc_lo, 0, v4, vcc_lo
	v_cmp_eq_u32_e32 vcc_lo, 0, v0
	s_delay_alu instid0(VALU_DEP_2) | instskip(SKIP_2) | instid1(VALU_DEP_1)
	v_lshlrev_b32_e32 v4, 2, v4
	s_waitcnt lgkmcnt(0)
	v_add_f16_e32 v6, v6, v3
	v_and_b32_e32 v7, 0xffff, v6
	s_delay_alu instid0(VALU_DEP_1) | instskip(SKIP_3) | instid1(VALU_DEP_1)
	v_and_or_b32 v3, 0xffff0000, v3, v7
	ds_bpermute_b32 v5, v5, v3
	s_waitcnt lgkmcnt(0)
	v_add_f16_e32 v3, v6, v5
	v_and_b32_e32 v6, 0xffff, v3
	s_delay_alu instid0(VALU_DEP_1)
	v_and_or_b32 v5, 0xffff0000, v5, v6
	ds_bpermute_b32 v4, v4, v5
	s_and_b32 exec_lo, exec_lo, vcc_lo
	s_cbranch_execz .LBB520_7
; %bb.6:
	v_lshlrev_b64 v[0:1], 1, v[1:2]
	s_waitcnt lgkmcnt(0)
	v_add_f16_e32 v2, v3, v4
	s_delay_alu instid0(VALU_DEP_2) | instskip(NEXT) | instid1(VALU_DEP_3)
	v_add_co_u32 v0, vcc_lo, s8, v0
	v_add_co_ci_u32_e32 v1, vcc_lo, s9, v1, vcc_lo
	global_store_b16 v[0:1], v2, off
.LBB520_7:
	s_nop 0
	s_sendmsg sendmsg(MSG_DEALLOC_VGPRS)
	s_endpgm
	.section	.rodata,"a",@progbits
	.p2align	6, 0x0
	.amdhsa_kernel _ZL28rocblas_dot_batched_4_kernelIlLi64ELi4ELb1EDF16_DF16_PKPKDF16_EviT5_lT_lS4_lS5_liPT4_
		.amdhsa_group_segment_fixed_size 0
		.amdhsa_private_segment_fixed_size 0
		.amdhsa_kernarg_size 88
		.amdhsa_user_sgpr_count 15
		.amdhsa_user_sgpr_dispatch_ptr 0
		.amdhsa_user_sgpr_queue_ptr 0
		.amdhsa_user_sgpr_kernarg_segment_ptr 1
		.amdhsa_user_sgpr_dispatch_id 0
		.amdhsa_user_sgpr_private_segment_size 0
		.amdhsa_wavefront_size32 1
		.amdhsa_uses_dynamic_stack 0
		.amdhsa_enable_private_segment 0
		.amdhsa_system_sgpr_workgroup_id_x 1
		.amdhsa_system_sgpr_workgroup_id_y 0
		.amdhsa_system_sgpr_workgroup_id_z 0
		.amdhsa_system_sgpr_workgroup_info 0
		.amdhsa_system_vgpr_workitem_id 1
		.amdhsa_next_free_vgpr 14
		.amdhsa_next_free_sgpr 16
		.amdhsa_reserve_vcc 1
		.amdhsa_float_round_mode_32 0
		.amdhsa_float_round_mode_16_64 0
		.amdhsa_float_denorm_mode_32 3
		.amdhsa_float_denorm_mode_16_64 3
		.amdhsa_dx10_clamp 1
		.amdhsa_ieee_mode 1
		.amdhsa_fp16_overflow 0
		.amdhsa_workgroup_processor_mode 1
		.amdhsa_memory_ordered 1
		.amdhsa_forward_progress 0
		.amdhsa_shared_vgpr_count 0
		.amdhsa_exception_fp_ieee_invalid_op 0
		.amdhsa_exception_fp_denorm_src 0
		.amdhsa_exception_fp_ieee_div_zero 0
		.amdhsa_exception_fp_ieee_overflow 0
		.amdhsa_exception_fp_ieee_underflow 0
		.amdhsa_exception_fp_ieee_inexact 0
		.amdhsa_exception_int_div_zero 0
	.end_amdhsa_kernel
	.section	.text._ZL28rocblas_dot_batched_4_kernelIlLi64ELi4ELb1EDF16_DF16_PKPKDF16_EviT5_lT_lS4_lS5_liPT4_,"axG",@progbits,_ZL28rocblas_dot_batched_4_kernelIlLi64ELi4ELb1EDF16_DF16_PKPKDF16_EviT5_lT_lS4_lS5_liPT4_,comdat
.Lfunc_end520:
	.size	_ZL28rocblas_dot_batched_4_kernelIlLi64ELi4ELb1EDF16_DF16_PKPKDF16_EviT5_lT_lS4_lS5_liPT4_, .Lfunc_end520-_ZL28rocblas_dot_batched_4_kernelIlLi64ELi4ELb1EDF16_DF16_PKPKDF16_EviT5_lT_lS4_lS5_liPT4_
                                        ; -- End function
	.section	.AMDGPU.csdata,"",@progbits
; Kernel info:
; codeLenInByte = 892
; NumSgprs: 18
; NumVgprs: 14
; ScratchSize: 0
; MemoryBound: 0
; FloatMode: 240
; IeeeMode: 1
; LDSByteSize: 0 bytes/workgroup (compile time only)
; SGPRBlocks: 2
; VGPRBlocks: 1
; NumSGPRsForWavesPerEU: 18
; NumVGPRsForWavesPerEU: 14
; Occupancy: 16
; WaveLimiterHint : 0
; COMPUTE_PGM_RSRC2:SCRATCH_EN: 0
; COMPUTE_PGM_RSRC2:USER_SGPR: 15
; COMPUTE_PGM_RSRC2:TRAP_HANDLER: 0
; COMPUTE_PGM_RSRC2:TGID_X_EN: 1
; COMPUTE_PGM_RSRC2:TGID_Y_EN: 0
; COMPUTE_PGM_RSRC2:TGID_Z_EN: 0
; COMPUTE_PGM_RSRC2:TIDIG_COMP_CNT: 1
	.section	.text._ZL18rocblas_dot_kernelIlLb1ELi1024ELi32ELb1EDF16_PKPKDF16_DF16_EviT5_lT_lS4_lS5_liPT6_PT4_,"axG",@progbits,_ZL18rocblas_dot_kernelIlLb1ELi1024ELi32ELb1EDF16_PKPKDF16_DF16_EviT5_lT_lS4_lS5_liPT6_PT4_,comdat
	.globl	_ZL18rocblas_dot_kernelIlLb1ELi1024ELi32ELb1EDF16_PKPKDF16_DF16_EviT5_lT_lS4_lS5_liPT6_PT4_ ; -- Begin function _ZL18rocblas_dot_kernelIlLb1ELi1024ELi32ELb1EDF16_PKPKDF16_DF16_EviT5_lT_lS4_lS5_liPT6_PT4_
	.p2align	8
	.type	_ZL18rocblas_dot_kernelIlLb1ELi1024ELi32ELb1EDF16_PKPKDF16_DF16_EviT5_lT_lS4_lS5_liPT6_PT4_,@function
_ZL18rocblas_dot_kernelIlLb1ELi1024ELi32ELb1EDF16_PKPKDF16_DF16_EviT5_lT_lS4_lS5_liPT6_PT4_: ; @_ZL18rocblas_dot_kernelIlLb1ELi1024ELi32ELb1EDF16_PKPKDF16_DF16_EviT5_lT_lS4_lS5_liPT6_PT4_
; %bb.0:
	s_clause 0x1
	s_load_b32 s14, s[0:1], 0x0
	s_load_b64 s[2:3], s[0:1], 0x58
	v_mov_b32_e32 v5, 0
	s_mov_b32 s12, s15
	s_mov_b32 s13, 0
	s_mov_b32 s15, exec_lo
	s_waitcnt lgkmcnt(0)
	v_cmpx_gt_i32_e64 s14, v0
	s_cbranch_execz .LBB521_4
; %bb.1:
	s_clause 0x4
	s_load_b64 s[16:17], s[0:1], 0x8
	s_load_b128 s[8:11], s[0:1], 0x10
	s_load_b128 s[4:7], s[0:1], 0x30
	s_load_b64 s[18:19], s[0:1], 0x28
	s_load_b32 s20, s[0:1], 0x60
	s_lshl_b64 s[0:1], s[12:13], 3
	s_waitcnt lgkmcnt(0)
	s_add_u32 s16, s16, s0
	v_mad_u64_u32 v[1:2], null, s10, v0, 0
	v_mad_u64_u32 v[3:4], null, s6, v0, 0
	s_addc_u32 s17, s17, s1
	s_add_u32 s18, s18, s0
	s_load_b64 s[16:17], s[16:17], 0x0
	s_addc_u32 s19, s19, s1
	s_lshl_b64 s[8:9], s[8:9], 1
	s_load_b64 s[18:19], s[18:19], 0x0
	s_delay_alu instid0(VALU_DEP_1) | instskip(SKIP_2) | instid1(SALU_CYCLE_1)
	v_mad_u64_u32 v[7:8], null, s11, v0, v[2:3]
	v_mov_b32_e32 v5, 0
	s_lshl_b32 s1, s20, 10
	s_mul_hi_u32 s0, s10, s1
	s_mul_i32 s11, s11, s1
	s_mul_i32 s20, s10, s1
	s_delay_alu instid0(VALU_DEP_2) | instskip(SKIP_3) | instid1(VALU_DEP_2)
	v_mov_b32_e32 v2, v7
	v_mad_u64_u32 v[8:9], null, s7, v0, v[4:5]
	s_mul_hi_u32 s23, s6, s1
	s_mul_i32 s22, s6, s1
	v_lshlrev_b64 v[1:2], 1, v[1:2]
	s_mul_i32 s7, s7, s1
	v_or_b32_e32 v6, s1, v0
	s_waitcnt lgkmcnt(0)
	s_add_u32 s16, s16, s8
	v_mov_b32_e32 v4, v8
	s_addc_u32 s17, s17, s9
	s_ashr_i32 s24, s1, 31
	s_lshl_b64 s[8:9], s[4:5], 1
	s_mul_i32 s4, s10, s24
	v_lshlrev_b64 v[3:4], 1, v[3:4]
	s_add_i32 s0, s0, s4
	v_add_co_u32 v1, vcc_lo, s16, v1
	s_add_i32 s21, s0, s11
	s_mul_i32 s0, s6, s24
	s_lshl_b64 s[4:5], s[20:21], 1
	s_add_u32 s6, s18, s8
	v_add_co_ci_u32_e32 v2, vcc_lo, s17, v2, vcc_lo
	s_addc_u32 s8, s19, s9
	v_add_co_u32 v3, vcc_lo, s6, v3
	s_add_i32 s0, s23, s0
	v_add_co_ci_u32_e32 v4, vcc_lo, s8, v4, vcc_lo
	s_add_i32 s23, s0, s7
	s_mov_b32 s8, s13
	s_lshl_b64 s[6:7], s[22:23], 1
	s_mov_b32 s9, s13
	.p2align	6
.LBB521_2:                              ; =>This Inner Loop Header: Depth=1
	global_load_u16 v7, v[3:4], off
	global_load_u16 v8, v[1:2], off
	v_add_co_u32 v1, s0, v1, s4
	s_delay_alu instid0(VALU_DEP_1)
	v_add_co_ci_u32_e64 v2, s0, s5, v2, s0
	s_add_i32 s10, s9, 1
	v_cmp_le_i32_e32 vcc_lo, s14, v6
	v_add_co_u32 v3, s0, v3, s6
	s_cmp_gt_u32 s9, 30
	v_add_co_ci_u32_e64 v4, s0, s7, v4, s0
	s_cselect_b32 s0, -1, 0
	v_add_nc_u32_e32 v6, s1, v6
	s_or_b32 s0, s0, vcc_lo
	s_mov_b32 s9, s10
	s_and_b32 s0, exec_lo, s0
	s_delay_alu instid0(SALU_CYCLE_1)
	s_or_b32 s8, s0, s8
	s_waitcnt vmcnt(0)
	v_fmac_f16_e32 v5, v7, v8
	s_and_not1_b32 exec_lo, exec_lo, s8
	s_cbranch_execnz .LBB521_2
; %bb.3:
	s_or_b32 exec_lo, exec_lo, s8
.LBB521_4:
	s_delay_alu instid0(SALU_CYCLE_1) | instskip(SKIP_2) | instid1(VALU_DEP_2)
	s_or_b32 exec_lo, exec_lo, s15
	v_and_b32_e32 v6, 31, v0
	v_cmp_gt_u32_e32 vcc_lo, 32, v0
	v_lshlrev_b32_e32 v1, 1, v6
	s_and_saveexec_b32 s0, vcc_lo
	s_cbranch_execz .LBB521_6
; %bb.5:
	v_mov_b32_e32 v2, 0
	ds_store_b16 v1, v2
.LBB521_6:
	s_or_b32 exec_lo, exec_lo, s0
	v_mbcnt_lo_u32_b32 v7, -1, 0
	v_and_b32_e32 v3, 0xffff, v5
	s_mov_b32 s1, exec_lo
	s_waitcnt lgkmcnt(0)
	s_barrier
	v_cmp_gt_u32_e64 s0, 16, v7
	buffer_gl0_inv
	v_cndmask_b32_e64 v2, 0, 1, s0
	v_cmp_gt_u32_e64 s0, 24, v7
	s_delay_alu instid0(VALU_DEP_2) | instskip(NEXT) | instid1(VALU_DEP_1)
	v_lshlrev_b32_e32 v2, 4, v2
	v_add_lshl_u32 v2, v2, v7, 2
	ds_bpermute_b32 v4, v2, v3
	v_cndmask_b32_e64 v3, 0, 1, s0
	v_cmp_gt_u32_e64 s0, 28, v7
	s_delay_alu instid0(VALU_DEP_2) | instskip(NEXT) | instid1(VALU_DEP_1)
	v_lshlrev_b32_e32 v3, 3, v3
	v_add_lshl_u32 v3, v3, v7, 2
	s_waitcnt lgkmcnt(0)
	v_add_f16_e32 v5, v5, v4
	s_delay_alu instid0(VALU_DEP_1) | instskip(NEXT) | instid1(VALU_DEP_1)
	v_and_b32_e32 v8, 0xffff, v5
	v_and_or_b32 v4, 0xffff0000, v4, v8
	ds_bpermute_b32 v8, v3, v4
	v_cndmask_b32_e64 v4, 0, 1, s0
	v_cmp_gt_u32_e64 s0, 30, v7
	s_delay_alu instid0(VALU_DEP_2) | instskip(NEXT) | instid1(VALU_DEP_1)
	v_lshlrev_b32_e32 v4, 2, v4
	v_add_lshl_u32 v4, v4, v7, 2
	s_waitcnt lgkmcnt(0)
	v_add_f16_e32 v5, v5, v8
	s_delay_alu instid0(VALU_DEP_1) | instskip(NEXT) | instid1(VALU_DEP_1)
	v_and_b32_e32 v9, 0xffff, v5
	v_and_or_b32 v8, 0xffff0000, v8, v9
	v_cndmask_b32_e64 v9, 0, 1, s0
	v_cmp_ne_u32_e64 s0, 31, v7
	ds_bpermute_b32 v8, v4, v8
	s_waitcnt lgkmcnt(0)
	v_add_f16_e32 v10, v5, v8
	v_lshlrev_b32_e32 v5, 1, v9
	s_delay_alu instid0(VALU_DEP_2) | instskip(NEXT) | instid1(VALU_DEP_2)
	v_and_b32_e32 v9, 0xffff, v10
	v_add_lshl_u32 v5, v5, v7, 2
	v_add_co_ci_u32_e64 v7, s0, 0, v7, s0
	s_delay_alu instid0(VALU_DEP_3) | instskip(NEXT) | instid1(VALU_DEP_2)
	v_and_or_b32 v8, 0xffff0000, v8, v9
	v_lshlrev_b32_e32 v7, 2, v7
	ds_bpermute_b32 v9, v5, v8
	s_waitcnt lgkmcnt(0)
	v_add_f16_e32 v8, v10, v9
	s_delay_alu instid0(VALU_DEP_1) | instskip(NEXT) | instid1(VALU_DEP_1)
	v_and_b32_e32 v10, 0xffff, v8
	v_and_or_b32 v9, 0xffff0000, v9, v10
	ds_bpermute_b32 v9, v7, v9
	v_cmpx_eq_u32_e32 0, v6
	s_cbranch_execz .LBB521_8
; %bb.7:
	v_lshrrev_b32_e32 v6, 4, v0
	s_waitcnt lgkmcnt(0)
	v_add_f16_e32 v8, v8, v9
	s_delay_alu instid0(VALU_DEP_2)
	v_and_b32_e32 v6, 62, v6
	ds_store_b16 v6, v8
.LBB521_8:
	s_or_b32 exec_lo, exec_lo, s1
	v_mov_b32_e32 v6, 0
	s_waitcnt lgkmcnt(0)
	s_barrier
	buffer_gl0_inv
	s_and_saveexec_b32 s0, vcc_lo
	s_cbranch_execz .LBB521_10
; %bb.9:
	ds_load_u16 v6, v1
.LBB521_10:
	s_or_b32 exec_lo, exec_lo, s0
	s_and_saveexec_b32 s0, vcc_lo
	s_cbranch_execz .LBB521_12
; %bb.11:
	s_waitcnt lgkmcnt(0)
	v_and_b32_e32 v1, 0xffff, v6
	ds_bpermute_b32 v1, v2, v1
	s_waitcnt lgkmcnt(0)
	v_add_f16_e32 v2, v6, v1
	s_delay_alu instid0(VALU_DEP_1) | instskip(NEXT) | instid1(VALU_DEP_1)
	v_and_b32_e32 v6, 0xffff, v2
	v_and_or_b32 v1, 0xffff0000, v1, v6
	ds_bpermute_b32 v1, v3, v1
	s_waitcnt lgkmcnt(0)
	v_add_f16_e32 v2, v2, v1
	s_delay_alu instid0(VALU_DEP_1) | instskip(NEXT) | instid1(VALU_DEP_1)
	v_and_b32_e32 v3, 0xffff, v2
	v_and_or_b32 v1, 0xffff0000, v1, v3
	;; [unrolled: 6-line block ×4, first 2 shown]
	ds_bpermute_b32 v1, v7, v1
	s_waitcnt lgkmcnt(0)
	v_add_f16_e32 v6, v2, v1
.LBB521_12:
	s_or_b32 exec_lo, exec_lo, s0
	s_delay_alu instid0(SALU_CYCLE_1)
	s_mov_b32 s0, exec_lo
	v_cmpx_eq_u32_e32 0, v0
	s_cbranch_execz .LBB521_14
; %bb.13:
	s_lshl_b64 s[0:1], s[12:13], 1
	v_mov_b32_e32 v0, 0
	s_add_u32 s0, s2, s0
	s_addc_u32 s1, s3, s1
	s_waitcnt lgkmcnt(0)
	global_store_b16 v0, v6, s[0:1]
.LBB521_14:
	s_nop 0
	s_sendmsg sendmsg(MSG_DEALLOC_VGPRS)
	s_endpgm
	.section	.rodata,"a",@progbits
	.p2align	6, 0x0
	.amdhsa_kernel _ZL18rocblas_dot_kernelIlLb1ELi1024ELi32ELb1EDF16_PKPKDF16_DF16_EviT5_lT_lS4_lS5_liPT6_PT4_
		.amdhsa_group_segment_fixed_size 64
		.amdhsa_private_segment_fixed_size 0
		.amdhsa_kernarg_size 352
		.amdhsa_user_sgpr_count 14
		.amdhsa_user_sgpr_dispatch_ptr 0
		.amdhsa_user_sgpr_queue_ptr 0
		.amdhsa_user_sgpr_kernarg_segment_ptr 1
		.amdhsa_user_sgpr_dispatch_id 0
		.amdhsa_user_sgpr_private_segment_size 0
		.amdhsa_wavefront_size32 1
		.amdhsa_uses_dynamic_stack 0
		.amdhsa_enable_private_segment 0
		.amdhsa_system_sgpr_workgroup_id_x 1
		.amdhsa_system_sgpr_workgroup_id_y 0
		.amdhsa_system_sgpr_workgroup_id_z 1
		.amdhsa_system_sgpr_workgroup_info 0
		.amdhsa_system_vgpr_workitem_id 0
		.amdhsa_next_free_vgpr 11
		.amdhsa_next_free_sgpr 25
		.amdhsa_reserve_vcc 1
		.amdhsa_float_round_mode_32 0
		.amdhsa_float_round_mode_16_64 0
		.amdhsa_float_denorm_mode_32 3
		.amdhsa_float_denorm_mode_16_64 3
		.amdhsa_dx10_clamp 1
		.amdhsa_ieee_mode 1
		.amdhsa_fp16_overflow 0
		.amdhsa_workgroup_processor_mode 1
		.amdhsa_memory_ordered 1
		.amdhsa_forward_progress 0
		.amdhsa_shared_vgpr_count 0
		.amdhsa_exception_fp_ieee_invalid_op 0
		.amdhsa_exception_fp_denorm_src 0
		.amdhsa_exception_fp_ieee_div_zero 0
		.amdhsa_exception_fp_ieee_overflow 0
		.amdhsa_exception_fp_ieee_underflow 0
		.amdhsa_exception_fp_ieee_inexact 0
		.amdhsa_exception_int_div_zero 0
	.end_amdhsa_kernel
	.section	.text._ZL18rocblas_dot_kernelIlLb1ELi1024ELi32ELb1EDF16_PKPKDF16_DF16_EviT5_lT_lS4_lS5_liPT6_PT4_,"axG",@progbits,_ZL18rocblas_dot_kernelIlLb1ELi1024ELi32ELb1EDF16_PKPKDF16_DF16_EviT5_lT_lS4_lS5_liPT6_PT4_,comdat
.Lfunc_end521:
	.size	_ZL18rocblas_dot_kernelIlLb1ELi1024ELi32ELb1EDF16_PKPKDF16_DF16_EviT5_lT_lS4_lS5_liPT6_PT4_, .Lfunc_end521-_ZL18rocblas_dot_kernelIlLb1ELi1024ELi32ELb1EDF16_PKPKDF16_DF16_EviT5_lT_lS4_lS5_liPT6_PT4_
                                        ; -- End function
	.section	.AMDGPU.csdata,"",@progbits
; Kernel info:
; codeLenInByte = 1176
; NumSgprs: 27
; NumVgprs: 11
; ScratchSize: 0
; MemoryBound: 0
; FloatMode: 240
; IeeeMode: 1
; LDSByteSize: 64 bytes/workgroup (compile time only)
; SGPRBlocks: 3
; VGPRBlocks: 1
; NumSGPRsForWavesPerEU: 27
; NumVGPRsForWavesPerEU: 11
; Occupancy: 16
; WaveLimiterHint : 0
; COMPUTE_PGM_RSRC2:SCRATCH_EN: 0
; COMPUTE_PGM_RSRC2:USER_SGPR: 14
; COMPUTE_PGM_RSRC2:TRAP_HANDLER: 0
; COMPUTE_PGM_RSRC2:TGID_X_EN: 1
; COMPUTE_PGM_RSRC2:TGID_Y_EN: 0
; COMPUTE_PGM_RSRC2:TGID_Z_EN: 1
; COMPUTE_PGM_RSRC2:TIDIG_COMP_CNT: 0
	.section	.text._ZL24rocblas_dot_kernel_magsqIlLb1ELi1024ELi32ELb1EDF16_PKPKDF16_DF16_EviT5_lT_liPT6_PT4_,"axG",@progbits,_ZL24rocblas_dot_kernel_magsqIlLb1ELi1024ELi32ELb1EDF16_PKPKDF16_DF16_EviT5_lT_liPT6_PT4_,comdat
	.globl	_ZL24rocblas_dot_kernel_magsqIlLb1ELi1024ELi32ELb1EDF16_PKPKDF16_DF16_EviT5_lT_liPT6_PT4_ ; -- Begin function _ZL24rocblas_dot_kernel_magsqIlLb1ELi1024ELi32ELb1EDF16_PKPKDF16_DF16_EviT5_lT_liPT6_PT4_
	.p2align	8
	.type	_ZL24rocblas_dot_kernel_magsqIlLb1ELi1024ELi32ELb1EDF16_PKPKDF16_DF16_EviT5_lT_liPT6_PT4_,@function
_ZL24rocblas_dot_kernel_magsqIlLb1ELi1024ELi32ELb1EDF16_PKPKDF16_DF16_EviT5_lT_liPT6_PT4_: ; @_ZL24rocblas_dot_kernel_magsqIlLb1ELi1024ELi32ELb1EDF16_PKPKDF16_DF16_EviT5_lT_liPT6_PT4_
; %bb.0:
	s_clause 0x1
	s_load_b32 s8, s[0:1], 0x0
	s_load_b64 s[2:3], s[0:1], 0x38
	v_mov_b32_e32 v3, 0
	s_mov_b32 s4, s15
	s_mov_b32 s5, 0
	s_mov_b32 s9, exec_lo
	s_waitcnt lgkmcnt(0)
	v_cmpx_gt_i32_e64 s8, v0
	s_cbranch_execz .LBB522_4
; %bb.1:
	s_clause 0x1
	s_load_b64 s[6:7], s[0:1], 0x8
	s_load_b128 s[12:15], s[0:1], 0x10
	s_lshl_b64 s[10:11], s[4:5], 3
	s_load_b32 s16, s[0:1], 0x40
	s_waitcnt lgkmcnt(0)
	s_add_u32 s0, s6, s10
	v_mad_u64_u32 v[1:2], null, s14, v0, 0
	s_addc_u32 s1, s7, s11
	s_lshl_b64 s[10:11], s[12:13], 1
	s_load_b64 s[6:7], s[0:1], 0x0
	s_lshl_b32 s1, s16, 10
	s_delay_alu instid0(SALU_CYCLE_1) | instskip(NEXT) | instid1(VALU_DEP_1)
	s_mul_hi_u32 s0, s14, s1
	v_mad_u64_u32 v[3:4], null, s15, v0, v[2:3]
	v_or_b32_e32 v4, s1, v0
	s_delay_alu instid0(VALU_DEP_2) | instskip(NEXT) | instid1(VALU_DEP_1)
	v_dual_mov_b32 v2, v3 :: v_dual_mov_b32 v3, 0
	v_lshlrev_b64 v[1:2], 1, v[1:2]
	s_waitcnt lgkmcnt(0)
	s_add_u32 s10, s6, s10
	s_addc_u32 s11, s7, s11
	s_ashr_i32 s6, s1, 31
	s_delay_alu instid0(VALU_DEP_1)
	v_add_co_u32 v1, vcc_lo, s10, v1
	s_mul_i32 s6, s14, s6
	s_mul_i32 s7, s15, s1
	s_add_i32 s0, s0, s6
	v_add_co_ci_u32_e32 v2, vcc_lo, s11, v2, vcc_lo
	s_mul_i32 s6, s14, s1
	s_add_i32 s7, s0, s7
	s_mov_b32 s10, s5
	s_lshl_b64 s[6:7], s[6:7], 1
	s_mov_b32 s11, s5
	.p2align	6
.LBB522_2:                              ; =>This Inner Loop Header: Depth=1
	global_load_u16 v5, v[1:2], off
	s_add_i32 s12, s11, 1
	v_cmp_le_i32_e32 vcc_lo, s8, v4
	v_add_co_u32 v1, s0, v1, s6
	s_cmp_gt_u32 s11, 30
	v_add_co_ci_u32_e64 v2, s0, s7, v2, s0
	s_cselect_b32 s0, -1, 0
	v_add_nc_u32_e32 v4, s1, v4
	s_or_b32 s0, s0, vcc_lo
	s_mov_b32 s11, s12
	s_and_b32 s0, exec_lo, s0
	s_delay_alu instid0(SALU_CYCLE_1)
	s_or_b32 s10, s0, s10
	s_waitcnt vmcnt(0)
	v_fmac_f16_e32 v3, v5, v5
	s_and_not1_b32 exec_lo, exec_lo, s10
	s_cbranch_execnz .LBB522_2
; %bb.3:
	s_or_b32 exec_lo, exec_lo, s10
.LBB522_4:
	s_delay_alu instid0(SALU_CYCLE_1) | instskip(SKIP_2) | instid1(VALU_DEP_2)
	s_or_b32 exec_lo, exec_lo, s9
	v_and_b32_e32 v5, 31, v0
	v_cmp_gt_u32_e32 vcc_lo, 32, v0
	v_lshlrev_b32_e32 v1, 1, v5
	s_and_saveexec_b32 s0, vcc_lo
	s_cbranch_execz .LBB522_6
; %bb.5:
	v_mov_b32_e32 v2, 0
	ds_store_b16 v1, v2
.LBB522_6:
	s_or_b32 exec_lo, exec_lo, s0
	v_mbcnt_lo_u32_b32 v7, -1, 0
	v_and_b32_e32 v4, 0xffff, v3
	s_mov_b32 s1, exec_lo
	s_waitcnt lgkmcnt(0)
	s_barrier
	v_cmp_gt_u32_e64 s0, 16, v7
	buffer_gl0_inv
	v_cndmask_b32_e64 v2, 0, 1, s0
	v_cmp_gt_u32_e64 s0, 24, v7
	s_delay_alu instid0(VALU_DEP_2) | instskip(NEXT) | instid1(VALU_DEP_2)
	v_lshlrev_b32_e32 v2, 4, v2
	v_cndmask_b32_e64 v6, 0, 1, s0
	v_cmp_gt_u32_e64 s0, 28, v7
	s_delay_alu instid0(VALU_DEP_3) | instskip(SKIP_4) | instid1(VALU_DEP_2)
	v_add_lshl_u32 v2, v2, v7, 2
	ds_bpermute_b32 v4, v2, v4
	s_waitcnt lgkmcnt(0)
	v_add_f16_e32 v8, v3, v4
	v_lshlrev_b32_e32 v3, 3, v6
	v_and_b32_e32 v6, 0xffff, v8
	s_delay_alu instid0(VALU_DEP_2) | instskip(NEXT) | instid1(VALU_DEP_2)
	v_add_lshl_u32 v3, v3, v7, 2
	v_and_or_b32 v4, 0xffff0000, v4, v6
	ds_bpermute_b32 v6, v3, v4
	v_cndmask_b32_e64 v4, 0, 1, s0
	v_cmp_gt_u32_e64 s0, 30, v7
	s_delay_alu instid0(VALU_DEP_2) | instskip(NEXT) | instid1(VALU_DEP_1)
	v_lshlrev_b32_e32 v4, 2, v4
	v_add_lshl_u32 v4, v4, v7, 2
	s_waitcnt lgkmcnt(0)
	v_add_f16_e32 v8, v8, v6
	s_delay_alu instid0(VALU_DEP_1) | instskip(NEXT) | instid1(VALU_DEP_1)
	v_and_b32_e32 v9, 0xffff, v8
	v_and_or_b32 v6, 0xffff0000, v6, v9
	ds_bpermute_b32 v9, v4, v6
	v_cndmask_b32_e64 v6, 0, 1, s0
	v_cmp_ne_u32_e64 s0, 31, v7
	s_delay_alu instid0(VALU_DEP_2) | instskip(NEXT) | instid1(VALU_DEP_1)
	v_lshlrev_b32_e32 v6, 1, v6
	v_add_lshl_u32 v6, v6, v7, 2
	s_delay_alu instid0(VALU_DEP_3) | instskip(NEXT) | instid1(VALU_DEP_1)
	v_add_co_ci_u32_e64 v7, s0, 0, v7, s0
	v_lshlrev_b32_e32 v7, 2, v7
	s_waitcnt lgkmcnt(0)
	v_add_f16_e32 v8, v8, v9
	s_delay_alu instid0(VALU_DEP_1) | instskip(NEXT) | instid1(VALU_DEP_1)
	v_and_b32_e32 v10, 0xffff, v8
	v_and_or_b32 v9, 0xffff0000, v9, v10
	ds_bpermute_b32 v9, v6, v9
	s_waitcnt lgkmcnt(0)
	v_add_f16_e32 v8, v8, v9
	s_delay_alu instid0(VALU_DEP_1) | instskip(NEXT) | instid1(VALU_DEP_1)
	v_and_b32_e32 v10, 0xffff, v8
	v_and_or_b32 v9, 0xffff0000, v9, v10
	ds_bpermute_b32 v9, v7, v9
	v_cmpx_eq_u32_e32 0, v5
	s_cbranch_execz .LBB522_8
; %bb.7:
	v_lshrrev_b32_e32 v5, 4, v0
	s_waitcnt lgkmcnt(0)
	v_add_f16_e32 v8, v8, v9
	s_delay_alu instid0(VALU_DEP_2)
	v_and_b32_e32 v5, 62, v5
	ds_store_b16 v5, v8
.LBB522_8:
	s_or_b32 exec_lo, exec_lo, s1
	v_mov_b32_e32 v5, 0
	s_waitcnt lgkmcnt(0)
	s_barrier
	buffer_gl0_inv
	s_and_saveexec_b32 s0, vcc_lo
	s_cbranch_execz .LBB522_10
; %bb.9:
	ds_load_u16 v5, v1
.LBB522_10:
	s_or_b32 exec_lo, exec_lo, s0
	s_and_saveexec_b32 s0, vcc_lo
	s_cbranch_execz .LBB522_12
; %bb.11:
	s_waitcnt lgkmcnt(0)
	v_and_b32_e32 v1, 0xffff, v5
	ds_bpermute_b32 v1, v2, v1
	s_waitcnt lgkmcnt(0)
	v_add_f16_e32 v2, v5, v1
	s_delay_alu instid0(VALU_DEP_1) | instskip(NEXT) | instid1(VALU_DEP_1)
	v_and_b32_e32 v5, 0xffff, v2
	v_and_or_b32 v1, 0xffff0000, v1, v5
	ds_bpermute_b32 v1, v3, v1
	s_waitcnt lgkmcnt(0)
	v_add_f16_e32 v2, v2, v1
	s_delay_alu instid0(VALU_DEP_1) | instskip(NEXT) | instid1(VALU_DEP_1)
	v_and_b32_e32 v3, 0xffff, v2
	v_and_or_b32 v1, 0xffff0000, v1, v3
	ds_bpermute_b32 v1, v4, v1
	s_waitcnt lgkmcnt(0)
	v_add_f16_e32 v2, v2, v1
	s_delay_alu instid0(VALU_DEP_1) | instskip(NEXT) | instid1(VALU_DEP_1)
	v_and_b32_e32 v3, 0xffff, v2
	v_and_or_b32 v1, 0xffff0000, v1, v3
	ds_bpermute_b32 v1, v6, v1
	s_waitcnt lgkmcnt(0)
	v_add_f16_e32 v2, v2, v1
	s_delay_alu instid0(VALU_DEP_1) | instskip(NEXT) | instid1(VALU_DEP_1)
	v_and_b32_e32 v3, 0xffff, v2
	v_and_or_b32 v1, 0xffff0000, v1, v3
	ds_bpermute_b32 v1, v7, v1
	s_waitcnt lgkmcnt(0)
	v_add_f16_e32 v5, v2, v1
.LBB522_12:
	s_or_b32 exec_lo, exec_lo, s0
	s_delay_alu instid0(SALU_CYCLE_1)
	s_mov_b32 s0, exec_lo
	v_cmpx_eq_u32_e32 0, v0
	s_cbranch_execz .LBB522_14
; %bb.13:
	s_lshl_b64 s[0:1], s[4:5], 1
	v_mov_b32_e32 v0, 0
	s_add_u32 s0, s2, s0
	s_addc_u32 s1, s3, s1
	s_waitcnt lgkmcnt(0)
	global_store_b16 v0, v5, s[0:1]
.LBB522_14:
	s_nop 0
	s_sendmsg sendmsg(MSG_DEALLOC_VGPRS)
	s_endpgm
	.section	.rodata,"a",@progbits
	.p2align	6, 0x0
	.amdhsa_kernel _ZL24rocblas_dot_kernel_magsqIlLb1ELi1024ELi32ELb1EDF16_PKPKDF16_DF16_EviT5_lT_liPT6_PT4_
		.amdhsa_group_segment_fixed_size 64
		.amdhsa_private_segment_fixed_size 0
		.amdhsa_kernarg_size 320
		.amdhsa_user_sgpr_count 14
		.amdhsa_user_sgpr_dispatch_ptr 0
		.amdhsa_user_sgpr_queue_ptr 0
		.amdhsa_user_sgpr_kernarg_segment_ptr 1
		.amdhsa_user_sgpr_dispatch_id 0
		.amdhsa_user_sgpr_private_segment_size 0
		.amdhsa_wavefront_size32 1
		.amdhsa_uses_dynamic_stack 0
		.amdhsa_enable_private_segment 0
		.amdhsa_system_sgpr_workgroup_id_x 1
		.amdhsa_system_sgpr_workgroup_id_y 0
		.amdhsa_system_sgpr_workgroup_id_z 1
		.amdhsa_system_sgpr_workgroup_info 0
		.amdhsa_system_vgpr_workitem_id 0
		.amdhsa_next_free_vgpr 11
		.amdhsa_next_free_sgpr 17
		.amdhsa_reserve_vcc 1
		.amdhsa_float_round_mode_32 0
		.amdhsa_float_round_mode_16_64 0
		.amdhsa_float_denorm_mode_32 3
		.amdhsa_float_denorm_mode_16_64 3
		.amdhsa_dx10_clamp 1
		.amdhsa_ieee_mode 1
		.amdhsa_fp16_overflow 0
		.amdhsa_workgroup_processor_mode 1
		.amdhsa_memory_ordered 1
		.amdhsa_forward_progress 0
		.amdhsa_shared_vgpr_count 0
		.amdhsa_exception_fp_ieee_invalid_op 0
		.amdhsa_exception_fp_denorm_src 0
		.amdhsa_exception_fp_ieee_div_zero 0
		.amdhsa_exception_fp_ieee_overflow 0
		.amdhsa_exception_fp_ieee_underflow 0
		.amdhsa_exception_fp_ieee_inexact 0
		.amdhsa_exception_int_div_zero 0
	.end_amdhsa_kernel
	.section	.text._ZL24rocblas_dot_kernel_magsqIlLb1ELi1024ELi32ELb1EDF16_PKPKDF16_DF16_EviT5_lT_liPT6_PT4_,"axG",@progbits,_ZL24rocblas_dot_kernel_magsqIlLb1ELi1024ELi32ELb1EDF16_PKPKDF16_DF16_EviT5_lT_liPT6_PT4_,comdat
.Lfunc_end522:
	.size	_ZL24rocblas_dot_kernel_magsqIlLb1ELi1024ELi32ELb1EDF16_PKPKDF16_DF16_EviT5_lT_liPT6_PT4_, .Lfunc_end522-_ZL24rocblas_dot_kernel_magsqIlLb1ELi1024ELi32ELb1EDF16_PKPKDF16_DF16_EviT5_lT_liPT6_PT4_
                                        ; -- End function
	.section	.AMDGPU.csdata,"",@progbits
; Kernel info:
; codeLenInByte = 1044
; NumSgprs: 19
; NumVgprs: 11
; ScratchSize: 0
; MemoryBound: 0
; FloatMode: 240
; IeeeMode: 1
; LDSByteSize: 64 bytes/workgroup (compile time only)
; SGPRBlocks: 2
; VGPRBlocks: 1
; NumSGPRsForWavesPerEU: 19
; NumVGPRsForWavesPerEU: 11
; Occupancy: 16
; WaveLimiterHint : 0
; COMPUTE_PGM_RSRC2:SCRATCH_EN: 0
; COMPUTE_PGM_RSRC2:USER_SGPR: 14
; COMPUTE_PGM_RSRC2:TRAP_HANDLER: 0
; COMPUTE_PGM_RSRC2:TGID_X_EN: 1
; COMPUTE_PGM_RSRC2:TGID_Y_EN: 0
; COMPUTE_PGM_RSRC2:TGID_Z_EN: 1
; COMPUTE_PGM_RSRC2:TIDIG_COMP_CNT: 0
	.section	.text._ZL18rocblas_dot_kernelIlLb0ELi512ELi8ELb1EDF16_PKPKDF16_DF16_EviT5_lT_lS4_lS5_liPT6_PT4_,"axG",@progbits,_ZL18rocblas_dot_kernelIlLb0ELi512ELi8ELb1EDF16_PKPKDF16_DF16_EviT5_lT_lS4_lS5_liPT6_PT4_,comdat
	.globl	_ZL18rocblas_dot_kernelIlLb0ELi512ELi8ELb1EDF16_PKPKDF16_DF16_EviT5_lT_lS4_lS5_liPT6_PT4_ ; -- Begin function _ZL18rocblas_dot_kernelIlLb0ELi512ELi8ELb1EDF16_PKPKDF16_DF16_EviT5_lT_lS4_lS5_liPT6_PT4_
	.p2align	8
	.type	_ZL18rocblas_dot_kernelIlLb0ELi512ELi8ELb1EDF16_PKPKDF16_DF16_EviT5_lT_lS4_lS5_liPT6_PT4_,@function
_ZL18rocblas_dot_kernelIlLb0ELi512ELi8ELb1EDF16_PKPKDF16_DF16_EviT5_lT_lS4_lS5_liPT6_PT4_: ; @_ZL18rocblas_dot_kernelIlLb0ELi512ELi8ELb1EDF16_PKPKDF16_DF16_EviT5_lT_lS4_lS5_liPT6_PT4_
; %bb.0:
	s_clause 0x2
	s_load_b32 s12, s[0:1], 0x60
	s_load_b32 s13, s[0:1], 0x0
	s_load_b128 s[4:7], s[0:1], 0x50
	v_lshl_or_b32 v1, s14, 9, v0
	v_mov_b32_e32 v5, 0
	s_mov_b32 s2, s15
	s_mov_b32 s3, 0
	s_mov_b32 s15, exec_lo
	s_waitcnt lgkmcnt(0)
	v_cmpx_gt_i32_e64 s13, v1
	s_cbranch_execz .LBB523_4
; %bb.1:
	s_clause 0x3
	s_load_b64 s[20:21], s[0:1], 0x8
	s_load_b128 s[16:19], s[0:1], 0x10
	s_load_b128 s[8:11], s[0:1], 0x30
	s_load_b64 s[0:1], s[0:1], 0x28
	s_lshl_b64 s[22:23], s[2:3], 3
	v_ashrrev_i32_e32 v4, 31, v1
	s_waitcnt lgkmcnt(0)
	s_add_u32 s20, s20, s22
	s_addc_u32 s21, s21, s23
	v_mul_lo_u32 v9, s19, v1
	s_load_b64 s[20:21], s[20:21], 0x0
	s_add_u32 s22, s0, s22
	s_addc_u32 s23, s1, s23
	v_mul_lo_u32 v10, s18, v4
	v_mad_u64_u32 v[2:3], null, s18, v1, 0
	s_load_b64 s[22:23], s[22:23], 0x0
	v_mul_lo_u32 v11, s11, v1
	v_mul_lo_u32 v4, s10, v4
	v_mad_u64_u32 v[7:8], null, s10, v1, 0
	s_lshl_b64 s[16:17], s[16:17], 1
	s_delay_alu instid0(VALU_DEP_4) | instskip(SKIP_1) | instid1(SALU_CYCLE_1)
	v_add3_u32 v3, v3, v10, v9
	s_lshl_b32 s1, s12, 9
	v_dual_mov_b32 v5, 0 :: v_dual_add_nc_u32 v6, s1, v1
	s_mul_hi_u32 s0, s18, s1
	s_delay_alu instid0(VALU_DEP_3)
	v_add3_u32 v8, v8, v4, v11
	v_lshlrev_b64 v[1:2], 1, v[2:3]
	s_mul_i32 s19, s19, s1
	s_waitcnt lgkmcnt(0)
	s_add_u32 s20, s20, s16
	s_addc_u32 s21, s21, s17
	s_ashr_i32 s28, s1, 31
	v_lshlrev_b64 v[3:4], 1, v[7:8]
	s_mul_i32 s16, s18, s28
	s_mul_i32 s24, s18, s1
	s_add_i32 s0, s0, s16
	s_lshl_b64 s[16:17], s[8:9], 1
	s_add_i32 s25, s0, s19
	v_add_co_u32 v1, vcc_lo, s20, v1
	s_lshl_b64 s[8:9], s[24:25], 1
	s_mul_hi_u32 s27, s10, s1
	s_mul_i32 s26, s10, s1
	s_mul_i32 s0, s10, s28
	s_add_u32 s10, s22, s16
	v_add_co_ci_u32_e32 v2, vcc_lo, s21, v2, vcc_lo
	s_addc_u32 s16, s23, s17
	v_add_co_u32 v3, vcc_lo, s10, v3
	s_mul_i32 s11, s11, s1
	s_add_i32 s0, s27, s0
	v_add_co_ci_u32_e32 v4, vcc_lo, s16, v4, vcc_lo
	s_add_i32 s27, s0, s11
	s_mov_b32 s16, s3
	s_lshl_b64 s[10:11], s[26:27], 1
	s_mov_b32 s17, s3
	.p2align	6
.LBB523_2:                              ; =>This Inner Loop Header: Depth=1
	global_load_u16 v7, v[3:4], off
	global_load_u16 v8, v[1:2], off
	v_add_co_u32 v1, s0, v1, s8
	s_delay_alu instid0(VALU_DEP_1)
	v_add_co_ci_u32_e64 v2, s0, s9, v2, s0
	s_add_i32 s18, s17, 1
	v_cmp_le_i32_e32 vcc_lo, s13, v6
	v_add_co_u32 v3, s0, v3, s10
	s_cmp_gt_u32 s17, 6
	v_add_co_ci_u32_e64 v4, s0, s11, v4, s0
	s_cselect_b32 s0, -1, 0
	v_add_nc_u32_e32 v6, s1, v6
	s_or_b32 s0, s0, vcc_lo
	s_mov_b32 s17, s18
	s_and_b32 s0, exec_lo, s0
	s_delay_alu instid0(SALU_CYCLE_1)
	s_or_b32 s16, s0, s16
	s_waitcnt vmcnt(0)
	v_fmac_f16_e32 v5, v7, v8
	s_and_not1_b32 exec_lo, exec_lo, s16
	s_cbranch_execnz .LBB523_2
; %bb.3:
	s_or_b32 exec_lo, exec_lo, s16
.LBB523_4:
	s_delay_alu instid0(SALU_CYCLE_1) | instskip(SKIP_2) | instid1(VALU_DEP_2)
	s_or_b32 exec_lo, exec_lo, s15
	v_and_b32_e32 v2, 31, v0
	v_cmp_gt_u32_e32 vcc_lo, 32, v0
	v_lshlrev_b32_e32 v1, 1, v2
	s_and_saveexec_b32 s0, vcc_lo
	s_cbranch_execz .LBB523_6
; %bb.5:
	v_mov_b32_e32 v3, 0
	ds_store_b16 v1, v3
.LBB523_6:
	s_or_b32 exec_lo, exec_lo, s0
	v_mbcnt_lo_u32_b32 v6, -1, 0
	v_and_b32_e32 v4, 0xffff, v5
	s_mov_b32 s1, exec_lo
	s_waitcnt lgkmcnt(0)
	s_barrier
	v_cmp_gt_u32_e64 s0, 16, v6
	buffer_gl0_inv
	v_cndmask_b32_e64 v3, 0, 1, s0
	v_cmp_gt_u32_e64 s0, 24, v6
	s_delay_alu instid0(VALU_DEP_2) | instskip(NEXT) | instid1(VALU_DEP_1)
	v_lshlrev_b32_e32 v3, 4, v3
	v_add_lshl_u32 v3, v3, v6, 2
	ds_bpermute_b32 v4, v3, v4
	v_cndmask_b32_e64 v3, 0, 1, s0
	v_cmp_gt_u32_e64 s0, 28, v6
	s_delay_alu instid0(VALU_DEP_2) | instskip(NEXT) | instid1(VALU_DEP_1)
	v_lshlrev_b32_e32 v3, 3, v3
	v_add_lshl_u32 v3, v3, v6, 2
	s_waitcnt lgkmcnt(0)
	v_add_f16_e32 v5, v5, v4
	s_delay_alu instid0(VALU_DEP_1) | instskip(NEXT) | instid1(VALU_DEP_1)
	v_and_b32_e32 v7, 0xffff, v5
	v_and_or_b32 v4, 0xffff0000, v4, v7
	ds_bpermute_b32 v7, v3, v4
	v_cndmask_b32_e64 v4, 0, 1, s0
	v_cmp_gt_u32_e64 s0, 30, v6
	s_delay_alu instid0(VALU_DEP_2) | instskip(NEXT) | instid1(VALU_DEP_1)
	v_lshlrev_b32_e32 v4, 2, v4
	v_add_lshl_u32 v4, v4, v6, 2
	s_waitcnt lgkmcnt(0)
	v_add_f16_e32 v5, v5, v7
	s_delay_alu instid0(VALU_DEP_1) | instskip(NEXT) | instid1(VALU_DEP_1)
	v_and_b32_e32 v8, 0xffff, v5
	v_and_or_b32 v7, 0xffff0000, v7, v8
	v_cndmask_b32_e64 v8, 0, 1, s0
	v_cmp_ne_u32_e64 s0, 31, v6
	ds_bpermute_b32 v7, v4, v7
	s_waitcnt lgkmcnt(0)
	v_add_f16_e32 v9, v5, v7
	v_lshlrev_b32_e32 v5, 1, v8
	s_delay_alu instid0(VALU_DEP_2) | instskip(NEXT) | instid1(VALU_DEP_2)
	v_and_b32_e32 v8, 0xffff, v9
	v_add_lshl_u32 v5, v5, v6, 2
	v_add_co_ci_u32_e64 v6, s0, 0, v6, s0
	s_delay_alu instid0(VALU_DEP_3) | instskip(NEXT) | instid1(VALU_DEP_2)
	v_and_or_b32 v7, 0xffff0000, v7, v8
	v_lshlrev_b32_e32 v6, 2, v6
	ds_bpermute_b32 v8, v5, v7
	s_waitcnt lgkmcnt(0)
	v_add_f16_e32 v7, v9, v8
	s_delay_alu instid0(VALU_DEP_1) | instskip(NEXT) | instid1(VALU_DEP_1)
	v_and_b32_e32 v9, 0xffff, v7
	v_and_or_b32 v8, 0xffff0000, v8, v9
	ds_bpermute_b32 v8, v6, v8
	v_cmpx_eq_u32_e32 0, v2
	s_cbranch_execz .LBB523_8
; %bb.7:
	v_lshrrev_b32_e32 v2, 4, v0
	s_waitcnt lgkmcnt(0)
	v_add_f16_e32 v7, v7, v8
	s_delay_alu instid0(VALU_DEP_2)
	v_and_b32_e32 v2, 30, v2
	ds_store_b16 v2, v7
.LBB523_8:
	s_or_b32 exec_lo, exec_lo, s1
	v_mov_b32_e32 v2, 0
	s_mov_b32 s1, exec_lo
	s_waitcnt lgkmcnt(0)
	s_barrier
	buffer_gl0_inv
	v_cmpx_gt_u32_e32 16, v0
	s_cbranch_execz .LBB523_10
; %bb.9:
	ds_load_u16 v2, v1
.LBB523_10:
	s_or_b32 exec_lo, exec_lo, s1
	s_and_saveexec_b32 s0, vcc_lo
	s_cbranch_execz .LBB523_12
; %bb.11:
	s_waitcnt lgkmcnt(0)
	v_and_b32_e32 v1, 0xffff, v2
	ds_bpermute_b32 v1, v3, v1
	s_waitcnt lgkmcnt(0)
	v_add_f16_e32 v2, v2, v1
	s_delay_alu instid0(VALU_DEP_1) | instskip(NEXT) | instid1(VALU_DEP_1)
	v_and_b32_e32 v3, 0xffff, v2
	v_and_or_b32 v1, 0xffff0000, v1, v3
	ds_bpermute_b32 v1, v4, v1
	s_waitcnt lgkmcnt(0)
	v_add_f16_e32 v2, v2, v1
	s_delay_alu instid0(VALU_DEP_1) | instskip(NEXT) | instid1(VALU_DEP_1)
	v_and_b32_e32 v3, 0xffff, v2
	v_and_or_b32 v1, 0xffff0000, v1, v3
	;; [unrolled: 6-line block ×3, first 2 shown]
	ds_bpermute_b32 v1, v6, v1
	s_waitcnt lgkmcnt(0)
	v_add_f16_e32 v2, v2, v1
.LBB523_12:
	s_or_b32 exec_lo, exec_lo, s0
	s_delay_alu instid0(SALU_CYCLE_1)
	s_mov_b32 s0, exec_lo
	v_cmpx_eq_u32_e32 0, v0
	s_cbranch_execz .LBB523_18
; %bb.13:
	s_cmp_lg_u32 s12, 1
	s_cbranch_scc0 .LBB523_15
; %bb.14:
	s_mul_hi_u32 s1, s12, s2
	s_mul_i32 s0, s12, s2
	s_mov_b32 s15, 0
	s_lshl_b64 s[0:1], s[0:1], 1
	s_delay_alu instid0(SALU_CYCLE_1) | instskip(SKIP_2) | instid1(SALU_CYCLE_1)
	s_add_u32 s4, s4, s0
	s_addc_u32 s5, s5, s1
	s_lshl_b64 s[0:1], s[14:15], 1
	s_add_u32 s0, s4, s0
	s_addc_u32 s1, s5, s1
	s_cbranch_execz .LBB523_16
	s_branch .LBB523_17
.LBB523_15:
                                        ; implicit-def: $sgpr0_sgpr1
.LBB523_16:
	s_lshl_b64 s[0:1], s[2:3], 1
	s_delay_alu instid0(SALU_CYCLE_1)
	s_add_u32 s0, s6, s0
	s_addc_u32 s1, s7, s1
.LBB523_17:
	v_mov_b32_e32 v0, 0
	s_waitcnt lgkmcnt(0)
	global_store_b16 v0, v2, s[0:1]
.LBB523_18:
	s_nop 0
	s_sendmsg sendmsg(MSG_DEALLOC_VGPRS)
	s_endpgm
	.section	.rodata,"a",@progbits
	.p2align	6, 0x0
	.amdhsa_kernel _ZL18rocblas_dot_kernelIlLb0ELi512ELi8ELb1EDF16_PKPKDF16_DF16_EviT5_lT_lS4_lS5_liPT6_PT4_
		.amdhsa_group_segment_fixed_size 64
		.amdhsa_private_segment_fixed_size 0
		.amdhsa_kernarg_size 352
		.amdhsa_user_sgpr_count 14
		.amdhsa_user_sgpr_dispatch_ptr 0
		.amdhsa_user_sgpr_queue_ptr 0
		.amdhsa_user_sgpr_kernarg_segment_ptr 1
		.amdhsa_user_sgpr_dispatch_id 0
		.amdhsa_user_sgpr_private_segment_size 0
		.amdhsa_wavefront_size32 1
		.amdhsa_uses_dynamic_stack 0
		.amdhsa_enable_private_segment 0
		.amdhsa_system_sgpr_workgroup_id_x 1
		.amdhsa_system_sgpr_workgroup_id_y 0
		.amdhsa_system_sgpr_workgroup_id_z 1
		.amdhsa_system_sgpr_workgroup_info 0
		.amdhsa_system_vgpr_workitem_id 0
		.amdhsa_next_free_vgpr 12
		.amdhsa_next_free_sgpr 29
		.amdhsa_reserve_vcc 1
		.amdhsa_float_round_mode_32 0
		.amdhsa_float_round_mode_16_64 0
		.amdhsa_float_denorm_mode_32 3
		.amdhsa_float_denorm_mode_16_64 3
		.amdhsa_dx10_clamp 1
		.amdhsa_ieee_mode 1
		.amdhsa_fp16_overflow 0
		.amdhsa_workgroup_processor_mode 1
		.amdhsa_memory_ordered 1
		.amdhsa_forward_progress 0
		.amdhsa_shared_vgpr_count 0
		.amdhsa_exception_fp_ieee_invalid_op 0
		.amdhsa_exception_fp_denorm_src 0
		.amdhsa_exception_fp_ieee_div_zero 0
		.amdhsa_exception_fp_ieee_overflow 0
		.amdhsa_exception_fp_ieee_underflow 0
		.amdhsa_exception_fp_ieee_inexact 0
		.amdhsa_exception_int_div_zero 0
	.end_amdhsa_kernel
	.section	.text._ZL18rocblas_dot_kernelIlLb0ELi512ELi8ELb1EDF16_PKPKDF16_DF16_EviT5_lT_lS4_lS5_liPT6_PT4_,"axG",@progbits,_ZL18rocblas_dot_kernelIlLb0ELi512ELi8ELb1EDF16_PKPKDF16_DF16_EviT5_lT_lS4_lS5_liPT6_PT4_,comdat
.Lfunc_end523:
	.size	_ZL18rocblas_dot_kernelIlLb0ELi512ELi8ELb1EDF16_PKPKDF16_DF16_EviT5_lT_lS4_lS5_liPT6_PT4_, .Lfunc_end523-_ZL18rocblas_dot_kernelIlLb0ELi512ELi8ELb1EDF16_PKPKDF16_DF16_EviT5_lT_lS4_lS5_liPT6_PT4_
                                        ; -- End function
	.section	.AMDGPU.csdata,"",@progbits
; Kernel info:
; codeLenInByte = 1236
; NumSgprs: 31
; NumVgprs: 12
; ScratchSize: 0
; MemoryBound: 0
; FloatMode: 240
; IeeeMode: 1
; LDSByteSize: 64 bytes/workgroup (compile time only)
; SGPRBlocks: 3
; VGPRBlocks: 1
; NumSGPRsForWavesPerEU: 31
; NumVGPRsForWavesPerEU: 12
; Occupancy: 16
; WaveLimiterHint : 0
; COMPUTE_PGM_RSRC2:SCRATCH_EN: 0
; COMPUTE_PGM_RSRC2:USER_SGPR: 14
; COMPUTE_PGM_RSRC2:TRAP_HANDLER: 0
; COMPUTE_PGM_RSRC2:TGID_X_EN: 1
; COMPUTE_PGM_RSRC2:TGID_Y_EN: 0
; COMPUTE_PGM_RSRC2:TGID_Z_EN: 1
; COMPUTE_PGM_RSRC2:TIDIG_COMP_CNT: 0
	.section	.text._ZL24rocblas_dot_kernel_magsqIlLb0ELi512ELi8ELb1EDF16_PKPKDF16_DF16_EviT5_lT_liPT6_PT4_,"axG",@progbits,_ZL24rocblas_dot_kernel_magsqIlLb0ELi512ELi8ELb1EDF16_PKPKDF16_DF16_EviT5_lT_liPT6_PT4_,comdat
	.globl	_ZL24rocblas_dot_kernel_magsqIlLb0ELi512ELi8ELb1EDF16_PKPKDF16_DF16_EviT5_lT_liPT6_PT4_ ; -- Begin function _ZL24rocblas_dot_kernel_magsqIlLb0ELi512ELi8ELb1EDF16_PKPKDF16_DF16_EviT5_lT_liPT6_PT4_
	.p2align	8
	.type	_ZL24rocblas_dot_kernel_magsqIlLb0ELi512ELi8ELb1EDF16_PKPKDF16_DF16_EviT5_lT_liPT6_PT4_,@function
_ZL24rocblas_dot_kernel_magsqIlLb0ELi512ELi8ELb1EDF16_PKPKDF16_DF16_EviT5_lT_liPT6_PT4_: ; @_ZL24rocblas_dot_kernel_magsqIlLb0ELi512ELi8ELb1EDF16_PKPKDF16_DF16_EviT5_lT_liPT6_PT4_
; %bb.0:
	s_clause 0x2
	s_load_b32 s11, s[0:1], 0x0
	s_load_b128 s[4:7], s[0:1], 0x30
	s_load_b32 s10, s[0:1], 0x40
	v_lshl_or_b32 v1, s14, 9, v0
	v_mov_b32_e32 v3, 0
	s_mov_b32 s8, s15
	s_mov_b32 s9, 0
	s_mov_b32 s12, exec_lo
	s_waitcnt lgkmcnt(0)
	v_cmpx_gt_i32_e64 s11, v1
	s_cbranch_execz .LBB524_4
; %bb.1:
	s_clause 0x1
	s_load_b64 s[16:17], s[0:1], 0x8
	s_load_b128 s[0:3], s[0:1], 0x10
	s_lshl_b64 s[18:19], s[8:9], 3
	v_ashrrev_i32_e32 v2, 31, v1
	s_waitcnt lgkmcnt(0)
	s_add_u32 s16, s16, s18
	s_addc_u32 s17, s17, s19
	v_mul_lo_u32 v4, s3, v1
	s_load_b64 s[16:17], s[16:17], 0x0
	v_mul_lo_u32 v2, s2, v2
	v_mad_u64_u32 v[5:6], null, s2, v1, 0
	s_lshl_b32 s13, s10, 9
	v_mov_b32_e32 v3, 0
	s_lshl_b64 s[0:1], s[0:1], 1
	s_mul_hi_u32 s15, s2, s13
	s_mul_i32 s3, s3, s13
	s_delay_alu instid0(VALU_DEP_2) | instskip(SKIP_1) | instid1(VALU_DEP_2)
	v_add3_u32 v6, v6, v2, v4
	v_add_nc_u32_e32 v4, s13, v1
	v_lshlrev_b64 v[1:2], 1, v[5:6]
	s_waitcnt lgkmcnt(0)
	s_add_u32 s0, s16, s0
	s_addc_u32 s1, s17, s1
	s_ashr_i32 s16, s13, 31
	s_delay_alu instid0(VALU_DEP_1)
	v_add_co_u32 v1, vcc_lo, s0, v1
	s_mul_i32 s16, s2, s16
	v_add_co_ci_u32_e32 v2, vcc_lo, s1, v2, vcc_lo
	s_add_i32 s15, s15, s16
	s_mul_i32 s2, s2, s13
	s_add_i32 s3, s15, s3
	s_mov_b32 s1, s9
	s_lshl_b64 s[2:3], s[2:3], 1
	s_mov_b32 s15, s9
	.p2align	6
.LBB524_2:                              ; =>This Inner Loop Header: Depth=1
	global_load_u16 v5, v[1:2], off
	s_add_i32 s16, s15, 1
	v_cmp_le_i32_e32 vcc_lo, s11, v4
	v_add_co_u32 v1, s0, v1, s2
	s_cmp_gt_u32 s15, 6
	v_add_co_ci_u32_e64 v2, s0, s3, v2, s0
	s_cselect_b32 s0, -1, 0
	v_add_nc_u32_e32 v4, s13, v4
	s_or_b32 s0, s0, vcc_lo
	s_mov_b32 s15, s16
	s_and_b32 s0, exec_lo, s0
	s_delay_alu instid0(SALU_CYCLE_1)
	s_or_b32 s1, s0, s1
	s_waitcnt vmcnt(0)
	v_fmac_f16_e32 v3, v5, v5
	s_and_not1_b32 exec_lo, exec_lo, s1
	s_cbranch_execnz .LBB524_2
; %bb.3:
	s_or_b32 exec_lo, exec_lo, s1
.LBB524_4:
	s_delay_alu instid0(SALU_CYCLE_1) | instskip(SKIP_2) | instid1(VALU_DEP_2)
	s_or_b32 exec_lo, exec_lo, s12
	v_and_b32_e32 v2, 31, v0
	v_cmp_gt_u32_e32 vcc_lo, 32, v0
	v_lshlrev_b32_e32 v1, 1, v2
	s_and_saveexec_b32 s0, vcc_lo
	s_cbranch_execz .LBB524_6
; %bb.5:
	v_mov_b32_e32 v4, 0
	ds_store_b16 v1, v4
.LBB524_6:
	s_or_b32 exec_lo, exec_lo, s0
	v_mbcnt_lo_u32_b32 v6, -1, 0
	v_and_b32_e32 v5, 0xffff, v3
	s_mov_b32 s1, exec_lo
	s_waitcnt lgkmcnt(0)
	s_barrier
	v_cmp_gt_u32_e64 s0, 16, v6
	buffer_gl0_inv
	v_cndmask_b32_e64 v4, 0, 1, s0
	v_cmp_gt_u32_e64 s0, 24, v6
	s_delay_alu instid0(VALU_DEP_2) | instskip(NEXT) | instid1(VALU_DEP_1)
	v_lshlrev_b32_e32 v4, 4, v4
	v_add_lshl_u32 v4, v4, v6, 2
	ds_bpermute_b32 v4, v4, v5
	v_cndmask_b32_e64 v5, 0, 1, s0
	v_cmp_gt_u32_e64 s0, 28, v6
	s_waitcnt lgkmcnt(0)
	v_add_f16_e32 v7, v3, v4
	s_delay_alu instid0(VALU_DEP_3) | instskip(NEXT) | instid1(VALU_DEP_2)
	v_lshlrev_b32_e32 v3, 3, v5
	v_and_b32_e32 v5, 0xffff, v7
	s_delay_alu instid0(VALU_DEP_2) | instskip(NEXT) | instid1(VALU_DEP_2)
	v_add_lshl_u32 v3, v3, v6, 2
	v_and_or_b32 v4, 0xffff0000, v4, v5
	ds_bpermute_b32 v5, v3, v4
	v_cndmask_b32_e64 v4, 0, 1, s0
	v_cmp_gt_u32_e64 s0, 30, v6
	s_delay_alu instid0(VALU_DEP_2) | instskip(NEXT) | instid1(VALU_DEP_1)
	v_lshlrev_b32_e32 v4, 2, v4
	v_add_lshl_u32 v4, v4, v6, 2
	s_waitcnt lgkmcnt(0)
	v_add_f16_e32 v7, v7, v5
	s_delay_alu instid0(VALU_DEP_1) | instskip(NEXT) | instid1(VALU_DEP_1)
	v_and_b32_e32 v8, 0xffff, v7
	v_and_or_b32 v5, 0xffff0000, v5, v8
	ds_bpermute_b32 v8, v4, v5
	v_cndmask_b32_e64 v5, 0, 1, s0
	v_cmp_ne_u32_e64 s0, 31, v6
	s_delay_alu instid0(VALU_DEP_2) | instskip(NEXT) | instid1(VALU_DEP_1)
	v_lshlrev_b32_e32 v5, 1, v5
	v_add_lshl_u32 v5, v5, v6, 2
	s_delay_alu instid0(VALU_DEP_3) | instskip(NEXT) | instid1(VALU_DEP_1)
	v_add_co_ci_u32_e64 v6, s0, 0, v6, s0
	v_lshlrev_b32_e32 v6, 2, v6
	s_waitcnt lgkmcnt(0)
	v_add_f16_e32 v7, v7, v8
	s_delay_alu instid0(VALU_DEP_1) | instskip(NEXT) | instid1(VALU_DEP_1)
	v_and_b32_e32 v9, 0xffff, v7
	v_and_or_b32 v8, 0xffff0000, v8, v9
	ds_bpermute_b32 v8, v5, v8
	s_waitcnt lgkmcnt(0)
	v_add_f16_e32 v7, v7, v8
	s_delay_alu instid0(VALU_DEP_1) | instskip(NEXT) | instid1(VALU_DEP_1)
	v_and_b32_e32 v9, 0xffff, v7
	v_and_or_b32 v8, 0xffff0000, v8, v9
	ds_bpermute_b32 v8, v6, v8
	v_cmpx_eq_u32_e32 0, v2
	s_cbranch_execz .LBB524_8
; %bb.7:
	v_lshrrev_b32_e32 v2, 4, v0
	s_waitcnt lgkmcnt(0)
	v_add_f16_e32 v7, v7, v8
	s_delay_alu instid0(VALU_DEP_2)
	v_and_b32_e32 v2, 30, v2
	ds_store_b16 v2, v7
.LBB524_8:
	s_or_b32 exec_lo, exec_lo, s1
	v_mov_b32_e32 v2, 0
	s_mov_b32 s1, exec_lo
	s_waitcnt lgkmcnt(0)
	s_barrier
	buffer_gl0_inv
	v_cmpx_gt_u32_e32 16, v0
	s_cbranch_execz .LBB524_10
; %bb.9:
	ds_load_u16 v2, v1
.LBB524_10:
	s_or_b32 exec_lo, exec_lo, s1
	s_and_saveexec_b32 s0, vcc_lo
	s_cbranch_execz .LBB524_12
; %bb.11:
	s_waitcnt lgkmcnt(0)
	v_and_b32_e32 v1, 0xffff, v2
	ds_bpermute_b32 v1, v3, v1
	s_waitcnt lgkmcnt(0)
	v_add_f16_e32 v2, v2, v1
	s_delay_alu instid0(VALU_DEP_1) | instskip(NEXT) | instid1(VALU_DEP_1)
	v_and_b32_e32 v3, 0xffff, v2
	v_and_or_b32 v1, 0xffff0000, v1, v3
	ds_bpermute_b32 v1, v4, v1
	s_waitcnt lgkmcnt(0)
	v_add_f16_e32 v2, v2, v1
	s_delay_alu instid0(VALU_DEP_1) | instskip(NEXT) | instid1(VALU_DEP_1)
	v_and_b32_e32 v3, 0xffff, v2
	v_and_or_b32 v1, 0xffff0000, v1, v3
	;; [unrolled: 6-line block ×3, first 2 shown]
	ds_bpermute_b32 v1, v6, v1
	s_waitcnt lgkmcnt(0)
	v_add_f16_e32 v2, v2, v1
.LBB524_12:
	s_or_b32 exec_lo, exec_lo, s0
	s_delay_alu instid0(SALU_CYCLE_1)
	s_mov_b32 s0, exec_lo
	v_cmpx_eq_u32_e32 0, v0
	s_cbranch_execz .LBB524_18
; %bb.13:
	s_cmp_lg_u32 s10, 1
	s_cbranch_scc0 .LBB524_15
; %bb.14:
	s_mul_hi_u32 s1, s10, s8
	s_mul_i32 s0, s10, s8
	s_mov_b32 s15, 0
	s_lshl_b64 s[0:1], s[0:1], 1
	s_delay_alu instid0(SALU_CYCLE_1) | instskip(SKIP_2) | instid1(SALU_CYCLE_1)
	s_add_u32 s2, s4, s0
	s_addc_u32 s3, s5, s1
	s_lshl_b64 s[0:1], s[14:15], 1
	s_add_u32 s0, s2, s0
	s_addc_u32 s1, s3, s1
	s_cbranch_execz .LBB524_16
	s_branch .LBB524_17
.LBB524_15:
                                        ; implicit-def: $sgpr0_sgpr1
.LBB524_16:
	s_lshl_b64 s[0:1], s[8:9], 1
	s_delay_alu instid0(SALU_CYCLE_1)
	s_add_u32 s0, s6, s0
	s_addc_u32 s1, s7, s1
.LBB524_17:
	v_mov_b32_e32 v0, 0
	s_waitcnt lgkmcnt(0)
	global_store_b16 v0, v2, s[0:1]
.LBB524_18:
	s_nop 0
	s_sendmsg sendmsg(MSG_DEALLOC_VGPRS)
	s_endpgm
	.section	.rodata,"a",@progbits
	.p2align	6, 0x0
	.amdhsa_kernel _ZL24rocblas_dot_kernel_magsqIlLb0ELi512ELi8ELb1EDF16_PKPKDF16_DF16_EviT5_lT_liPT6_PT4_
		.amdhsa_group_segment_fixed_size 64
		.amdhsa_private_segment_fixed_size 0
		.amdhsa_kernarg_size 320
		.amdhsa_user_sgpr_count 14
		.amdhsa_user_sgpr_dispatch_ptr 0
		.amdhsa_user_sgpr_queue_ptr 0
		.amdhsa_user_sgpr_kernarg_segment_ptr 1
		.amdhsa_user_sgpr_dispatch_id 0
		.amdhsa_user_sgpr_private_segment_size 0
		.amdhsa_wavefront_size32 1
		.amdhsa_uses_dynamic_stack 0
		.amdhsa_enable_private_segment 0
		.amdhsa_system_sgpr_workgroup_id_x 1
		.amdhsa_system_sgpr_workgroup_id_y 0
		.amdhsa_system_sgpr_workgroup_id_z 1
		.amdhsa_system_sgpr_workgroup_info 0
		.amdhsa_system_vgpr_workitem_id 0
		.amdhsa_next_free_vgpr 10
		.amdhsa_next_free_sgpr 20
		.amdhsa_reserve_vcc 1
		.amdhsa_float_round_mode_32 0
		.amdhsa_float_round_mode_16_64 0
		.amdhsa_float_denorm_mode_32 3
		.amdhsa_float_denorm_mode_16_64 3
		.amdhsa_dx10_clamp 1
		.amdhsa_ieee_mode 1
		.amdhsa_fp16_overflow 0
		.amdhsa_workgroup_processor_mode 1
		.amdhsa_memory_ordered 1
		.amdhsa_forward_progress 0
		.amdhsa_shared_vgpr_count 0
		.amdhsa_exception_fp_ieee_invalid_op 0
		.amdhsa_exception_fp_denorm_src 0
		.amdhsa_exception_fp_ieee_div_zero 0
		.amdhsa_exception_fp_ieee_overflow 0
		.amdhsa_exception_fp_ieee_underflow 0
		.amdhsa_exception_fp_ieee_inexact 0
		.amdhsa_exception_int_div_zero 0
	.end_amdhsa_kernel
	.section	.text._ZL24rocblas_dot_kernel_magsqIlLb0ELi512ELi8ELb1EDF16_PKPKDF16_DF16_EviT5_lT_liPT6_PT4_,"axG",@progbits,_ZL24rocblas_dot_kernel_magsqIlLb0ELi512ELi8ELb1EDF16_PKPKDF16_DF16_EviT5_lT_liPT6_PT4_,comdat
.Lfunc_end524:
	.size	_ZL24rocblas_dot_kernel_magsqIlLb0ELi512ELi8ELb1EDF16_PKPKDF16_DF16_EviT5_lT_liPT6_PT4_, .Lfunc_end524-_ZL24rocblas_dot_kernel_magsqIlLb0ELi512ELi8ELb1EDF16_PKPKDF16_DF16_EviT5_lT_liPT6_PT4_
                                        ; -- End function
	.section	.AMDGPU.csdata,"",@progbits
; Kernel info:
; codeLenInByte = 1088
; NumSgprs: 22
; NumVgprs: 10
; ScratchSize: 0
; MemoryBound: 0
; FloatMode: 240
; IeeeMode: 1
; LDSByteSize: 64 bytes/workgroup (compile time only)
; SGPRBlocks: 2
; VGPRBlocks: 1
; NumSGPRsForWavesPerEU: 22
; NumVGPRsForWavesPerEU: 10
; Occupancy: 16
; WaveLimiterHint : 0
; COMPUTE_PGM_RSRC2:SCRATCH_EN: 0
; COMPUTE_PGM_RSRC2:USER_SGPR: 14
; COMPUTE_PGM_RSRC2:TRAP_HANDLER: 0
; COMPUTE_PGM_RSRC2:TGID_X_EN: 1
; COMPUTE_PGM_RSRC2:TGID_Y_EN: 0
; COMPUTE_PGM_RSRC2:TGID_Z_EN: 1
; COMPUTE_PGM_RSRC2:TIDIG_COMP_CNT: 0
	.section	.text._ZL28rocblas_dot_batched_4_kernelIiLi32ELi4ELb1Ef16rocblas_bfloat16PKS0_EviT5_lT_lS3_lS4_liPT4_,"axG",@progbits,_ZL28rocblas_dot_batched_4_kernelIiLi32ELi4ELb1Ef16rocblas_bfloat16PKS0_EviT5_lT_lS3_lS4_liPT4_,comdat
	.globl	_ZL28rocblas_dot_batched_4_kernelIiLi32ELi4ELb1Ef16rocblas_bfloat16PKS0_EviT5_lT_lS3_lS4_liPT4_ ; -- Begin function _ZL28rocblas_dot_batched_4_kernelIiLi32ELi4ELb1Ef16rocblas_bfloat16PKS0_EviT5_lT_lS3_lS4_liPT4_
	.p2align	8
	.type	_ZL28rocblas_dot_batched_4_kernelIiLi32ELi4ELb1Ef16rocblas_bfloat16PKS0_EviT5_lT_lS3_lS4_liPT4_,@function
_ZL28rocblas_dot_batched_4_kernelIiLi32ELi4ELb1Ef16rocblas_bfloat16PKS0_EviT5_lT_lS3_lS4_liPT4_: ; @_ZL28rocblas_dot_batched_4_kernelIiLi32ELi4ELb1Ef16rocblas_bfloat16PKS0_EviT5_lT_lS3_lS4_liPT4_
; %bb.0:
	s_load_b32 s2, s[0:1], 0x48
	v_bfe_u32 v1, v0, 10, 10
	s_delay_alu instid0(VALU_DEP_1) | instskip(SKIP_1) | instid1(VALU_DEP_1)
	v_lshl_add_u32 v1, s15, 2, v1
	s_waitcnt lgkmcnt(0)
	v_cmp_gt_u32_e32 vcc_lo, s2, v1
	s_and_saveexec_b32 s2, vcc_lo
	s_cbranch_execz .LBB525_11
; %bb.1:
	s_clause 0x1
	s_load_b32 s12, s[0:1], 0x0
	s_load_b64 s[2:3], s[0:1], 0x50
	v_mov_b32_e32 v2, 0
	v_and_b32_e32 v0, 0x3ff, v0
	s_mov_b32 s13, exec_lo
	s_delay_alu instid0(VALU_DEP_2) | instskip(SKIP_1) | instid1(VALU_DEP_2)
	v_mov_b32_e32 v7, v2
	s_waitcnt lgkmcnt(0)
	v_cmpx_gt_i32_e64 s12, v0
	s_cbranch_execz .LBB525_5
; %bb.2:
	s_clause 0x5
	s_load_b128 s[4:7], s[0:1], 0x20
	s_load_b64 s[14:15], s[0:1], 0x40
	s_load_b32 s16, s[0:1], 0x18
	s_load_b32 s18, s[0:1], 0x38
	s_load_b128 s[8:11], s[0:1], 0x8
	s_load_b64 s[0:1], s[0:1], 0x30
	s_waitcnt lgkmcnt(0)
	v_mad_u64_u32 v[3:4], null, s4, v1, 0
	v_mad_u64_u32 v[5:6], null, s14, v1, 0
	v_mad_i64_i32 v[8:9], null, s16, v0, 0
	s_ashr_i32 s17, s16, 31
	s_ashr_i32 s19, s18, 31
	s_delay_alu instid0(VALU_DEP_2) | instskip(SKIP_1) | instid1(VALU_DEP_3)
	v_mad_u64_u32 v[10:11], null, s5, v1, v[4:5]
	v_mov_b32_e32 v7, 0
	v_lshlrev_b64 v[8:9], 1, v[8:9]
	s_lshl_b64 s[4:5], s[10:11], 1
	s_delay_alu instid0(SALU_CYCLE_1) | instskip(SKIP_1) | instid1(VALU_DEP_3)
	s_add_u32 s8, s8, s4
	s_addc_u32 s9, s9, s5
	v_mov_b32_e32 v4, v10
	v_mad_u64_u32 v[11:12], null, s15, v1, v[6:7]
	v_mad_i64_i32 v[12:13], null, s18, v0, 0
	s_delay_alu instid0(VALU_DEP_3) | instskip(SKIP_3) | instid1(VALU_DEP_3)
	v_lshlrev_b64 v[3:4], 1, v[3:4]
	s_lshl_b64 s[0:1], s[0:1], 1
	s_lshl_b64 s[4:5], s[16:17], 6
	s_add_u32 s0, s6, s0
	v_mov_b32_e32 v6, v11
	s_addc_u32 s1, s7, s1
	s_delay_alu instid0(VALU_DEP_3) | instskip(SKIP_1) | instid1(VALU_DEP_3)
	v_lshlrev_b64 v[10:11], 1, v[12:13]
	v_add_co_u32 v3, vcc_lo, v8, v3
	v_lshlrev_b64 v[5:6], 1, v[5:6]
	v_add_co_ci_u32_e32 v4, vcc_lo, v9, v4, vcc_lo
	v_mov_b32_e32 v8, v0
	s_lshl_b64 s[6:7], s[18:19], 6
	s_delay_alu instid0(VALU_DEP_3) | instskip(NEXT) | instid1(VALU_DEP_4)
	v_add_co_u32 v5, vcc_lo, v10, v5
	v_add_co_ci_u32_e32 v6, vcc_lo, v11, v6, vcc_lo
	v_add_co_u32 v3, vcc_lo, s8, v3
	v_add_co_ci_u32_e32 v4, vcc_lo, s9, v4, vcc_lo
	s_delay_alu instid0(VALU_DEP_4) | instskip(NEXT) | instid1(VALU_DEP_4)
	v_add_co_u32 v5, vcc_lo, s0, v5
	v_add_co_ci_u32_e32 v6, vcc_lo, s1, v6, vcc_lo
	s_mov_b32 s1, 0
	.p2align	6
.LBB525_3:                              ; =>This Inner Loop Header: Depth=1
	global_load_u16 v9, v[5:6], off
	global_load_u16 v10, v[3:4], off
	v_add_co_u32 v3, vcc_lo, v3, s4
	v_add_co_ci_u32_e32 v4, vcc_lo, s5, v4, vcc_lo
	v_add_co_u32 v5, vcc_lo, v5, s6
	v_add_co_ci_u32_e32 v6, vcc_lo, s7, v6, vcc_lo
	s_waitcnt vmcnt(1)
	v_lshlrev_b32_e32 v9, 16, v9
	s_waitcnt vmcnt(0)
	v_lshlrev_b32_e32 v10, 16, v10
	s_delay_alu instid0(VALU_DEP_1) | instskip(NEXT) | instid1(VALU_DEP_1)
	v_dual_fmac_f32 v7, v10, v9 :: v_dual_add_nc_u32 v8, 32, v8
	v_cmp_le_i32_e64 s0, s12, v8
	s_delay_alu instid0(VALU_DEP_1) | instskip(NEXT) | instid1(SALU_CYCLE_1)
	s_or_b32 s1, s0, s1
	s_and_not1_b32 exec_lo, exec_lo, s1
	s_cbranch_execnz .LBB525_3
; %bb.4:
	s_or_b32 exec_lo, exec_lo, s1
.LBB525_5:
	s_delay_alu instid0(SALU_CYCLE_1)
	s_or_b32 exec_lo, exec_lo, s13
	v_mbcnt_lo_u32_b32 v3, -1, 0
	s_barrier
	buffer_gl0_inv
	v_cmp_gt_u32_e32 vcc_lo, 16, v3
	v_cndmask_b32_e64 v4, 0, 1, vcc_lo
	v_cmp_gt_u32_e32 vcc_lo, 24, v3
	s_delay_alu instid0(VALU_DEP_2) | instskip(SKIP_2) | instid1(VALU_DEP_3)
	v_lshlrev_b32_e32 v4, 4, v4
	v_cndmask_b32_e64 v5, 0, 1, vcc_lo
	v_cmp_gt_u32_e32 vcc_lo, 28, v3
	v_add_lshl_u32 v4, v4, v3, 2
	v_cndmask_b32_e64 v6, 0, 1, vcc_lo
	v_cmp_gt_u32_e32 vcc_lo, 30, v3
	ds_bpermute_b32 v4, v4, v7
	v_lshlrev_b32_e32 v5, 3, v5
	v_lshlrev_b32_e32 v6, 2, v6
	s_delay_alu instid0(VALU_DEP_1)
	v_add_lshl_u32 v6, v6, v3, 2
	s_waitcnt lgkmcnt(0)
	v_add_f32_e32 v4, v7, v4
	v_add_lshl_u32 v5, v5, v3, 2
	ds_bpermute_b32 v5, v5, v4
	s_waitcnt lgkmcnt(0)
	v_add_f32_e32 v4, v4, v5
	ds_bpermute_b32 v5, v6, v4
	v_cndmask_b32_e64 v6, 0, 1, vcc_lo
	v_cmp_ne_u32_e32 vcc_lo, 31, v3
	s_delay_alu instid0(VALU_DEP_2) | instskip(NEXT) | instid1(VALU_DEP_1)
	v_lshlrev_b32_e32 v6, 1, v6
	v_add_lshl_u32 v6, v6, v3, 2
	s_waitcnt lgkmcnt(0)
	v_add_f32_e32 v4, v4, v5
	ds_bpermute_b32 v5, v6, v4
	v_add_co_ci_u32_e32 v6, vcc_lo, 0, v3, vcc_lo
	v_cmp_eq_u32_e32 vcc_lo, 0, v0
	s_waitcnt lgkmcnt(0)
	s_delay_alu instid0(VALU_DEP_2)
	v_dual_add_f32 v3, v4, v5 :: v_dual_lshlrev_b32 v4, 2, v6
	ds_bpermute_b32 v4, v4, v3
	s_and_b32 exec_lo, exec_lo, vcc_lo
	s_cbranch_execz .LBB525_11
; %bb.6:
	s_waitcnt lgkmcnt(0)
	v_add_f32_e32 v3, v3, v4
	s_delay_alu instid0(VALU_DEP_1) | instskip(NEXT) | instid1(VALU_DEP_1)
	v_and_b32_e32 v0, 0x7f800000, v3
	v_cmp_ne_u32_e32 vcc_lo, 0x7f800000, v0
                                        ; implicit-def: $vgpr0
	s_and_saveexec_b32 s0, vcc_lo
	s_delay_alu instid0(SALU_CYCLE_1)
	s_xor_b32 s0, exec_lo, s0
; %bb.7:
	v_bfe_u32 v0, v3, 16, 1
	s_delay_alu instid0(VALU_DEP_1)
	v_add3_u32 v0, v3, v0, 0x7fff
                                        ; implicit-def: $vgpr3
; %bb.8:
	s_and_not1_saveexec_b32 s0, s0
; %bb.9:
	v_and_b32_e32 v0, 0xffff, v3
	v_or_b32_e32 v4, 0x10000, v3
	s_delay_alu instid0(VALU_DEP_2) | instskip(NEXT) | instid1(VALU_DEP_2)
	v_cmp_eq_u32_e32 vcc_lo, 0, v0
	v_cndmask_b32_e32 v0, v4, v3, vcc_lo
; %bb.10:
	s_or_b32 exec_lo, exec_lo, s0
	v_lshlrev_b64 v[1:2], 1, v[1:2]
	s_delay_alu instid0(VALU_DEP_1) | instskip(NEXT) | instid1(VALU_DEP_2)
	v_add_co_u32 v1, vcc_lo, s2, v1
	v_add_co_ci_u32_e32 v2, vcc_lo, s3, v2, vcc_lo
	global_store_d16_hi_b16 v[1:2], v0, off
.LBB525_11:
	s_nop 0
	s_sendmsg sendmsg(MSG_DEALLOC_VGPRS)
	s_endpgm
	.section	.rodata,"a",@progbits
	.p2align	6, 0x0
	.amdhsa_kernel _ZL28rocblas_dot_batched_4_kernelIiLi32ELi4ELb1Ef16rocblas_bfloat16PKS0_EviT5_lT_lS3_lS4_liPT4_
		.amdhsa_group_segment_fixed_size 0
		.amdhsa_private_segment_fixed_size 0
		.amdhsa_kernarg_size 88
		.amdhsa_user_sgpr_count 15
		.amdhsa_user_sgpr_dispatch_ptr 0
		.amdhsa_user_sgpr_queue_ptr 0
		.amdhsa_user_sgpr_kernarg_segment_ptr 1
		.amdhsa_user_sgpr_dispatch_id 0
		.amdhsa_user_sgpr_private_segment_size 0
		.amdhsa_wavefront_size32 1
		.amdhsa_uses_dynamic_stack 0
		.amdhsa_enable_private_segment 0
		.amdhsa_system_sgpr_workgroup_id_x 1
		.amdhsa_system_sgpr_workgroup_id_y 0
		.amdhsa_system_sgpr_workgroup_id_z 0
		.amdhsa_system_sgpr_workgroup_info 0
		.amdhsa_system_vgpr_workitem_id 1
		.amdhsa_next_free_vgpr 14
		.amdhsa_next_free_sgpr 20
		.amdhsa_reserve_vcc 1
		.amdhsa_float_round_mode_32 0
		.amdhsa_float_round_mode_16_64 0
		.amdhsa_float_denorm_mode_32 3
		.amdhsa_float_denorm_mode_16_64 3
		.amdhsa_dx10_clamp 1
		.amdhsa_ieee_mode 1
		.amdhsa_fp16_overflow 0
		.amdhsa_workgroup_processor_mode 1
		.amdhsa_memory_ordered 1
		.amdhsa_forward_progress 0
		.amdhsa_shared_vgpr_count 0
		.amdhsa_exception_fp_ieee_invalid_op 0
		.amdhsa_exception_fp_denorm_src 0
		.amdhsa_exception_fp_ieee_div_zero 0
		.amdhsa_exception_fp_ieee_overflow 0
		.amdhsa_exception_fp_ieee_underflow 0
		.amdhsa_exception_fp_ieee_inexact 0
		.amdhsa_exception_int_div_zero 0
	.end_amdhsa_kernel
	.section	.text._ZL28rocblas_dot_batched_4_kernelIiLi32ELi4ELb1Ef16rocblas_bfloat16PKS0_EviT5_lT_lS3_lS4_liPT4_,"axG",@progbits,_ZL28rocblas_dot_batched_4_kernelIiLi32ELi4ELb1Ef16rocblas_bfloat16PKS0_EviT5_lT_lS3_lS4_liPT4_,comdat
.Lfunc_end525:
	.size	_ZL28rocblas_dot_batched_4_kernelIiLi32ELi4ELb1Ef16rocblas_bfloat16PKS0_EviT5_lT_lS3_lS4_liPT4_, .Lfunc_end525-_ZL28rocblas_dot_batched_4_kernelIiLi32ELi4ELb1Ef16rocblas_bfloat16PKS0_EviT5_lT_lS3_lS4_liPT4_
                                        ; -- End function
	.section	.AMDGPU.csdata,"",@progbits
; Kernel info:
; codeLenInByte = 848
; NumSgprs: 22
; NumVgprs: 14
; ScratchSize: 0
; MemoryBound: 0
; FloatMode: 240
; IeeeMode: 1
; LDSByteSize: 0 bytes/workgroup (compile time only)
; SGPRBlocks: 2
; VGPRBlocks: 1
; NumSGPRsForWavesPerEU: 22
; NumVGPRsForWavesPerEU: 14
; Occupancy: 16
; WaveLimiterHint : 0
; COMPUTE_PGM_RSRC2:SCRATCH_EN: 0
; COMPUTE_PGM_RSRC2:USER_SGPR: 15
; COMPUTE_PGM_RSRC2:TRAP_HANDLER: 0
; COMPUTE_PGM_RSRC2:TGID_X_EN: 1
; COMPUTE_PGM_RSRC2:TGID_Y_EN: 0
; COMPUTE_PGM_RSRC2:TGID_Z_EN: 0
; COMPUTE_PGM_RSRC2:TIDIG_COMP_CNT: 1
	.section	.text._ZL28rocblas_dot_batched_4_kernelIiLi64ELi4ELb1Ef16rocblas_bfloat16PKS0_EviT5_lT_lS3_lS4_liPT4_,"axG",@progbits,_ZL28rocblas_dot_batched_4_kernelIiLi64ELi4ELb1Ef16rocblas_bfloat16PKS0_EviT5_lT_lS3_lS4_liPT4_,comdat
	.globl	_ZL28rocblas_dot_batched_4_kernelIiLi64ELi4ELb1Ef16rocblas_bfloat16PKS0_EviT5_lT_lS3_lS4_liPT4_ ; -- Begin function _ZL28rocblas_dot_batched_4_kernelIiLi64ELi4ELb1Ef16rocblas_bfloat16PKS0_EviT5_lT_lS3_lS4_liPT4_
	.p2align	8
	.type	_ZL28rocblas_dot_batched_4_kernelIiLi64ELi4ELb1Ef16rocblas_bfloat16PKS0_EviT5_lT_lS3_lS4_liPT4_,@function
_ZL28rocblas_dot_batched_4_kernelIiLi64ELi4ELb1Ef16rocblas_bfloat16PKS0_EviT5_lT_lS3_lS4_liPT4_: ; @_ZL28rocblas_dot_batched_4_kernelIiLi64ELi4ELb1Ef16rocblas_bfloat16PKS0_EviT5_lT_lS3_lS4_liPT4_
; %bb.0:
	s_load_b32 s2, s[0:1], 0x48
	v_bfe_u32 v1, v0, 10, 10
	s_delay_alu instid0(VALU_DEP_1) | instskip(SKIP_1) | instid1(VALU_DEP_1)
	v_lshl_add_u32 v1, s15, 2, v1
	s_waitcnt lgkmcnt(0)
	v_cmp_gt_u32_e32 vcc_lo, s2, v1
	s_and_saveexec_b32 s2, vcc_lo
	s_cbranch_execz .LBB526_11
; %bb.1:
	s_clause 0x1
	s_load_b32 s12, s[0:1], 0x0
	s_load_b64 s[2:3], s[0:1], 0x50
	v_mov_b32_e32 v2, 0
	v_and_b32_e32 v0, 0x3ff, v0
	s_mov_b32 s13, exec_lo
	s_delay_alu instid0(VALU_DEP_2) | instskip(SKIP_1) | instid1(VALU_DEP_2)
	v_mov_b32_e32 v7, v2
	s_waitcnt lgkmcnt(0)
	v_cmpx_gt_i32_e64 s12, v0
	s_cbranch_execz .LBB526_5
; %bb.2:
	s_clause 0x5
	s_load_b128 s[4:7], s[0:1], 0x20
	s_load_b64 s[14:15], s[0:1], 0x40
	s_load_b32 s16, s[0:1], 0x18
	s_load_b32 s18, s[0:1], 0x38
	s_load_b128 s[8:11], s[0:1], 0x8
	s_load_b64 s[0:1], s[0:1], 0x30
	s_waitcnt lgkmcnt(0)
	v_mad_u64_u32 v[3:4], null, s4, v1, 0
	v_mad_u64_u32 v[5:6], null, s14, v1, 0
	v_mad_i64_i32 v[8:9], null, s16, v0, 0
	s_ashr_i32 s17, s16, 31
	s_ashr_i32 s19, s18, 31
	s_delay_alu instid0(VALU_DEP_2) | instskip(SKIP_1) | instid1(VALU_DEP_3)
	v_mad_u64_u32 v[10:11], null, s5, v1, v[4:5]
	v_mov_b32_e32 v7, 0
	v_lshlrev_b64 v[8:9], 1, v[8:9]
	s_lshl_b64 s[4:5], s[10:11], 1
	s_delay_alu instid0(SALU_CYCLE_1) | instskip(SKIP_1) | instid1(VALU_DEP_3)
	s_add_u32 s8, s8, s4
	s_addc_u32 s9, s9, s5
	v_mov_b32_e32 v4, v10
	v_mad_u64_u32 v[11:12], null, s15, v1, v[6:7]
	v_mad_i64_i32 v[12:13], null, s18, v0, 0
	s_delay_alu instid0(VALU_DEP_3) | instskip(SKIP_3) | instid1(VALU_DEP_3)
	v_lshlrev_b64 v[3:4], 1, v[3:4]
	s_lshl_b64 s[0:1], s[0:1], 1
	s_lshl_b64 s[4:5], s[16:17], 7
	s_add_u32 s0, s6, s0
	v_mov_b32_e32 v6, v11
	s_addc_u32 s1, s7, s1
	s_delay_alu instid0(VALU_DEP_3) | instskip(SKIP_1) | instid1(VALU_DEP_3)
	v_lshlrev_b64 v[10:11], 1, v[12:13]
	v_add_co_u32 v3, vcc_lo, v8, v3
	v_lshlrev_b64 v[5:6], 1, v[5:6]
	v_add_co_ci_u32_e32 v4, vcc_lo, v9, v4, vcc_lo
	v_mov_b32_e32 v8, v0
	s_lshl_b64 s[6:7], s[18:19], 7
	s_delay_alu instid0(VALU_DEP_3) | instskip(NEXT) | instid1(VALU_DEP_4)
	v_add_co_u32 v5, vcc_lo, v10, v5
	v_add_co_ci_u32_e32 v6, vcc_lo, v11, v6, vcc_lo
	v_add_co_u32 v3, vcc_lo, s8, v3
	v_add_co_ci_u32_e32 v4, vcc_lo, s9, v4, vcc_lo
	s_delay_alu instid0(VALU_DEP_4) | instskip(NEXT) | instid1(VALU_DEP_4)
	v_add_co_u32 v5, vcc_lo, s0, v5
	v_add_co_ci_u32_e32 v6, vcc_lo, s1, v6, vcc_lo
	s_mov_b32 s1, 0
	.p2align	6
.LBB526_3:                              ; =>This Inner Loop Header: Depth=1
	global_load_u16 v9, v[5:6], off
	global_load_u16 v10, v[3:4], off
	v_add_co_u32 v3, vcc_lo, v3, s4
	v_add_co_ci_u32_e32 v4, vcc_lo, s5, v4, vcc_lo
	v_add_co_u32 v5, vcc_lo, v5, s6
	v_add_co_ci_u32_e32 v6, vcc_lo, s7, v6, vcc_lo
	s_waitcnt vmcnt(1)
	v_lshlrev_b32_e32 v9, 16, v9
	s_waitcnt vmcnt(0)
	v_lshlrev_b32_e32 v10, 16, v10
	s_delay_alu instid0(VALU_DEP_1) | instskip(NEXT) | instid1(VALU_DEP_1)
	v_dual_fmac_f32 v7, v10, v9 :: v_dual_add_nc_u32 v8, 64, v8
	v_cmp_le_i32_e64 s0, s12, v8
	s_delay_alu instid0(VALU_DEP_1) | instskip(NEXT) | instid1(SALU_CYCLE_1)
	s_or_b32 s1, s0, s1
	s_and_not1_b32 exec_lo, exec_lo, s1
	s_cbranch_execnz .LBB526_3
; %bb.4:
	s_or_b32 exec_lo, exec_lo, s1
.LBB526_5:
	s_delay_alu instid0(SALU_CYCLE_1)
	s_or_b32 exec_lo, exec_lo, s13
	v_mbcnt_lo_u32_b32 v3, -1, 0
	s_barrier
	buffer_gl0_inv
	v_lshlrev_b32_e32 v4, 2, v3
	v_cmp_gt_u32_e32 vcc_lo, 16, v3
	ds_bpermute_b32 v4, v4, v7
	v_cndmask_b32_e64 v5, 0, 1, vcc_lo
	v_cmp_gt_u32_e32 vcc_lo, 24, v3
	s_delay_alu instid0(VALU_DEP_2) | instskip(SKIP_2) | instid1(VALU_DEP_2)
	v_lshlrev_b32_e32 v5, 4, v5
	v_cndmask_b32_e64 v6, 0, 1, vcc_lo
	v_cmp_gt_u32_e32 vcc_lo, 28, v3
	v_lshlrev_b32_e32 v6, 3, v6
	s_delay_alu instid0(VALU_DEP_1)
	v_add_lshl_u32 v6, v6, v3, 2
	s_waitcnt lgkmcnt(0)
	v_add_f32_e32 v4, v7, v4
	v_add_lshl_u32 v5, v5, v3, 2
	ds_bpermute_b32 v5, v5, v4
	s_waitcnt lgkmcnt(0)
	v_add_f32_e32 v4, v4, v5
	ds_bpermute_b32 v5, v6, v4
	v_cndmask_b32_e64 v6, 0, 1, vcc_lo
	v_cmp_gt_u32_e32 vcc_lo, 30, v3
	s_delay_alu instid0(VALU_DEP_2) | instskip(NEXT) | instid1(VALU_DEP_1)
	v_lshlrev_b32_e32 v6, 2, v6
	v_add_lshl_u32 v6, v6, v3, 2
	s_waitcnt lgkmcnt(0)
	v_add_f32_e32 v4, v4, v5
	ds_bpermute_b32 v5, v6, v4
	v_cndmask_b32_e64 v6, 0, 1, vcc_lo
	v_cmp_ne_u32_e32 vcc_lo, 31, v3
	s_delay_alu instid0(VALU_DEP_2) | instskip(NEXT) | instid1(VALU_DEP_1)
	v_lshlrev_b32_e32 v6, 1, v6
	v_add_lshl_u32 v6, v6, v3, 2
	s_waitcnt lgkmcnt(0)
	v_add_f32_e32 v4, v4, v5
	ds_bpermute_b32 v5, v6, v4
	v_add_co_ci_u32_e32 v6, vcc_lo, 0, v3, vcc_lo
	v_cmp_eq_u32_e32 vcc_lo, 0, v0
	s_waitcnt lgkmcnt(0)
	s_delay_alu instid0(VALU_DEP_2)
	v_dual_add_f32 v3, v4, v5 :: v_dual_lshlrev_b32 v4, 2, v6
	ds_bpermute_b32 v4, v4, v3
	s_and_b32 exec_lo, exec_lo, vcc_lo
	s_cbranch_execz .LBB526_11
; %bb.6:
	s_waitcnt lgkmcnt(0)
	v_add_f32_e32 v3, v3, v4
	s_delay_alu instid0(VALU_DEP_1) | instskip(NEXT) | instid1(VALU_DEP_1)
	v_and_b32_e32 v0, 0x7f800000, v3
	v_cmp_ne_u32_e32 vcc_lo, 0x7f800000, v0
                                        ; implicit-def: $vgpr0
	s_and_saveexec_b32 s0, vcc_lo
	s_delay_alu instid0(SALU_CYCLE_1)
	s_xor_b32 s0, exec_lo, s0
; %bb.7:
	v_bfe_u32 v0, v3, 16, 1
	s_delay_alu instid0(VALU_DEP_1)
	v_add3_u32 v0, v3, v0, 0x7fff
                                        ; implicit-def: $vgpr3
; %bb.8:
	s_and_not1_saveexec_b32 s0, s0
; %bb.9:
	v_and_b32_e32 v0, 0xffff, v3
	v_or_b32_e32 v4, 0x10000, v3
	s_delay_alu instid0(VALU_DEP_2) | instskip(NEXT) | instid1(VALU_DEP_2)
	v_cmp_eq_u32_e32 vcc_lo, 0, v0
	v_cndmask_b32_e32 v0, v4, v3, vcc_lo
; %bb.10:
	s_or_b32 exec_lo, exec_lo, s0
	v_lshlrev_b64 v[1:2], 1, v[1:2]
	s_delay_alu instid0(VALU_DEP_1) | instskip(NEXT) | instid1(VALU_DEP_2)
	v_add_co_u32 v1, vcc_lo, s2, v1
	v_add_co_ci_u32_e32 v2, vcc_lo, s3, v2, vcc_lo
	global_store_d16_hi_b16 v[1:2], v0, off
.LBB526_11:
	s_nop 0
	s_sendmsg sendmsg(MSG_DEALLOC_VGPRS)
	s_endpgm
	.section	.rodata,"a",@progbits
	.p2align	6, 0x0
	.amdhsa_kernel _ZL28rocblas_dot_batched_4_kernelIiLi64ELi4ELb1Ef16rocblas_bfloat16PKS0_EviT5_lT_lS3_lS4_liPT4_
		.amdhsa_group_segment_fixed_size 0
		.amdhsa_private_segment_fixed_size 0
		.amdhsa_kernarg_size 88
		.amdhsa_user_sgpr_count 15
		.amdhsa_user_sgpr_dispatch_ptr 0
		.amdhsa_user_sgpr_queue_ptr 0
		.amdhsa_user_sgpr_kernarg_segment_ptr 1
		.amdhsa_user_sgpr_dispatch_id 0
		.amdhsa_user_sgpr_private_segment_size 0
		.amdhsa_wavefront_size32 1
		.amdhsa_uses_dynamic_stack 0
		.amdhsa_enable_private_segment 0
		.amdhsa_system_sgpr_workgroup_id_x 1
		.amdhsa_system_sgpr_workgroup_id_y 0
		.amdhsa_system_sgpr_workgroup_id_z 0
		.amdhsa_system_sgpr_workgroup_info 0
		.amdhsa_system_vgpr_workitem_id 1
		.amdhsa_next_free_vgpr 14
		.amdhsa_next_free_sgpr 20
		.amdhsa_reserve_vcc 1
		.amdhsa_float_round_mode_32 0
		.amdhsa_float_round_mode_16_64 0
		.amdhsa_float_denorm_mode_32 3
		.amdhsa_float_denorm_mode_16_64 3
		.amdhsa_dx10_clamp 1
		.amdhsa_ieee_mode 1
		.amdhsa_fp16_overflow 0
		.amdhsa_workgroup_processor_mode 1
		.amdhsa_memory_ordered 1
		.amdhsa_forward_progress 0
		.amdhsa_shared_vgpr_count 0
		.amdhsa_exception_fp_ieee_invalid_op 0
		.amdhsa_exception_fp_denorm_src 0
		.amdhsa_exception_fp_ieee_div_zero 0
		.amdhsa_exception_fp_ieee_overflow 0
		.amdhsa_exception_fp_ieee_underflow 0
		.amdhsa_exception_fp_ieee_inexact 0
		.amdhsa_exception_int_div_zero 0
	.end_amdhsa_kernel
	.section	.text._ZL28rocblas_dot_batched_4_kernelIiLi64ELi4ELb1Ef16rocblas_bfloat16PKS0_EviT5_lT_lS3_lS4_liPT4_,"axG",@progbits,_ZL28rocblas_dot_batched_4_kernelIiLi64ELi4ELb1Ef16rocblas_bfloat16PKS0_EviT5_lT_lS3_lS4_liPT4_,comdat
.Lfunc_end526:
	.size	_ZL28rocblas_dot_batched_4_kernelIiLi64ELi4ELb1Ef16rocblas_bfloat16PKS0_EviT5_lT_lS3_lS4_liPT4_, .Lfunc_end526-_ZL28rocblas_dot_batched_4_kernelIiLi64ELi4ELb1Ef16rocblas_bfloat16PKS0_EviT5_lT_lS3_lS4_liPT4_
                                        ; -- End function
	.section	.AMDGPU.csdata,"",@progbits
; Kernel info:
; codeLenInByte = 872
; NumSgprs: 22
; NumVgprs: 14
; ScratchSize: 0
; MemoryBound: 0
; FloatMode: 240
; IeeeMode: 1
; LDSByteSize: 0 bytes/workgroup (compile time only)
; SGPRBlocks: 2
; VGPRBlocks: 1
; NumSGPRsForWavesPerEU: 22
; NumVGPRsForWavesPerEU: 14
; Occupancy: 16
; WaveLimiterHint : 0
; COMPUTE_PGM_RSRC2:SCRATCH_EN: 0
; COMPUTE_PGM_RSRC2:USER_SGPR: 15
; COMPUTE_PGM_RSRC2:TRAP_HANDLER: 0
; COMPUTE_PGM_RSRC2:TGID_X_EN: 1
; COMPUTE_PGM_RSRC2:TGID_Y_EN: 0
; COMPUTE_PGM_RSRC2:TGID_Z_EN: 0
; COMPUTE_PGM_RSRC2:TIDIG_COMP_CNT: 1
	.section	.text._ZL26rocblas_dot_kernel_inc1by2ILb1ELi1024ELi32ELb1E16rocblas_bfloat16PKS0_fEviT4_llS3_lliPT5_PT3_,"axG",@progbits,_ZL26rocblas_dot_kernel_inc1by2ILb1ELi1024ELi32ELb1E16rocblas_bfloat16PKS0_fEviT4_llS3_lliPT5_PT3_,comdat
	.globl	_ZL26rocblas_dot_kernel_inc1by2ILb1ELi1024ELi32ELb1E16rocblas_bfloat16PKS0_fEviT4_llS3_lliPT5_PT3_ ; -- Begin function _ZL26rocblas_dot_kernel_inc1by2ILb1ELi1024ELi32ELb1E16rocblas_bfloat16PKS0_fEviT4_llS3_lliPT5_PT3_
	.p2align	8
	.type	_ZL26rocblas_dot_kernel_inc1by2ILb1ELi1024ELi32ELb1E16rocblas_bfloat16PKS0_fEviT4_llS3_lliPT5_PT3_,@function
_ZL26rocblas_dot_kernel_inc1by2ILb1ELi1024ELi32ELb1E16rocblas_bfloat16PKS0_fEviT4_llS3_lliPT5_PT3_: ; @_ZL26rocblas_dot_kernel_inc1by2ILb1ELi1024ELi32ELb1E16rocblas_bfloat16PKS0_fEviT4_llS3_lliPT5_PT3_
; %bb.0:
	s_mov_b32 s2, s15
	s_clause 0x5
	s_load_b128 s[8:11], s[0:1], 0x10
	s_load_b128 s[4:7], s[0:1], 0x28
	s_load_b32 s17, s[0:1], 0x0
	s_load_b64 s[12:13], s[0:1], 0x48
	s_load_b64 s[14:15], s[0:1], 0x8
	s_load_b64 s[0:1], s[0:1], 0x20
	v_dual_mov_b32 v5, 0 :: v_dual_lshlrev_b32 v6, 1, v0
	s_mov_b32 s3, 0
	s_waitcnt lgkmcnt(0)
	s_mul_i32 s11, s2, s11
	s_mul_hi_u32 s18, s2, s10
	s_mul_i32 s7, s2, s7
	s_mul_hi_u32 s19, s2, s6
	s_add_i32 s16, s17, -1
	s_add_i32 s11, s18, s11
	s_mul_i32 s10, s2, s10
	s_add_i32 s7, s19, s7
	s_mul_i32 s6, s2, s6
	s_mov_b32 s18, exec_lo
	v_cmpx_gt_i32_e64 s16, v6
	s_cbranch_execz .LBB527_4
; %bb.1:
	s_lshl_b64 s[22:23], s[4:5], 1
	s_lshl_b64 s[20:21], s[6:7], 1
	v_lshlrev_b32_e32 v3, 2, v0
	s_add_u32 s19, s0, s22
	s_addc_u32 s22, s1, s23
	s_add_u32 s19, s19, s20
	s_addc_u32 s20, s22, s21
	v_add_co_u32 v1, s19, s19, v3
	s_delay_alu instid0(VALU_DEP_1)
	v_add_co_ci_u32_e64 v2, null, s20, 0, s19
	s_lshl_b64 s[20:21], s[8:9], 1
	s_lshl_b64 s[22:23], s[10:11], 1
	s_add_u32 s19, s14, s20
	s_addc_u32 s20, s15, s21
	s_add_u32 s19, s19, s22
	s_addc_u32 s20, s20, s23
	v_add_co_u32 v3, s19, s19, v3
	v_mov_b32_e32 v5, 0
	v_add_co_ci_u32_e64 v4, null, s20, 0, s19
	s_mov_b32 s19, s3
	s_mov_b32 s20, s3
	.p2align	6
.LBB527_2:                              ; =>This Inner Loop Header: Depth=1
	global_load_b32 v7, v[1:2], off
	global_load_b32 v8, v[3:4], off
	v_add_co_u32 v1, vcc_lo, 0x1000, v1
	v_add_co_ci_u32_e32 v2, vcc_lo, 0, v2, vcc_lo
	v_add_co_u32 v3, vcc_lo, 0x1000, v3
	v_add_co_ci_u32_e32 v4, vcc_lo, 0, v4, vcc_lo
	s_add_i32 s21, s20, 1
	s_cmp_gt_u32 s20, 30
	s_cselect_b32 s20, -1, 0
	s_waitcnt vmcnt(1)
	v_lshlrev_b32_e32 v9, 16, v7
	s_waitcnt vmcnt(0)
	v_lshlrev_b32_e32 v10, 16, v8
	v_and_b32_e32 v7, 0xffff0000, v7
	s_delay_alu instid0(VALU_DEP_2) | instskip(NEXT) | instid1(VALU_DEP_1)
	v_dual_fmac_f32 v5, v9, v10 :: v_dual_and_b32 v8, 0xffff0000, v8
	v_dual_fmac_f32 v5, v7, v8 :: v_dual_add_nc_u32 v6, 0x800, v6
	s_delay_alu instid0(VALU_DEP_1) | instskip(SKIP_1) | instid1(SALU_CYCLE_1)
	v_cmp_le_i32_e32 vcc_lo, s16, v6
	s_or_b32 s20, s20, vcc_lo
	s_and_b32 s20, exec_lo, s20
	s_delay_alu instid0(SALU_CYCLE_1)
	s_or_b32 s19, s20, s19
	s_mov_b32 s20, s21
	s_and_not1_b32 exec_lo, exec_lo, s19
	s_cbranch_execnz .LBB527_2
; %bb.3:
	s_or_b32 exec_lo, exec_lo, s19
.LBB527_4:
	s_delay_alu instid0(SALU_CYCLE_1) | instskip(SKIP_3) | instid1(SALU_CYCLE_1)
	s_or_b32 exec_lo, exec_lo, s18
	v_cmp_eq_u32_e32 vcc_lo, s16, v6
	s_bitcmp1_b32 s17, 0
	s_cselect_b32 s17, -1, 0
	s_and_b32 s17, s17, vcc_lo
	s_delay_alu instid0(SALU_CYCLE_1)
	s_and_saveexec_b32 s18, s17
	s_cbranch_execz .LBB527_6
; %bb.5:
	s_lshl_b64 s[10:11], s[10:11], 1
	s_mov_b32 s17, 0
	s_add_u32 s10, s14, s10
	s_addc_u32 s11, s15, s11
	s_lshl_b64 s[8:9], s[8:9], 1
	v_mov_b32_e32 v1, 0
	s_add_u32 s8, s10, s8
	s_addc_u32 s9, s11, s9
	s_lshl_b64 s[6:7], s[6:7], 1
	s_delay_alu instid0(SALU_CYCLE_1) | instskip(SKIP_2) | instid1(SALU_CYCLE_1)
	s_add_u32 s6, s0, s6
	s_addc_u32 s7, s1, s7
	s_lshl_b64 s[0:1], s[4:5], 1
	s_add_u32 s4, s6, s0
	s_addc_u32 s5, s7, s1
	s_lshl_b64 s[0:1], s[16:17], 1
	s_delay_alu instid0(SALU_CYCLE_1)
	s_add_u32 s4, s4, s0
	s_addc_u32 s5, s5, s1
	s_add_u32 s0, s8, s0
	s_addc_u32 s1, s9, s1
	s_clause 0x1
	global_load_u16 v2, v1, s[0:1]
	global_load_u16 v1, v1, s[4:5]
	s_waitcnt vmcnt(1)
	v_lshlrev_b32_e32 v2, 16, v2
	s_waitcnt vmcnt(0)
	v_lshlrev_b32_e32 v1, 16, v1
	s_delay_alu instid0(VALU_DEP_1)
	v_fmac_f32_e32 v5, v1, v2
.LBB527_6:
	s_or_b32 exec_lo, exec_lo, s18
	v_and_b32_e32 v8, 31, v0
	v_cmp_gt_u32_e32 vcc_lo, 32, v0
	s_delay_alu instid0(VALU_DEP_2)
	v_lshlrev_b32_e32 v1, 2, v8
	s_and_saveexec_b32 s0, vcc_lo
	s_cbranch_execz .LBB527_8
; %bb.7:
	v_mov_b32_e32 v2, 0
	ds_store_b32 v1, v2
.LBB527_8:
	s_or_b32 exec_lo, exec_lo, s0
	v_mbcnt_lo_u32_b32 v7, -1, 0
	s_mov_b32 s1, exec_lo
	s_waitcnt lgkmcnt(0)
	s_barrier
	buffer_gl0_inv
	v_cmp_gt_u32_e64 s0, 16, v7
	s_delay_alu instid0(VALU_DEP_1) | instskip(SKIP_1) | instid1(VALU_DEP_2)
	v_cndmask_b32_e64 v2, 0, 1, s0
	v_cmp_gt_u32_e64 s0, 24, v7
	v_lshlrev_b32_e32 v2, 4, v2
	s_delay_alu instid0(VALU_DEP_2) | instskip(SKIP_1) | instid1(VALU_DEP_3)
	v_cndmask_b32_e64 v3, 0, 1, s0
	v_cmp_gt_u32_e64 s0, 28, v7
	v_add_lshl_u32 v2, v2, v7, 2
	s_delay_alu instid0(VALU_DEP_3)
	v_lshlrev_b32_e32 v3, 3, v3
	ds_bpermute_b32 v4, v2, v5
	v_add_lshl_u32 v3, v3, v7, 2
	s_waitcnt lgkmcnt(0)
	v_add_f32_e32 v5, v5, v4
	v_cndmask_b32_e64 v4, 0, 1, s0
	v_cmp_gt_u32_e64 s0, 30, v7
	ds_bpermute_b32 v6, v3, v5
	s_waitcnt lgkmcnt(0)
	v_dual_add_f32 v5, v5, v6 :: v_dual_lshlrev_b32 v4, 2, v4
	s_delay_alu instid0(VALU_DEP_1)
	v_add_lshl_u32 v4, v4, v7, 2
	v_cndmask_b32_e64 v6, 0, 1, s0
	v_cmp_ne_u32_e64 s0, 31, v7
	ds_bpermute_b32 v9, v4, v5
	s_waitcnt lgkmcnt(0)
	v_dual_add_f32 v5, v5, v9 :: v_dual_lshlrev_b32 v6, 1, v6
	s_delay_alu instid0(VALU_DEP_1)
	v_add_lshl_u32 v6, v6, v7, 2
	v_add_co_ci_u32_e64 v7, s0, 0, v7, s0
	ds_bpermute_b32 v9, v6, v5
	v_lshlrev_b32_e32 v7, 2, v7
	s_waitcnt lgkmcnt(0)
	v_add_f32_e32 v5, v5, v9
	ds_bpermute_b32 v9, v7, v5
	v_cmpx_eq_u32_e32 0, v8
	s_cbranch_execz .LBB527_10
; %bb.9:
	v_lshrrev_b32_e32 v8, 3, v0
	s_waitcnt lgkmcnt(0)
	s_delay_alu instid0(VALU_DEP_1)
	v_dual_add_f32 v5, v5, v9 :: v_dual_and_b32 v8, 0x7c, v8
	ds_store_b32 v8, v5
.LBB527_10:
	s_or_b32 exec_lo, exec_lo, s1
	v_mov_b32_e32 v5, 0
	s_waitcnt lgkmcnt(0)
	s_barrier
	buffer_gl0_inv
	s_and_saveexec_b32 s0, vcc_lo
	s_cbranch_execz .LBB527_12
; %bb.11:
	ds_load_b32 v5, v1
.LBB527_12:
	s_or_b32 exec_lo, exec_lo, s0
	s_and_saveexec_b32 s0, vcc_lo
	s_cbranch_execz .LBB527_14
; %bb.13:
	s_waitcnt lgkmcnt(0)
	ds_bpermute_b32 v1, v2, v5
	s_waitcnt lgkmcnt(0)
	v_add_f32_e32 v1, v5, v1
	ds_bpermute_b32 v2, v3, v1
	s_waitcnt lgkmcnt(0)
	v_add_f32_e32 v1, v1, v2
	;; [unrolled: 3-line block ×5, first 2 shown]
.LBB527_14:
	s_or_b32 exec_lo, exec_lo, s0
	s_delay_alu instid0(SALU_CYCLE_1)
	s_mov_b32 s0, exec_lo
	v_cmpx_eq_u32_e32 0, v0
	s_cbranch_execz .LBB527_20
; %bb.15:
	s_waitcnt lgkmcnt(0)
	v_and_b32_e32 v0, 0x7f800000, v5
	s_delay_alu instid0(VALU_DEP_1) | instskip(SKIP_1) | instid1(SALU_CYCLE_1)
	v_cmp_ne_u32_e32 vcc_lo, 0x7f800000, v0
                                        ; implicit-def: $vgpr0
	s_and_saveexec_b32 s0, vcc_lo
	s_xor_b32 s0, exec_lo, s0
; %bb.16:
	v_bfe_u32 v0, v5, 16, 1
	s_delay_alu instid0(VALU_DEP_1)
	v_add3_u32 v0, v5, v0, 0x7fff
                                        ; implicit-def: $vgpr5
; %bb.17:
	s_and_not1_saveexec_b32 s0, s0
; %bb.18:
	v_and_b32_e32 v0, 0xffff, v5
	v_or_b32_e32 v1, 0x10000, v5
	s_delay_alu instid0(VALU_DEP_2) | instskip(NEXT) | instid1(VALU_DEP_2)
	v_cmp_eq_u32_e32 vcc_lo, 0, v0
	v_cndmask_b32_e32 v0, v1, v5, vcc_lo
; %bb.19:
	s_or_b32 exec_lo, exec_lo, s0
	s_lshl_b64 s[0:1], s[2:3], 1
	v_mov_b32_e32 v1, 0
	s_add_u32 s0, s12, s0
	s_addc_u32 s1, s13, s1
	global_store_d16_hi_b16 v1, v0, s[0:1]
.LBB527_20:
	s_nop 0
	s_sendmsg sendmsg(MSG_DEALLOC_VGPRS)
	s_endpgm
	.section	.rodata,"a",@progbits
	.p2align	6, 0x0
	.amdhsa_kernel _ZL26rocblas_dot_kernel_inc1by2ILb1ELi1024ELi32ELb1E16rocblas_bfloat16PKS0_fEviT4_llS3_lliPT5_PT3_
		.amdhsa_group_segment_fixed_size 128
		.amdhsa_private_segment_fixed_size 0
		.amdhsa_kernarg_size 80
		.amdhsa_user_sgpr_count 14
		.amdhsa_user_sgpr_dispatch_ptr 0
		.amdhsa_user_sgpr_queue_ptr 0
		.amdhsa_user_sgpr_kernarg_segment_ptr 1
		.amdhsa_user_sgpr_dispatch_id 0
		.amdhsa_user_sgpr_private_segment_size 0
		.amdhsa_wavefront_size32 1
		.amdhsa_uses_dynamic_stack 0
		.amdhsa_enable_private_segment 0
		.amdhsa_system_sgpr_workgroup_id_x 1
		.amdhsa_system_sgpr_workgroup_id_y 0
		.amdhsa_system_sgpr_workgroup_id_z 1
		.amdhsa_system_sgpr_workgroup_info 0
		.amdhsa_system_vgpr_workitem_id 0
		.amdhsa_next_free_vgpr 11
		.amdhsa_next_free_sgpr 24
		.amdhsa_reserve_vcc 1
		.amdhsa_float_round_mode_32 0
		.amdhsa_float_round_mode_16_64 0
		.amdhsa_float_denorm_mode_32 3
		.amdhsa_float_denorm_mode_16_64 3
		.amdhsa_dx10_clamp 1
		.amdhsa_ieee_mode 1
		.amdhsa_fp16_overflow 0
		.amdhsa_workgroup_processor_mode 1
		.amdhsa_memory_ordered 1
		.amdhsa_forward_progress 0
		.amdhsa_shared_vgpr_count 0
		.amdhsa_exception_fp_ieee_invalid_op 0
		.amdhsa_exception_fp_denorm_src 0
		.amdhsa_exception_fp_ieee_div_zero 0
		.amdhsa_exception_fp_ieee_overflow 0
		.amdhsa_exception_fp_ieee_underflow 0
		.amdhsa_exception_fp_ieee_inexact 0
		.amdhsa_exception_int_div_zero 0
	.end_amdhsa_kernel
	.section	.text._ZL26rocblas_dot_kernel_inc1by2ILb1ELi1024ELi32ELb1E16rocblas_bfloat16PKS0_fEviT4_llS3_lliPT5_PT3_,"axG",@progbits,_ZL26rocblas_dot_kernel_inc1by2ILb1ELi1024ELi32ELb1E16rocblas_bfloat16PKS0_fEviT4_llS3_lliPT5_PT3_,comdat
.Lfunc_end527:
	.size	_ZL26rocblas_dot_kernel_inc1by2ILb1ELi1024ELi32ELb1E16rocblas_bfloat16PKS0_fEviT4_llS3_lliPT5_PT3_, .Lfunc_end527-_ZL26rocblas_dot_kernel_inc1by2ILb1ELi1024ELi32ELb1E16rocblas_bfloat16PKS0_fEviT4_llS3_lliPT5_PT3_
                                        ; -- End function
	.section	.AMDGPU.csdata,"",@progbits
; Kernel info:
; codeLenInByte = 1160
; NumSgprs: 26
; NumVgprs: 11
; ScratchSize: 0
; MemoryBound: 0
; FloatMode: 240
; IeeeMode: 1
; LDSByteSize: 128 bytes/workgroup (compile time only)
; SGPRBlocks: 3
; VGPRBlocks: 1
; NumSGPRsForWavesPerEU: 26
; NumVGPRsForWavesPerEU: 11
; Occupancy: 16
; WaveLimiterHint : 0
; COMPUTE_PGM_RSRC2:SCRATCH_EN: 0
; COMPUTE_PGM_RSRC2:USER_SGPR: 14
; COMPUTE_PGM_RSRC2:TRAP_HANDLER: 0
; COMPUTE_PGM_RSRC2:TGID_X_EN: 1
; COMPUTE_PGM_RSRC2:TGID_Y_EN: 0
; COMPUTE_PGM_RSRC2:TGID_Z_EN: 1
; COMPUTE_PGM_RSRC2:TIDIG_COMP_CNT: 0
	.section	.text._ZL18rocblas_dot_kernelIiLb1ELi1024ELi32ELb1E16rocblas_bfloat16PKS0_fEviT5_lT_lS3_lS4_liPT6_PT4_,"axG",@progbits,_ZL18rocblas_dot_kernelIiLb1ELi1024ELi32ELb1E16rocblas_bfloat16PKS0_fEviT5_lT_lS3_lS4_liPT6_PT4_,comdat
	.globl	_ZL18rocblas_dot_kernelIiLb1ELi1024ELi32ELb1E16rocblas_bfloat16PKS0_fEviT5_lT_lS3_lS4_liPT6_PT4_ ; -- Begin function _ZL18rocblas_dot_kernelIiLb1ELi1024ELi32ELb1E16rocblas_bfloat16PKS0_fEviT5_lT_lS3_lS4_liPT6_PT4_
	.p2align	8
	.type	_ZL18rocblas_dot_kernelIiLb1ELi1024ELi32ELb1E16rocblas_bfloat16PKS0_fEviT5_lT_lS3_lS4_liPT6_PT4_,@function
_ZL18rocblas_dot_kernelIiLb1ELi1024ELi32ELb1E16rocblas_bfloat16PKS0_fEviT5_lT_lS3_lS4_liPT6_PT4_: ; @_ZL18rocblas_dot_kernelIiLb1ELi1024ELi32ELb1E16rocblas_bfloat16PKS0_fEviT5_lT_lS3_lS4_liPT6_PT4_
; %bb.0:
	s_clause 0x1
	s_load_b32 s10, s[0:1], 0x0
	s_load_b64 s[2:3], s[0:1], 0x58
	v_mov_b32_e32 v5, 0
	s_mov_b32 s8, s15
	s_mov_b32 s9, 0
	s_mov_b32 s11, exec_lo
	s_waitcnt lgkmcnt(0)
	v_cmpx_gt_i32_e64 s10, v0
	s_cbranch_execz .LBB528_4
; %bb.1:
	s_clause 0x6
	s_load_b32 s20, s[0:1], 0x60
	s_load_b128 s[4:7], s[0:1], 0x20
	s_load_b32 s22, s[0:1], 0x18
	s_load_b128 s[12:15], s[0:1], 0x8
	s_load_b64 s[16:17], s[0:1], 0x40
	s_load_b32 s23, s[0:1], 0x38
	s_load_b64 s[18:19], s[0:1], 0x30
	v_mov_b32_e32 v5, 0
	s_waitcnt lgkmcnt(0)
	s_lshl_b32 s1, s20, 10
	s_mul_i32 s0, s5, s8
	v_mad_i64_i32 v[1:2], null, s22, v0, 0
	s_mul_hi_u32 s5, s4, s8
	s_mul_i32 s4, s4, s8
	v_mad_i64_i32 v[3:4], null, s23, v0, 0
	s_add_i32 s5, s5, s0
	s_lshl_b64 s[14:15], s[14:15], 1
	s_delay_alu instid0(VALU_DEP_2)
	v_lshlrev_b64 v[1:2], 1, v[1:2]
	s_lshl_b64 s[4:5], s[4:5], 1
	s_add_u32 s0, s12, s14
	s_addc_u32 s12, s13, s15
	s_mul_i32 s17, s17, s8
	s_mul_hi_u32 s24, s16, s8
	s_add_u32 s0, s0, s4
	s_mul_i32 s16, s16, s8
	s_mul_hi_i32 s21, s22, s1
	s_mul_i32 s20, s22, s1
	s_addc_u32 s12, s12, s5
	s_add_i32 s17, s24, s17
	v_add_co_u32 v1, vcc_lo, s0, v1
	s_lshl_b64 s[14:15], s[18:19], 1
	v_lshlrev_b64 v[3:4], 1, v[3:4]
	s_lshl_b64 s[4:5], s[20:21], 1
	v_add_co_ci_u32_e32 v2, vcc_lo, s12, v2, vcc_lo
	s_lshl_b64 s[12:13], s[16:17], 1
	s_add_u32 s0, s6, s14
	s_addc_u32 s6, s7, s15
	s_add_u32 s0, s0, s12
	s_addc_u32 s6, s6, s13
	v_add_co_u32 v3, vcc_lo, s0, v3
	v_or_b32_e32 v6, s1, v0
	v_add_co_ci_u32_e32 v4, vcc_lo, s6, v4, vcc_lo
	s_mul_hi_i32 s7, s23, s1
	s_mul_i32 s6, s23, s1
	s_mov_b32 s12, s9
	s_lshl_b64 s[6:7], s[6:7], 1
	s_mov_b32 s13, s9
	.p2align	6
.LBB528_2:                              ; =>This Inner Loop Header: Depth=1
	global_load_u16 v7, v[1:2], off
	global_load_u16 v8, v[3:4], off
	v_add_co_u32 v1, s0, v1, s4
	s_delay_alu instid0(VALU_DEP_1)
	v_add_co_ci_u32_e64 v2, s0, s5, v2, s0
	s_add_i32 s14, s13, 1
	v_cmp_le_i32_e32 vcc_lo, s10, v6
	v_add_co_u32 v3, s0, v3, s6
	s_cmp_gt_u32 s13, 30
	v_add_co_ci_u32_e64 v4, s0, s7, v4, s0
	s_cselect_b32 s0, -1, 0
	s_mov_b32 s13, s14
	s_or_b32 s0, s0, vcc_lo
	s_delay_alu instid0(SALU_CYCLE_1) | instskip(NEXT) | instid1(SALU_CYCLE_1)
	s_and_b32 s0, exec_lo, s0
	s_or_b32 s12, s0, s12
	s_waitcnt vmcnt(1)
	v_lshlrev_b32_e32 v7, 16, v7
	s_waitcnt vmcnt(0)
	v_lshlrev_b32_e32 v8, 16, v8
	s_delay_alu instid0(VALU_DEP_1)
	v_dual_fmac_f32 v5, v8, v7 :: v_dual_add_nc_u32 v6, s1, v6
	s_and_not1_b32 exec_lo, exec_lo, s12
	s_cbranch_execnz .LBB528_2
; %bb.3:
	s_or_b32 exec_lo, exec_lo, s12
.LBB528_4:
	s_delay_alu instid0(SALU_CYCLE_1) | instskip(SKIP_2) | instid1(VALU_DEP_2)
	s_or_b32 exec_lo, exec_lo, s11
	v_and_b32_e32 v8, 31, v0
	v_cmp_gt_u32_e32 vcc_lo, 32, v0
	v_lshlrev_b32_e32 v1, 2, v8
	s_and_saveexec_b32 s0, vcc_lo
	s_cbranch_execz .LBB528_6
; %bb.5:
	v_mov_b32_e32 v2, 0
	ds_store_b32 v1, v2
.LBB528_6:
	s_or_b32 exec_lo, exec_lo, s0
	v_mbcnt_lo_u32_b32 v7, -1, 0
	s_mov_b32 s1, exec_lo
	s_waitcnt lgkmcnt(0)
	s_barrier
	buffer_gl0_inv
	v_cmp_gt_u32_e64 s0, 16, v7
	s_delay_alu instid0(VALU_DEP_1) | instskip(SKIP_1) | instid1(VALU_DEP_2)
	v_cndmask_b32_e64 v2, 0, 1, s0
	v_cmp_gt_u32_e64 s0, 24, v7
	v_lshlrev_b32_e32 v2, 4, v2
	s_delay_alu instid0(VALU_DEP_2) | instskip(SKIP_1) | instid1(VALU_DEP_3)
	v_cndmask_b32_e64 v3, 0, 1, s0
	v_cmp_gt_u32_e64 s0, 28, v7
	v_add_lshl_u32 v2, v2, v7, 2
	s_delay_alu instid0(VALU_DEP_3)
	v_lshlrev_b32_e32 v3, 3, v3
	ds_bpermute_b32 v4, v2, v5
	v_add_lshl_u32 v3, v3, v7, 2
	s_waitcnt lgkmcnt(0)
	v_add_f32_e32 v5, v5, v4
	v_cndmask_b32_e64 v4, 0, 1, s0
	v_cmp_gt_u32_e64 s0, 30, v7
	ds_bpermute_b32 v6, v3, v5
	s_waitcnt lgkmcnt(0)
	v_dual_add_f32 v5, v5, v6 :: v_dual_lshlrev_b32 v4, 2, v4
	s_delay_alu instid0(VALU_DEP_1)
	v_add_lshl_u32 v4, v4, v7, 2
	v_cndmask_b32_e64 v6, 0, 1, s0
	v_cmp_ne_u32_e64 s0, 31, v7
	ds_bpermute_b32 v9, v4, v5
	s_waitcnt lgkmcnt(0)
	v_dual_add_f32 v5, v5, v9 :: v_dual_lshlrev_b32 v6, 1, v6
	s_delay_alu instid0(VALU_DEP_1)
	v_add_lshl_u32 v6, v6, v7, 2
	v_add_co_ci_u32_e64 v7, s0, 0, v7, s0
	ds_bpermute_b32 v9, v6, v5
	v_lshlrev_b32_e32 v7, 2, v7
	s_waitcnt lgkmcnt(0)
	v_add_f32_e32 v5, v5, v9
	ds_bpermute_b32 v9, v7, v5
	v_cmpx_eq_u32_e32 0, v8
	s_cbranch_execz .LBB528_8
; %bb.7:
	v_lshrrev_b32_e32 v8, 3, v0
	s_waitcnt lgkmcnt(0)
	s_delay_alu instid0(VALU_DEP_1)
	v_dual_add_f32 v5, v5, v9 :: v_dual_and_b32 v8, 0x7c, v8
	ds_store_b32 v8, v5
.LBB528_8:
	s_or_b32 exec_lo, exec_lo, s1
	v_mov_b32_e32 v5, 0
	s_waitcnt lgkmcnt(0)
	s_barrier
	buffer_gl0_inv
	s_and_saveexec_b32 s0, vcc_lo
	s_cbranch_execz .LBB528_10
; %bb.9:
	ds_load_b32 v5, v1
.LBB528_10:
	s_or_b32 exec_lo, exec_lo, s0
	s_and_saveexec_b32 s0, vcc_lo
	s_cbranch_execz .LBB528_12
; %bb.11:
	s_waitcnt lgkmcnt(0)
	ds_bpermute_b32 v1, v2, v5
	s_waitcnt lgkmcnt(0)
	v_add_f32_e32 v1, v5, v1
	ds_bpermute_b32 v2, v3, v1
	s_waitcnt lgkmcnt(0)
	v_add_f32_e32 v1, v1, v2
	;; [unrolled: 3-line block ×5, first 2 shown]
.LBB528_12:
	s_or_b32 exec_lo, exec_lo, s0
	s_delay_alu instid0(SALU_CYCLE_1)
	s_mov_b32 s0, exec_lo
	v_cmpx_eq_u32_e32 0, v0
	s_cbranch_execz .LBB528_18
; %bb.13:
	s_waitcnt lgkmcnt(0)
	v_and_b32_e32 v0, 0x7f800000, v5
	s_delay_alu instid0(VALU_DEP_1) | instskip(SKIP_1) | instid1(SALU_CYCLE_1)
	v_cmp_ne_u32_e32 vcc_lo, 0x7f800000, v0
                                        ; implicit-def: $vgpr0
	s_and_saveexec_b32 s0, vcc_lo
	s_xor_b32 s0, exec_lo, s0
; %bb.14:
	v_bfe_u32 v0, v5, 16, 1
	s_delay_alu instid0(VALU_DEP_1)
	v_add3_u32 v0, v5, v0, 0x7fff
                                        ; implicit-def: $vgpr5
; %bb.15:
	s_and_not1_saveexec_b32 s0, s0
; %bb.16:
	v_and_b32_e32 v0, 0xffff, v5
	v_or_b32_e32 v1, 0x10000, v5
	s_delay_alu instid0(VALU_DEP_2) | instskip(NEXT) | instid1(VALU_DEP_2)
	v_cmp_eq_u32_e32 vcc_lo, 0, v0
	v_cndmask_b32_e32 v0, v1, v5, vcc_lo
; %bb.17:
	s_or_b32 exec_lo, exec_lo, s0
	s_lshl_b64 s[0:1], s[8:9], 1
	v_mov_b32_e32 v1, 0
	s_add_u32 s0, s2, s0
	s_addc_u32 s1, s3, s1
	global_store_d16_hi_b16 v1, v0, s[0:1]
.LBB528_18:
	s_nop 0
	s_sendmsg sendmsg(MSG_DEALLOC_VGPRS)
	s_endpgm
	.section	.rodata,"a",@progbits
	.p2align	6, 0x0
	.amdhsa_kernel _ZL18rocblas_dot_kernelIiLb1ELi1024ELi32ELb1E16rocblas_bfloat16PKS0_fEviT5_lT_lS3_lS4_liPT6_PT4_
		.amdhsa_group_segment_fixed_size 128
		.amdhsa_private_segment_fixed_size 0
		.amdhsa_kernarg_size 352
		.amdhsa_user_sgpr_count 14
		.amdhsa_user_sgpr_dispatch_ptr 0
		.amdhsa_user_sgpr_queue_ptr 0
		.amdhsa_user_sgpr_kernarg_segment_ptr 1
		.amdhsa_user_sgpr_dispatch_id 0
		.amdhsa_user_sgpr_private_segment_size 0
		.amdhsa_wavefront_size32 1
		.amdhsa_uses_dynamic_stack 0
		.amdhsa_enable_private_segment 0
		.amdhsa_system_sgpr_workgroup_id_x 1
		.amdhsa_system_sgpr_workgroup_id_y 0
		.amdhsa_system_sgpr_workgroup_id_z 1
		.amdhsa_system_sgpr_workgroup_info 0
		.amdhsa_system_vgpr_workitem_id 0
		.amdhsa_next_free_vgpr 10
		.amdhsa_next_free_sgpr 25
		.amdhsa_reserve_vcc 1
		.amdhsa_float_round_mode_32 0
		.amdhsa_float_round_mode_16_64 0
		.amdhsa_float_denorm_mode_32 3
		.amdhsa_float_denorm_mode_16_64 3
		.amdhsa_dx10_clamp 1
		.amdhsa_ieee_mode 1
		.amdhsa_fp16_overflow 0
		.amdhsa_workgroup_processor_mode 1
		.amdhsa_memory_ordered 1
		.amdhsa_forward_progress 0
		.amdhsa_shared_vgpr_count 0
		.amdhsa_exception_fp_ieee_invalid_op 0
		.amdhsa_exception_fp_denorm_src 0
		.amdhsa_exception_fp_ieee_div_zero 0
		.amdhsa_exception_fp_ieee_overflow 0
		.amdhsa_exception_fp_ieee_underflow 0
		.amdhsa_exception_fp_ieee_inexact 0
		.amdhsa_exception_int_div_zero 0
	.end_amdhsa_kernel
	.section	.text._ZL18rocblas_dot_kernelIiLb1ELi1024ELi32ELb1E16rocblas_bfloat16PKS0_fEviT5_lT_lS3_lS4_liPT6_PT4_,"axG",@progbits,_ZL18rocblas_dot_kernelIiLb1ELi1024ELi32ELb1E16rocblas_bfloat16PKS0_fEviT5_lT_lS3_lS4_liPT6_PT4_,comdat
.Lfunc_end528:
	.size	_ZL18rocblas_dot_kernelIiLb1ELi1024ELi32ELb1E16rocblas_bfloat16PKS0_fEviT5_lT_lS3_lS4_liPT6_PT4_, .Lfunc_end528-_ZL18rocblas_dot_kernelIiLb1ELi1024ELi32ELb1E16rocblas_bfloat16PKS0_fEviT5_lT_lS3_lS4_liPT6_PT4_
                                        ; -- End function
	.section	.AMDGPU.csdata,"",@progbits
; Kernel info:
; codeLenInByte = 1048
; NumSgprs: 27
; NumVgprs: 10
; ScratchSize: 0
; MemoryBound: 0
; FloatMode: 240
; IeeeMode: 1
; LDSByteSize: 128 bytes/workgroup (compile time only)
; SGPRBlocks: 3
; VGPRBlocks: 1
; NumSGPRsForWavesPerEU: 27
; NumVGPRsForWavesPerEU: 10
; Occupancy: 16
; WaveLimiterHint : 0
; COMPUTE_PGM_RSRC2:SCRATCH_EN: 0
; COMPUTE_PGM_RSRC2:USER_SGPR: 14
; COMPUTE_PGM_RSRC2:TRAP_HANDLER: 0
; COMPUTE_PGM_RSRC2:TGID_X_EN: 1
; COMPUTE_PGM_RSRC2:TGID_Y_EN: 0
; COMPUTE_PGM_RSRC2:TGID_Z_EN: 1
; COMPUTE_PGM_RSRC2:TIDIG_COMP_CNT: 0
	.section	.text._ZL24rocblas_dot_kernel_magsqIiLb1ELi1024ELi32ELb1E16rocblas_bfloat16PKS0_fEviT5_lT_liPT6_PT4_,"axG",@progbits,_ZL24rocblas_dot_kernel_magsqIiLb1ELi1024ELi32ELb1E16rocblas_bfloat16PKS0_fEviT5_lT_liPT6_PT4_,comdat
	.globl	_ZL24rocblas_dot_kernel_magsqIiLb1ELi1024ELi32ELb1E16rocblas_bfloat16PKS0_fEviT5_lT_liPT6_PT4_ ; -- Begin function _ZL24rocblas_dot_kernel_magsqIiLb1ELi1024ELi32ELb1E16rocblas_bfloat16PKS0_fEviT5_lT_liPT6_PT4_
	.p2align	8
	.type	_ZL24rocblas_dot_kernel_magsqIiLb1ELi1024ELi32ELb1E16rocblas_bfloat16PKS0_fEviT5_lT_liPT6_PT4_,@function
_ZL24rocblas_dot_kernel_magsqIiLb1ELi1024ELi32ELb1E16rocblas_bfloat16PKS0_fEviT5_lT_liPT6_PT4_: ; @_ZL24rocblas_dot_kernel_magsqIiLb1ELi1024ELi32ELb1E16rocblas_bfloat16PKS0_fEviT5_lT_liPT6_PT4_
; %bb.0:
	s_clause 0x1
	s_load_b32 s8, s[0:1], 0x0
	s_load_b64 s[2:3], s[0:1], 0x38
	v_mov_b32_e32 v3, 0
	s_mov_b32 s4, s15
	s_mov_b32 s5, 0
	s_mov_b32 s9, exec_lo
	s_waitcnt lgkmcnt(0)
	v_cmpx_gt_i32_e64 s8, v0
	s_cbranch_execz .LBB529_4
; %bb.1:
	s_clause 0x3
	s_load_b32 s10, s[0:1], 0x40
	s_load_b64 s[6:7], s[0:1], 0x20
	s_load_b32 s16, s[0:1], 0x18
	s_load_b128 s[12:15], s[0:1], 0x8
	v_mov_b32_e32 v3, 0
	s_waitcnt lgkmcnt(0)
	s_lshl_b32 s1, s10, 10
	s_mul_i32 s0, s7, s4
	v_mad_i64_i32 v[1:2], null, s16, v0, 0
	s_mul_hi_u32 s7, s6, s4
	s_mul_i32 s6, s6, s4
	s_add_i32 s7, s7, s0
	s_lshl_b64 s[10:11], s[14:15], 1
	s_lshl_b64 s[6:7], s[6:7], 1
	s_add_u32 s0, s12, s10
	s_delay_alu instid0(VALU_DEP_1)
	v_lshlrev_b64 v[1:2], 1, v[1:2]
	s_addc_u32 s10, s13, s11
	s_add_u32 s0, s0, s6
	s_addc_u32 s6, s10, s7
	v_or_b32_e32 v4, s1, v0
	s_mul_hi_i32 s15, s16, s1
	v_add_co_u32 v1, vcc_lo, s0, v1
	v_add_co_ci_u32_e32 v2, vcc_lo, s6, v2, vcc_lo
	s_mul_i32 s14, s16, s1
	s_mov_b32 s10, s5
	s_lshl_b64 s[6:7], s[14:15], 1
	s_mov_b32 s11, s5
	.p2align	6
.LBB529_2:                              ; =>This Inner Loop Header: Depth=1
	global_load_u16 v5, v[1:2], off
	s_add_i32 s12, s11, 1
	v_cmp_le_i32_e32 vcc_lo, s8, v4
	v_add_co_u32 v1, s0, v1, s6
	s_cmp_gt_u32 s11, 30
	v_add_co_ci_u32_e64 v2, s0, s7, v2, s0
	s_cselect_b32 s0, -1, 0
	s_mov_b32 s11, s12
	s_or_b32 s0, s0, vcc_lo
	s_delay_alu instid0(SALU_CYCLE_1) | instskip(NEXT) | instid1(SALU_CYCLE_1)
	s_and_b32 s0, exec_lo, s0
	s_or_b32 s10, s0, s10
	s_waitcnt vmcnt(0)
	v_lshlrev_b32_e32 v5, 16, v5
	s_delay_alu instid0(VALU_DEP_1)
	v_dual_fmac_f32 v3, v5, v5 :: v_dual_add_nc_u32 v4, s1, v4
	s_and_not1_b32 exec_lo, exec_lo, s10
	s_cbranch_execnz .LBB529_2
; %bb.3:
	s_or_b32 exec_lo, exec_lo, s10
.LBB529_4:
	s_delay_alu instid0(SALU_CYCLE_1) | instskip(SKIP_2) | instid1(VALU_DEP_2)
	s_or_b32 exec_lo, exec_lo, s9
	v_and_b32_e32 v5, 31, v0
	v_cmp_gt_u32_e32 vcc_lo, 32, v0
	v_lshlrev_b32_e32 v1, 2, v5
	s_and_saveexec_b32 s0, vcc_lo
	s_cbranch_execz .LBB529_6
; %bb.5:
	v_mov_b32_e32 v2, 0
	ds_store_b32 v1, v2
.LBB529_6:
	s_or_b32 exec_lo, exec_lo, s0
	v_mbcnt_lo_u32_b32 v7, -1, 0
	s_mov_b32 s1, exec_lo
	s_waitcnt lgkmcnt(0)
	s_barrier
	buffer_gl0_inv
	v_cmp_gt_u32_e64 s0, 16, v7
	s_delay_alu instid0(VALU_DEP_1) | instskip(SKIP_1) | instid1(VALU_DEP_2)
	v_cndmask_b32_e64 v2, 0, 1, s0
	v_cmp_gt_u32_e64 s0, 24, v7
	v_lshlrev_b32_e32 v2, 4, v2
	s_delay_alu instid0(VALU_DEP_2) | instskip(SKIP_1) | instid1(VALU_DEP_3)
	v_cndmask_b32_e64 v4, 0, 1, s0
	v_cmp_gt_u32_e64 s0, 28, v7
	v_add_lshl_u32 v2, v2, v7, 2
	s_delay_alu instid0(VALU_DEP_3)
	v_lshlrev_b32_e32 v4, 3, v4
	ds_bpermute_b32 v6, v2, v3
	v_add_lshl_u32 v4, v4, v7, 2
	s_waitcnt lgkmcnt(0)
	v_add_f32_e32 v6, v3, v6
	v_cndmask_b32_e64 v3, 0, 1, s0
	v_cmp_gt_u32_e64 s0, 30, v7
	s_delay_alu instid0(VALU_DEP_2)
	v_lshlrev_b32_e32 v3, 2, v3
	ds_bpermute_b32 v8, v4, v6
	v_add_lshl_u32 v3, v3, v7, 2
	s_waitcnt lgkmcnt(0)
	v_add_f32_e32 v8, v6, v8
	v_cndmask_b32_e64 v6, 0, 1, s0
	v_cmp_ne_u32_e64 s0, 31, v7
	s_delay_alu instid0(VALU_DEP_2) | instskip(NEXT) | instid1(VALU_DEP_1)
	v_lshlrev_b32_e32 v6, 1, v6
	v_add_lshl_u32 v6, v6, v7, 2
	s_delay_alu instid0(VALU_DEP_3) | instskip(NEXT) | instid1(VALU_DEP_1)
	v_add_co_ci_u32_e64 v7, s0, 0, v7, s0
	v_lshlrev_b32_e32 v7, 2, v7
	ds_bpermute_b32 v9, v3, v8
	s_waitcnt lgkmcnt(0)
	v_add_f32_e32 v8, v8, v9
	ds_bpermute_b32 v9, v6, v8
	s_waitcnt lgkmcnt(0)
	v_add_f32_e32 v8, v8, v9
	ds_bpermute_b32 v9, v7, v8
	v_cmpx_eq_u32_e32 0, v5
	s_cbranch_execz .LBB529_8
; %bb.7:
	v_lshrrev_b32_e32 v5, 3, v0
	s_waitcnt lgkmcnt(0)
	v_add_f32_e32 v8, v8, v9
	s_delay_alu instid0(VALU_DEP_2)
	v_and_b32_e32 v5, 0x7c, v5
	ds_store_b32 v5, v8
.LBB529_8:
	s_or_b32 exec_lo, exec_lo, s1
	v_mov_b32_e32 v5, 0
	s_waitcnt lgkmcnt(0)
	s_barrier
	buffer_gl0_inv
	s_and_saveexec_b32 s0, vcc_lo
	s_cbranch_execz .LBB529_10
; %bb.9:
	ds_load_b32 v5, v1
.LBB529_10:
	s_or_b32 exec_lo, exec_lo, s0
	s_and_saveexec_b32 s0, vcc_lo
	s_cbranch_execz .LBB529_12
; %bb.11:
	s_waitcnt lgkmcnt(0)
	ds_bpermute_b32 v1, v2, v5
	s_waitcnt lgkmcnt(0)
	v_add_f32_e32 v1, v5, v1
	ds_bpermute_b32 v2, v4, v1
	s_waitcnt lgkmcnt(0)
	v_add_f32_e32 v1, v1, v2
	;; [unrolled: 3-line block ×5, first 2 shown]
.LBB529_12:
	s_or_b32 exec_lo, exec_lo, s0
	s_delay_alu instid0(SALU_CYCLE_1)
	s_mov_b32 s0, exec_lo
	v_cmpx_eq_u32_e32 0, v0
	s_cbranch_execz .LBB529_18
; %bb.13:
	s_waitcnt lgkmcnt(0)
	v_and_b32_e32 v0, 0x7f800000, v5
	s_delay_alu instid0(VALU_DEP_1) | instskip(SKIP_1) | instid1(SALU_CYCLE_1)
	v_cmp_ne_u32_e32 vcc_lo, 0x7f800000, v0
                                        ; implicit-def: $vgpr0
	s_and_saveexec_b32 s0, vcc_lo
	s_xor_b32 s0, exec_lo, s0
; %bb.14:
	v_bfe_u32 v0, v5, 16, 1
	s_delay_alu instid0(VALU_DEP_1)
	v_add3_u32 v0, v5, v0, 0x7fff
                                        ; implicit-def: $vgpr5
; %bb.15:
	s_and_not1_saveexec_b32 s0, s0
; %bb.16:
	v_and_b32_e32 v0, 0xffff, v5
	v_or_b32_e32 v1, 0x10000, v5
	s_delay_alu instid0(VALU_DEP_2) | instskip(NEXT) | instid1(VALU_DEP_2)
	v_cmp_eq_u32_e32 vcc_lo, 0, v0
	v_cndmask_b32_e32 v0, v1, v5, vcc_lo
; %bb.17:
	s_or_b32 exec_lo, exec_lo, s0
	s_lshl_b64 s[0:1], s[4:5], 1
	v_mov_b32_e32 v1, 0
	s_add_u32 s0, s2, s0
	s_addc_u32 s1, s3, s1
	global_store_d16_hi_b16 v1, v0, s[0:1]
.LBB529_18:
	s_nop 0
	s_sendmsg sendmsg(MSG_DEALLOC_VGPRS)
	s_endpgm
	.section	.rodata,"a",@progbits
	.p2align	6, 0x0
	.amdhsa_kernel _ZL24rocblas_dot_kernel_magsqIiLb1ELi1024ELi32ELb1E16rocblas_bfloat16PKS0_fEviT5_lT_liPT6_PT4_
		.amdhsa_group_segment_fixed_size 128
		.amdhsa_private_segment_fixed_size 0
		.amdhsa_kernarg_size 320
		.amdhsa_user_sgpr_count 14
		.amdhsa_user_sgpr_dispatch_ptr 0
		.amdhsa_user_sgpr_queue_ptr 0
		.amdhsa_user_sgpr_kernarg_segment_ptr 1
		.amdhsa_user_sgpr_dispatch_id 0
		.amdhsa_user_sgpr_private_segment_size 0
		.amdhsa_wavefront_size32 1
		.amdhsa_uses_dynamic_stack 0
		.amdhsa_enable_private_segment 0
		.amdhsa_system_sgpr_workgroup_id_x 1
		.amdhsa_system_sgpr_workgroup_id_y 0
		.amdhsa_system_sgpr_workgroup_id_z 1
		.amdhsa_system_sgpr_workgroup_info 0
		.amdhsa_system_vgpr_workitem_id 0
		.amdhsa_next_free_vgpr 10
		.amdhsa_next_free_sgpr 17
		.amdhsa_reserve_vcc 1
		.amdhsa_float_round_mode_32 0
		.amdhsa_float_round_mode_16_64 0
		.amdhsa_float_denorm_mode_32 3
		.amdhsa_float_denorm_mode_16_64 3
		.amdhsa_dx10_clamp 1
		.amdhsa_ieee_mode 1
		.amdhsa_fp16_overflow 0
		.amdhsa_workgroup_processor_mode 1
		.amdhsa_memory_ordered 1
		.amdhsa_forward_progress 0
		.amdhsa_shared_vgpr_count 0
		.amdhsa_exception_fp_ieee_invalid_op 0
		.amdhsa_exception_fp_denorm_src 0
		.amdhsa_exception_fp_ieee_div_zero 0
		.amdhsa_exception_fp_ieee_overflow 0
		.amdhsa_exception_fp_ieee_underflow 0
		.amdhsa_exception_fp_ieee_inexact 0
		.amdhsa_exception_int_div_zero 0
	.end_amdhsa_kernel
	.section	.text._ZL24rocblas_dot_kernel_magsqIiLb1ELi1024ELi32ELb1E16rocblas_bfloat16PKS0_fEviT5_lT_liPT6_PT4_,"axG",@progbits,_ZL24rocblas_dot_kernel_magsqIiLb1ELi1024ELi32ELb1E16rocblas_bfloat16PKS0_fEviT5_lT_liPT6_PT4_,comdat
.Lfunc_end529:
	.size	_ZL24rocblas_dot_kernel_magsqIiLb1ELi1024ELi32ELb1E16rocblas_bfloat16PKS0_fEviT5_lT_liPT6_PT4_, .Lfunc_end529-_ZL24rocblas_dot_kernel_magsqIiLb1ELi1024ELi32ELb1E16rocblas_bfloat16PKS0_fEviT5_lT_liPT6_PT4_
                                        ; -- End function
	.section	.AMDGPU.csdata,"",@progbits
; Kernel info:
; codeLenInByte = 912
; NumSgprs: 19
; NumVgprs: 10
; ScratchSize: 0
; MemoryBound: 0
; FloatMode: 240
; IeeeMode: 1
; LDSByteSize: 128 bytes/workgroup (compile time only)
; SGPRBlocks: 2
; VGPRBlocks: 1
; NumSGPRsForWavesPerEU: 19
; NumVGPRsForWavesPerEU: 10
; Occupancy: 16
; WaveLimiterHint : 0
; COMPUTE_PGM_RSRC2:SCRATCH_EN: 0
; COMPUTE_PGM_RSRC2:USER_SGPR: 14
; COMPUTE_PGM_RSRC2:TRAP_HANDLER: 0
; COMPUTE_PGM_RSRC2:TGID_X_EN: 1
; COMPUTE_PGM_RSRC2:TGID_Y_EN: 0
; COMPUTE_PGM_RSRC2:TGID_Z_EN: 1
; COMPUTE_PGM_RSRC2:TIDIG_COMP_CNT: 0
	.section	.text._ZL23rocblas_dot_kernel_inc1ILb0ELi512ELi8ELb1E16rocblas_bfloat16PKS0_fEviT4_llS3_lliPT5_PT3_,"axG",@progbits,_ZL23rocblas_dot_kernel_inc1ILb0ELi512ELi8ELb1E16rocblas_bfloat16PKS0_fEviT4_llS3_lliPT5_PT3_,comdat
	.globl	_ZL23rocblas_dot_kernel_inc1ILb0ELi512ELi8ELb1E16rocblas_bfloat16PKS0_fEviT4_llS3_lliPT5_PT3_ ; -- Begin function _ZL23rocblas_dot_kernel_inc1ILb0ELi512ELi8ELb1E16rocblas_bfloat16PKS0_fEviT4_llS3_lliPT5_PT3_
	.p2align	8
	.type	_ZL23rocblas_dot_kernel_inc1ILb0ELi512ELi8ELb1E16rocblas_bfloat16PKS0_fEviT4_llS3_lliPT5_PT3_,@function
_ZL23rocblas_dot_kernel_inc1ILb0ELi512ELi8ELb1E16rocblas_bfloat16PKS0_fEviT4_llS3_lliPT5_PT3_: ; @_ZL23rocblas_dot_kernel_inc1ILb0ELi512ELi8ELb1E16rocblas_bfloat16PKS0_fEviT4_llS3_lliPT5_PT3_
; %bb.0:
	s_clause 0x2
	s_load_b32 s12, s[0:1], 0x50
	s_load_b32 s13, s[0:1], 0x0
	s_load_b128 s[4:7], s[0:1], 0x40
	v_lshl_or_b32 v1, s14, 9, v0
	v_mov_b32_e32 v4, 0
	s_mov_b32 s2, s15
	s_mov_b32 s3, 0
	s_mov_b32 s15, exec_lo
	s_waitcnt lgkmcnt(0)
	v_cmpx_gt_i32_e64 s13, v1
	s_cbranch_execz .LBB530_4
; %bb.1:
	s_clause 0x3
	s_load_b128 s[8:11], s[0:1], 0x10
	s_load_b128 s[20:23], s[0:1], 0x28
	s_load_b64 s[16:17], s[0:1], 0x8
	s_load_b64 s[18:19], s[0:1], 0x20
	v_ashrrev_i32_e32 v2, 31, v1
	s_delay_alu instid0(VALU_DEP_1)
	v_lshlrev_b64 v[2:3], 1, v[1:2]
	s_waitcnt lgkmcnt(0)
	s_mul_i32 s1, s2, s11
	s_mul_hi_u32 s11, s2, s10
	s_mul_i32 s0, s2, s10
	s_add_i32 s1, s11, s1
	s_mul_i32 s11, s2, s23
	s_lshl_b64 s[0:1], s[0:1], 1
	s_mul_hi_u32 s23, s2, s22
	s_add_u32 s0, s16, s0
	s_addc_u32 s16, s17, s1
	s_lshl_b64 s[8:9], s[8:9], 1
	s_mul_i32 s10, s2, s22
	s_add_u32 s1, s0, s8
	s_addc_u32 s16, s16, s9
	s_add_i32 s11, s23, s11
	s_delay_alu instid0(SALU_CYCLE_1) | instskip(NEXT) | instid1(SALU_CYCLE_1)
	s_lshl_b64 s[8:9], s[10:11], 1
	s_add_u32 s0, s18, s8
	s_addc_u32 s10, s19, s9
	s_lshl_b64 s[8:9], s[20:21], 1
	s_mov_b32 s19, s3
	s_add_u32 s17, s0, s8
	s_addc_u32 s18, s10, s9
	s_lshl_b32 s8, s12, 9
	s_delay_alu instid0(SALU_CYCLE_1) | instskip(SKIP_1) | instid1(SALU_CYCLE_1)
	v_dual_mov_b32 v4, 0 :: v_dual_add_nc_u32 v1, s8, v1
	s_ashr_i32 s9, s8, 31
	s_lshl_b64 s[10:11], s[8:9], 1
	s_mov_b32 s9, s3
	.p2align	6
.LBB530_2:                              ; =>This Inner Loop Header: Depth=1
	v_add_co_u32 v5, vcc_lo, s1, v2
	v_add_co_ci_u32_e32 v6, vcc_lo, s16, v3, vcc_lo
	v_add_co_u32 v7, vcc_lo, s17, v2
	v_add_co_ci_u32_e32 v8, vcc_lo, s18, v3, vcc_lo
	s_add_i32 s20, s19, 1
	global_load_u16 v5, v[5:6], off
	global_load_u16 v6, v[7:8], off
	v_cmp_le_i32_e32 vcc_lo, s13, v1
	v_add_co_u32 v2, s0, v2, s10
	s_cmp_gt_u32 s19, 6
	v_add_co_ci_u32_e64 v3, s0, s11, v3, s0
	s_cselect_b32 s0, -1, 0
	v_add_nc_u32_e32 v1, s8, v1
	s_or_b32 s0, s0, vcc_lo
	s_mov_b32 s19, s20
	s_and_b32 s0, exec_lo, s0
	s_delay_alu instid0(SALU_CYCLE_1) | instskip(SKIP_4) | instid1(VALU_DEP_1)
	s_or_b32 s9, s0, s9
	s_waitcnt vmcnt(1)
	v_lshlrev_b32_e32 v5, 16, v5
	s_waitcnt vmcnt(0)
	v_lshlrev_b32_e32 v6, 16, v6
	v_fmac_f32_e32 v4, v6, v5
	s_and_not1_b32 exec_lo, exec_lo, s9
	s_cbranch_execnz .LBB530_2
; %bb.3:
	s_or_b32 exec_lo, exec_lo, s9
.LBB530_4:
	s_delay_alu instid0(SALU_CYCLE_1) | instskip(SKIP_2) | instid1(VALU_DEP_2)
	s_or_b32 exec_lo, exec_lo, s15
	v_and_b32_e32 v1, 31, v0
	v_cmp_gt_u32_e32 vcc_lo, 32, v0
	v_lshlrev_b32_e32 v2, 2, v1
	s_and_saveexec_b32 s0, vcc_lo
	s_cbranch_execz .LBB530_6
; %bb.5:
	v_mov_b32_e32 v3, 0
	ds_store_b32 v2, v3
.LBB530_6:
	s_or_b32 exec_lo, exec_lo, s0
	v_mbcnt_lo_u32_b32 v6, -1, 0
	s_mov_b32 s1, exec_lo
	s_waitcnt lgkmcnt(0)
	s_barrier
	buffer_gl0_inv
	v_cmp_gt_u32_e64 s0, 16, v6
	s_delay_alu instid0(VALU_DEP_1) | instskip(SKIP_1) | instid1(VALU_DEP_2)
	v_cndmask_b32_e64 v3, 0, 1, s0
	v_cmp_gt_u32_e64 s0, 24, v6
	v_lshlrev_b32_e32 v3, 4, v3
	s_delay_alu instid0(VALU_DEP_1) | instskip(SKIP_3) | instid1(VALU_DEP_2)
	v_add_lshl_u32 v3, v3, v6, 2
	ds_bpermute_b32 v5, v3, v4
	v_cndmask_b32_e64 v3, 0, 1, s0
	v_cmp_gt_u32_e64 s0, 28, v6
	v_lshlrev_b32_e32 v3, 3, v3
	s_delay_alu instid0(VALU_DEP_1) | instskip(SKIP_4) | instid1(VALU_DEP_2)
	v_add_lshl_u32 v3, v3, v6, 2
	s_waitcnt lgkmcnt(0)
	v_add_f32_e32 v5, v4, v5
	v_cndmask_b32_e64 v4, 0, 1, s0
	v_cmp_gt_u32_e64 s0, 30, v6
	v_lshlrev_b32_e32 v4, 2, v4
	ds_bpermute_b32 v7, v3, v5
	v_add_lshl_u32 v4, v4, v6, 2
	s_waitcnt lgkmcnt(0)
	v_add_f32_e32 v7, v5, v7
	v_cndmask_b32_e64 v5, 0, 1, s0
	v_cmp_ne_u32_e64 s0, 31, v6
	s_delay_alu instid0(VALU_DEP_2) | instskip(NEXT) | instid1(VALU_DEP_1)
	v_lshlrev_b32_e32 v5, 1, v5
	v_add_lshl_u32 v5, v5, v6, 2
	s_delay_alu instid0(VALU_DEP_3) | instskip(NEXT) | instid1(VALU_DEP_1)
	v_add_co_ci_u32_e64 v6, s0, 0, v6, s0
	v_lshlrev_b32_e32 v6, 2, v6
	ds_bpermute_b32 v8, v4, v7
	s_waitcnt lgkmcnt(0)
	v_add_f32_e32 v7, v7, v8
	ds_bpermute_b32 v8, v5, v7
	s_waitcnt lgkmcnt(0)
	v_add_f32_e32 v7, v7, v8
	ds_bpermute_b32 v8, v6, v7
	v_cmpx_eq_u32_e32 0, v1
	s_cbranch_execz .LBB530_8
; %bb.7:
	v_lshrrev_b32_e32 v1, 3, v0
	s_waitcnt lgkmcnt(0)
	v_add_f32_e32 v7, v7, v8
	s_delay_alu instid0(VALU_DEP_2)
	v_and_b32_e32 v1, 60, v1
	ds_store_b32 v1, v7
.LBB530_8:
	s_or_b32 exec_lo, exec_lo, s1
	v_mov_b32_e32 v1, 0
	s_mov_b32 s1, exec_lo
	s_waitcnt lgkmcnt(0)
	s_barrier
	buffer_gl0_inv
	v_cmpx_gt_u32_e32 16, v0
	s_cbranch_execz .LBB530_10
; %bb.9:
	ds_load_b32 v1, v2
.LBB530_10:
	s_or_b32 exec_lo, exec_lo, s1
	s_and_saveexec_b32 s0, vcc_lo
	s_cbranch_execz .LBB530_12
; %bb.11:
	s_waitcnt lgkmcnt(0)
	ds_bpermute_b32 v2, v3, v1
	s_waitcnt lgkmcnt(0)
	v_add_f32_e32 v1, v1, v2
	ds_bpermute_b32 v2, v4, v1
	s_waitcnt lgkmcnt(0)
	v_add_f32_e32 v1, v1, v2
	;; [unrolled: 3-line block ×4, first 2 shown]
.LBB530_12:
	s_or_b32 exec_lo, exec_lo, s0
	s_delay_alu instid0(SALU_CYCLE_1)
	s_mov_b32 s0, exec_lo
	v_cmpx_eq_u32_e32 0, v0
	s_cbranch_execz .LBB530_21
; %bb.13:
	s_cmp_lg_u32 s12, 1
	s_mov_b32 s15, -1
	s_cbranch_scc0 .LBB530_15
; %bb.14:
	s_mul_hi_u32 s1, s12, s2
	s_mul_i32 s0, s12, s2
	s_mov_b32 s15, 0
	s_lshl_b64 s[0:1], s[0:1], 2
	v_mov_b32_e32 v0, 0
	s_add_u32 s4, s4, s0
	s_addc_u32 s5, s5, s1
	s_lshl_b64 s[0:1], s[14:15], 2
	s_delay_alu instid0(SALU_CYCLE_1)
	s_add_u32 s0, s4, s0
	s_addc_u32 s1, s5, s1
	s_waitcnt lgkmcnt(0)
	global_store_b32 v0, v1, s[0:1]
.LBB530_15:
	s_and_not1_b32 vcc_lo, exec_lo, s15
	s_cbranch_vccnz .LBB530_21
; %bb.16:
	s_waitcnt lgkmcnt(0)
	v_and_b32_e32 v0, 0x7f800000, v1
	s_delay_alu instid0(VALU_DEP_1) | instskip(SKIP_1) | instid1(SALU_CYCLE_1)
	v_cmp_ne_u32_e32 vcc_lo, 0x7f800000, v0
                                        ; implicit-def: $vgpr0
	s_and_saveexec_b32 s0, vcc_lo
	s_xor_b32 s0, exec_lo, s0
; %bb.17:
	v_bfe_u32 v0, v1, 16, 1
	s_delay_alu instid0(VALU_DEP_1)
	v_add3_u32 v0, v1, v0, 0x7fff
                                        ; implicit-def: $vgpr1
; %bb.18:
	s_and_not1_saveexec_b32 s0, s0
; %bb.19:
	v_and_b32_e32 v0, 0xffff, v1
	v_or_b32_e32 v2, 0x10000, v1
	s_delay_alu instid0(VALU_DEP_2) | instskip(NEXT) | instid1(VALU_DEP_2)
	v_cmp_eq_u32_e32 vcc_lo, 0, v0
	v_cndmask_b32_e32 v0, v2, v1, vcc_lo
; %bb.20:
	s_or_b32 exec_lo, exec_lo, s0
	s_lshl_b64 s[0:1], s[2:3], 1
	v_mov_b32_e32 v1, 0
	s_add_u32 s0, s6, s0
	s_addc_u32 s1, s7, s1
	global_store_d16_hi_b16 v1, v0, s[0:1]
.LBB530_21:
	s_nop 0
	s_sendmsg sendmsg(MSG_DEALLOC_VGPRS)
	s_endpgm
	.section	.rodata,"a",@progbits
	.p2align	6, 0x0
	.amdhsa_kernel _ZL23rocblas_dot_kernel_inc1ILb0ELi512ELi8ELb1E16rocblas_bfloat16PKS0_fEviT4_llS3_lliPT5_PT3_
		.amdhsa_group_segment_fixed_size 128
		.amdhsa_private_segment_fixed_size 0
		.amdhsa_kernarg_size 336
		.amdhsa_user_sgpr_count 14
		.amdhsa_user_sgpr_dispatch_ptr 0
		.amdhsa_user_sgpr_queue_ptr 0
		.amdhsa_user_sgpr_kernarg_segment_ptr 1
		.amdhsa_user_sgpr_dispatch_id 0
		.amdhsa_user_sgpr_private_segment_size 0
		.amdhsa_wavefront_size32 1
		.amdhsa_uses_dynamic_stack 0
		.amdhsa_enable_private_segment 0
		.amdhsa_system_sgpr_workgroup_id_x 1
		.amdhsa_system_sgpr_workgroup_id_y 0
		.amdhsa_system_sgpr_workgroup_id_z 1
		.amdhsa_system_sgpr_workgroup_info 0
		.amdhsa_system_vgpr_workitem_id 0
		.amdhsa_next_free_vgpr 9
		.amdhsa_next_free_sgpr 24
		.amdhsa_reserve_vcc 1
		.amdhsa_float_round_mode_32 0
		.amdhsa_float_round_mode_16_64 0
		.amdhsa_float_denorm_mode_32 3
		.amdhsa_float_denorm_mode_16_64 3
		.amdhsa_dx10_clamp 1
		.amdhsa_ieee_mode 1
		.amdhsa_fp16_overflow 0
		.amdhsa_workgroup_processor_mode 1
		.amdhsa_memory_ordered 1
		.amdhsa_forward_progress 0
		.amdhsa_shared_vgpr_count 0
		.amdhsa_exception_fp_ieee_invalid_op 0
		.amdhsa_exception_fp_denorm_src 0
		.amdhsa_exception_fp_ieee_div_zero 0
		.amdhsa_exception_fp_ieee_overflow 0
		.amdhsa_exception_fp_ieee_underflow 0
		.amdhsa_exception_fp_ieee_inexact 0
		.amdhsa_exception_int_div_zero 0
	.end_amdhsa_kernel
	.section	.text._ZL23rocblas_dot_kernel_inc1ILb0ELi512ELi8ELb1E16rocblas_bfloat16PKS0_fEviT4_llS3_lliPT5_PT3_,"axG",@progbits,_ZL23rocblas_dot_kernel_inc1ILb0ELi512ELi8ELb1E16rocblas_bfloat16PKS0_fEviT4_llS3_lliPT5_PT3_,comdat
.Lfunc_end530:
	.size	_ZL23rocblas_dot_kernel_inc1ILb0ELi512ELi8ELb1E16rocblas_bfloat16PKS0_fEviT4_llS3_lliPT5_PT3_, .Lfunc_end530-_ZL23rocblas_dot_kernel_inc1ILb0ELi512ELi8ELb1E16rocblas_bfloat16PKS0_fEviT4_llS3_lliPT5_PT3_
                                        ; -- End function
	.section	.AMDGPU.csdata,"",@progbits
; Kernel info:
; codeLenInByte = 1048
; NumSgprs: 26
; NumVgprs: 9
; ScratchSize: 0
; MemoryBound: 0
; FloatMode: 240
; IeeeMode: 1
; LDSByteSize: 128 bytes/workgroup (compile time only)
; SGPRBlocks: 3
; VGPRBlocks: 1
; NumSGPRsForWavesPerEU: 26
; NumVGPRsForWavesPerEU: 9
; Occupancy: 16
; WaveLimiterHint : 0
; COMPUTE_PGM_RSRC2:SCRATCH_EN: 0
; COMPUTE_PGM_RSRC2:USER_SGPR: 14
; COMPUTE_PGM_RSRC2:TRAP_HANDLER: 0
; COMPUTE_PGM_RSRC2:TGID_X_EN: 1
; COMPUTE_PGM_RSRC2:TGID_Y_EN: 0
; COMPUTE_PGM_RSRC2:TGID_Z_EN: 1
; COMPUTE_PGM_RSRC2:TIDIG_COMP_CNT: 0
	.section	.text._ZL18rocblas_dot_kernelIiLb0ELi512ELi8ELb1E16rocblas_bfloat16PKS0_fEviT5_lT_lS3_lS4_liPT6_PT4_,"axG",@progbits,_ZL18rocblas_dot_kernelIiLb0ELi512ELi8ELb1E16rocblas_bfloat16PKS0_fEviT5_lT_lS3_lS4_liPT6_PT4_,comdat
	.globl	_ZL18rocblas_dot_kernelIiLb0ELi512ELi8ELb1E16rocblas_bfloat16PKS0_fEviT5_lT_lS3_lS4_liPT6_PT4_ ; -- Begin function _ZL18rocblas_dot_kernelIiLb0ELi512ELi8ELb1E16rocblas_bfloat16PKS0_fEviT5_lT_lS3_lS4_liPT6_PT4_
	.p2align	8
	.type	_ZL18rocblas_dot_kernelIiLb0ELi512ELi8ELb1E16rocblas_bfloat16PKS0_fEviT5_lT_lS3_lS4_liPT6_PT4_,@function
_ZL18rocblas_dot_kernelIiLb0ELi512ELi8ELb1E16rocblas_bfloat16PKS0_fEviT5_lT_lS3_lS4_liPT6_PT4_: ; @_ZL18rocblas_dot_kernelIiLb0ELi512ELi8ELb1E16rocblas_bfloat16PKS0_fEviT5_lT_lS3_lS4_liPT6_PT4_
; %bb.0:
	s_clause 0x2
	s_load_b32 s12, s[0:1], 0x60
	s_load_b32 s13, s[0:1], 0x0
	s_load_b128 s[4:7], s[0:1], 0x50
	v_lshl_or_b32 v1, s14, 9, v0
	v_mov_b32_e32 v6, 0
	s_mov_b32 s2, s15
	s_mov_b32 s3, 0
	s_mov_b32 s15, exec_lo
	s_waitcnt lgkmcnt(0)
	v_cmpx_gt_i32_e64 s13, v1
	s_cbranch_execz .LBB531_4
; %bb.1:
	s_clause 0x5
	s_load_b32 s17, s[0:1], 0x18
	s_load_b128 s[8:11], s[0:1], 0x20
	s_load_b128 s[20:23], s[0:1], 0x8
	s_load_b32 s26, s[0:1], 0x38
	s_load_b64 s[18:19], s[0:1], 0x40
	s_load_b64 s[0:1], s[0:1], 0x30
	s_lshl_b32 s16, s12, 9
	s_delay_alu instid0(SALU_CYCLE_1)
	v_add_nc_u32_e32 v5, s16, v1
	s_waitcnt lgkmcnt(0)
	v_mad_i64_i32 v[2:3], null, s17, v1, 0
	s_mul_i32 s9, s9, s2
	s_mul_hi_u32 s27, s8, s2
	v_mad_i64_i32 v[6:7], null, s26, v1, 0
	s_mul_i32 s8, s8, s2
	s_add_i32 s9, s27, s9
	s_lshl_b64 s[22:23], s[22:23], 1
	s_lshl_b64 s[8:9], s[8:9], 1
	s_add_u32 s20, s20, s22
	s_mul_hi_i32 s25, s17, s16
	s_mul_i32 s24, s17, s16
	s_mul_i32 s17, s19, s2
	s_mul_hi_u32 s19, s18, s2
	s_addc_u32 s21, s21, s23
	v_lshlrev_b64 v[1:2], 1, v[2:3]
	s_add_u32 s20, s20, s8
	s_mul_i32 s18, s18, s2
	s_addc_u32 s21, s21, s9
	s_add_i32 s19, s19, s17
	v_lshlrev_b64 v[3:4], 1, v[6:7]
	v_mov_b32_e32 v6, 0
	s_lshl_b64 s[0:1], s[0:1], 1
	s_lshl_b64 s[8:9], s[24:25], 1
	;; [unrolled: 1-line block ×3, first 2 shown]
	s_add_u32 s0, s10, s0
	v_add_co_u32 v1, vcc_lo, s20, v1
	s_addc_u32 s1, s11, s1
	s_add_u32 s0, s0, s18
	v_add_co_ci_u32_e32 v2, vcc_lo, s21, v2, vcc_lo
	s_addc_u32 s1, s1, s19
	v_add_co_u32 v3, vcc_lo, s0, v3
	v_add_co_ci_u32_e32 v4, vcc_lo, s1, v4, vcc_lo
	s_mul_hi_i32 s1, s26, s16
	s_mul_i32 s0, s26, s16
	s_mov_b32 s17, s3
	s_lshl_b64 s[10:11], s[0:1], 1
	s_mov_b32 s1, s3
	.p2align	6
.LBB531_2:                              ; =>This Inner Loop Header: Depth=1
	global_load_u16 v7, v[1:2], off
	global_load_u16 v8, v[3:4], off
	v_add_co_u32 v1, s0, v1, s8
	s_delay_alu instid0(VALU_DEP_1)
	v_add_co_ci_u32_e64 v2, s0, s9, v2, s0
	s_add_i32 s18, s17, 1
	v_cmp_le_i32_e32 vcc_lo, s13, v5
	v_add_co_u32 v3, s0, v3, s10
	s_cmp_gt_u32 s17, 6
	v_add_co_ci_u32_e64 v4, s0, s11, v4, s0
	s_cselect_b32 s0, -1, 0
	s_mov_b32 s17, s18
	s_or_b32 s0, s0, vcc_lo
	s_delay_alu instid0(SALU_CYCLE_1) | instskip(NEXT) | instid1(SALU_CYCLE_1)
	s_and_b32 s0, exec_lo, s0
	s_or_b32 s1, s0, s1
	s_waitcnt vmcnt(1)
	v_lshlrev_b32_e32 v7, 16, v7
	s_waitcnt vmcnt(0)
	v_lshlrev_b32_e32 v8, 16, v8
	s_delay_alu instid0(VALU_DEP_1)
	v_dual_fmac_f32 v6, v8, v7 :: v_dual_add_nc_u32 v5, s16, v5
	s_and_not1_b32 exec_lo, exec_lo, s1
	s_cbranch_execnz .LBB531_2
; %bb.3:
	s_or_b32 exec_lo, exec_lo, s1
.LBB531_4:
	s_delay_alu instid0(SALU_CYCLE_1) | instskip(SKIP_2) | instid1(VALU_DEP_2)
	s_or_b32 exec_lo, exec_lo, s15
	v_and_b32_e32 v1, 31, v0
	v_cmp_gt_u32_e32 vcc_lo, 32, v0
	v_lshlrev_b32_e32 v2, 2, v1
	s_and_saveexec_b32 s0, vcc_lo
	s_cbranch_execz .LBB531_6
; %bb.5:
	v_mov_b32_e32 v3, 0
	ds_store_b32 v2, v3
.LBB531_6:
	s_or_b32 exec_lo, exec_lo, s0
	v_mbcnt_lo_u32_b32 v7, -1, 0
	s_mov_b32 s1, exec_lo
	s_waitcnt lgkmcnt(0)
	s_barrier
	buffer_gl0_inv
	v_cmp_gt_u32_e64 s0, 16, v7
	s_delay_alu instid0(VALU_DEP_1) | instskip(SKIP_1) | instid1(VALU_DEP_2)
	v_cndmask_b32_e64 v3, 0, 1, s0
	v_cmp_gt_u32_e64 s0, 24, v7
	v_lshlrev_b32_e32 v3, 4, v3
	s_delay_alu instid0(VALU_DEP_1) | instskip(SKIP_3) | instid1(VALU_DEP_2)
	v_add_lshl_u32 v3, v3, v7, 2
	ds_bpermute_b32 v4, v3, v6
	v_cndmask_b32_e64 v3, 0, 1, s0
	v_cmp_gt_u32_e64 s0, 28, v7
	v_lshlrev_b32_e32 v3, 3, v3
	s_delay_alu instid0(VALU_DEP_1)
	v_add_lshl_u32 v3, v3, v7, 2
	s_waitcnt lgkmcnt(0)
	v_add_f32_e32 v5, v6, v4
	v_cndmask_b32_e64 v4, 0, 1, s0
	v_cmp_gt_u32_e64 s0, 30, v7
	ds_bpermute_b32 v6, v3, v5
	v_lshlrev_b32_e32 v4, 2, v4
	s_delay_alu instid0(VALU_DEP_1)
	v_add_lshl_u32 v4, v4, v7, 2
	s_waitcnt lgkmcnt(0)
	v_add_f32_e32 v6, v5, v6
	v_cndmask_b32_e64 v5, 0, 1, s0
	v_cmp_ne_u32_e64 s0, 31, v7
	ds_bpermute_b32 v8, v4, v6
	v_lshlrev_b32_e32 v5, 1, v5
	v_add_co_ci_u32_e64 v9, s0, 0, v7, s0
	s_delay_alu instid0(VALU_DEP_2)
	v_add_lshl_u32 v5, v5, v7, 2
	s_waitcnt lgkmcnt(0)
	v_add_f32_e32 v6, v6, v8
	ds_bpermute_b32 v8, v5, v6
	s_waitcnt lgkmcnt(0)
	v_dual_add_f32 v7, v6, v8 :: v_dual_lshlrev_b32 v6, 2, v9
	ds_bpermute_b32 v8, v6, v7
	v_cmpx_eq_u32_e32 0, v1
	s_cbranch_execz .LBB531_8
; %bb.7:
	v_lshrrev_b32_e32 v1, 3, v0
	s_waitcnt lgkmcnt(0)
	v_add_f32_e32 v7, v7, v8
	s_delay_alu instid0(VALU_DEP_2)
	v_and_b32_e32 v1, 60, v1
	ds_store_b32 v1, v7
.LBB531_8:
	s_or_b32 exec_lo, exec_lo, s1
	v_mov_b32_e32 v1, 0
	s_mov_b32 s1, exec_lo
	s_waitcnt lgkmcnt(0)
	s_barrier
	buffer_gl0_inv
	v_cmpx_gt_u32_e32 16, v0
	s_cbranch_execz .LBB531_10
; %bb.9:
	ds_load_b32 v1, v2
.LBB531_10:
	s_or_b32 exec_lo, exec_lo, s1
	s_and_saveexec_b32 s0, vcc_lo
	s_cbranch_execz .LBB531_12
; %bb.11:
	s_waitcnt lgkmcnt(0)
	ds_bpermute_b32 v2, v3, v1
	s_waitcnt lgkmcnt(0)
	v_add_f32_e32 v1, v1, v2
	ds_bpermute_b32 v2, v4, v1
	s_waitcnt lgkmcnt(0)
	v_add_f32_e32 v1, v1, v2
	ds_bpermute_b32 v2, v5, v1
	s_waitcnt lgkmcnt(0)
	v_add_f32_e32 v1, v1, v2
	ds_bpermute_b32 v2, v6, v1
	s_waitcnt lgkmcnt(0)
	v_add_f32_e32 v1, v1, v2
.LBB531_12:
	s_or_b32 exec_lo, exec_lo, s0
	s_delay_alu instid0(SALU_CYCLE_1)
	s_mov_b32 s0, exec_lo
	v_cmpx_eq_u32_e32 0, v0
	s_cbranch_execz .LBB531_21
; %bb.13:
	s_cmp_lg_u32 s12, 1
	s_mov_b32 s15, -1
	s_cbranch_scc0 .LBB531_15
; %bb.14:
	s_mul_hi_u32 s1, s12, s2
	s_mul_i32 s0, s12, s2
	s_mov_b32 s15, 0
	s_lshl_b64 s[0:1], s[0:1], 2
	v_mov_b32_e32 v0, 0
	s_add_u32 s4, s4, s0
	s_addc_u32 s5, s5, s1
	s_lshl_b64 s[0:1], s[14:15], 2
	s_delay_alu instid0(SALU_CYCLE_1)
	s_add_u32 s0, s4, s0
	s_addc_u32 s1, s5, s1
	s_waitcnt lgkmcnt(0)
	global_store_b32 v0, v1, s[0:1]
.LBB531_15:
	s_and_not1_b32 vcc_lo, exec_lo, s15
	s_cbranch_vccnz .LBB531_21
; %bb.16:
	s_waitcnt lgkmcnt(0)
	v_and_b32_e32 v0, 0x7f800000, v1
	s_delay_alu instid0(VALU_DEP_1) | instskip(SKIP_1) | instid1(SALU_CYCLE_1)
	v_cmp_ne_u32_e32 vcc_lo, 0x7f800000, v0
                                        ; implicit-def: $vgpr0
	s_and_saveexec_b32 s0, vcc_lo
	s_xor_b32 s0, exec_lo, s0
; %bb.17:
	v_bfe_u32 v0, v1, 16, 1
	s_delay_alu instid0(VALU_DEP_1)
	v_add3_u32 v0, v1, v0, 0x7fff
                                        ; implicit-def: $vgpr1
; %bb.18:
	s_and_not1_saveexec_b32 s0, s0
; %bb.19:
	v_and_b32_e32 v0, 0xffff, v1
	v_or_b32_e32 v2, 0x10000, v1
	s_delay_alu instid0(VALU_DEP_2) | instskip(NEXT) | instid1(VALU_DEP_2)
	v_cmp_eq_u32_e32 vcc_lo, 0, v0
	v_cndmask_b32_e32 v0, v2, v1, vcc_lo
; %bb.20:
	s_or_b32 exec_lo, exec_lo, s0
	s_lshl_b64 s[0:1], s[2:3], 1
	v_mov_b32_e32 v1, 0
	s_add_u32 s0, s6, s0
	s_addc_u32 s1, s7, s1
	global_store_d16_hi_b16 v1, v0, s[0:1]
.LBB531_21:
	s_nop 0
	s_sendmsg sendmsg(MSG_DEALLOC_VGPRS)
	s_endpgm
	.section	.rodata,"a",@progbits
	.p2align	6, 0x0
	.amdhsa_kernel _ZL18rocblas_dot_kernelIiLb0ELi512ELi8ELb1E16rocblas_bfloat16PKS0_fEviT5_lT_lS3_lS4_liPT6_PT4_
		.amdhsa_group_segment_fixed_size 128
		.amdhsa_private_segment_fixed_size 0
		.amdhsa_kernarg_size 352
		.amdhsa_user_sgpr_count 14
		.amdhsa_user_sgpr_dispatch_ptr 0
		.amdhsa_user_sgpr_queue_ptr 0
		.amdhsa_user_sgpr_kernarg_segment_ptr 1
		.amdhsa_user_sgpr_dispatch_id 0
		.amdhsa_user_sgpr_private_segment_size 0
		.amdhsa_wavefront_size32 1
		.amdhsa_uses_dynamic_stack 0
		.amdhsa_enable_private_segment 0
		.amdhsa_system_sgpr_workgroup_id_x 1
		.amdhsa_system_sgpr_workgroup_id_y 0
		.amdhsa_system_sgpr_workgroup_id_z 1
		.amdhsa_system_sgpr_workgroup_info 0
		.amdhsa_system_vgpr_workitem_id 0
		.amdhsa_next_free_vgpr 10
		.amdhsa_next_free_sgpr 28
		.amdhsa_reserve_vcc 1
		.amdhsa_float_round_mode_32 0
		.amdhsa_float_round_mode_16_64 0
		.amdhsa_float_denorm_mode_32 3
		.amdhsa_float_denorm_mode_16_64 3
		.amdhsa_dx10_clamp 1
		.amdhsa_ieee_mode 1
		.amdhsa_fp16_overflow 0
		.amdhsa_workgroup_processor_mode 1
		.amdhsa_memory_ordered 1
		.amdhsa_forward_progress 0
		.amdhsa_shared_vgpr_count 0
		.amdhsa_exception_fp_ieee_invalid_op 0
		.amdhsa_exception_fp_denorm_src 0
		.amdhsa_exception_fp_ieee_div_zero 0
		.amdhsa_exception_fp_ieee_overflow 0
		.amdhsa_exception_fp_ieee_underflow 0
		.amdhsa_exception_fp_ieee_inexact 0
		.amdhsa_exception_int_div_zero 0
	.end_amdhsa_kernel
	.section	.text._ZL18rocblas_dot_kernelIiLb0ELi512ELi8ELb1E16rocblas_bfloat16PKS0_fEviT5_lT_lS3_lS4_liPT6_PT4_,"axG",@progbits,_ZL18rocblas_dot_kernelIiLb0ELi512ELi8ELb1E16rocblas_bfloat16PKS0_fEviT5_lT_lS3_lS4_liPT6_PT4_,comdat
.Lfunc_end531:
	.size	_ZL18rocblas_dot_kernelIiLb0ELi512ELi8ELb1E16rocblas_bfloat16PKS0_fEviT5_lT_lS3_lS4_liPT6_PT4_, .Lfunc_end531-_ZL18rocblas_dot_kernelIiLb0ELi512ELi8ELb1E16rocblas_bfloat16PKS0_fEviT5_lT_lS3_lS4_liPT6_PT4_
                                        ; -- End function
	.section	.AMDGPU.csdata,"",@progbits
; Kernel info:
; codeLenInByte = 1116
; NumSgprs: 30
; NumVgprs: 10
; ScratchSize: 0
; MemoryBound: 0
; FloatMode: 240
; IeeeMode: 1
; LDSByteSize: 128 bytes/workgroup (compile time only)
; SGPRBlocks: 3
; VGPRBlocks: 1
; NumSGPRsForWavesPerEU: 30
; NumVGPRsForWavesPerEU: 10
; Occupancy: 16
; WaveLimiterHint : 0
; COMPUTE_PGM_RSRC2:SCRATCH_EN: 0
; COMPUTE_PGM_RSRC2:USER_SGPR: 14
; COMPUTE_PGM_RSRC2:TRAP_HANDLER: 0
; COMPUTE_PGM_RSRC2:TGID_X_EN: 1
; COMPUTE_PGM_RSRC2:TGID_Y_EN: 0
; COMPUTE_PGM_RSRC2:TGID_Z_EN: 1
; COMPUTE_PGM_RSRC2:TIDIG_COMP_CNT: 0
	.section	.text._ZL24rocblas_dot_kernel_magsqIiLb0ELi512ELi8ELb1E16rocblas_bfloat16PKS0_fEviT5_lT_liPT6_PT4_,"axG",@progbits,_ZL24rocblas_dot_kernel_magsqIiLb0ELi512ELi8ELb1E16rocblas_bfloat16PKS0_fEviT5_lT_liPT6_PT4_,comdat
	.globl	_ZL24rocblas_dot_kernel_magsqIiLb0ELi512ELi8ELb1E16rocblas_bfloat16PKS0_fEviT5_lT_liPT6_PT4_ ; -- Begin function _ZL24rocblas_dot_kernel_magsqIiLb0ELi512ELi8ELb1E16rocblas_bfloat16PKS0_fEviT5_lT_liPT6_PT4_
	.p2align	8
	.type	_ZL24rocblas_dot_kernel_magsqIiLb0ELi512ELi8ELb1E16rocblas_bfloat16PKS0_fEviT5_lT_liPT6_PT4_,@function
_ZL24rocblas_dot_kernel_magsqIiLb0ELi512ELi8ELb1E16rocblas_bfloat16PKS0_fEviT5_lT_liPT6_PT4_: ; @_ZL24rocblas_dot_kernel_magsqIiLb0ELi512ELi8ELb1E16rocblas_bfloat16PKS0_fEviT5_lT_liPT6_PT4_
; %bb.0:
	s_clause 0x2
	s_load_b32 s11, s[0:1], 0x0
	s_load_b128 s[4:7], s[0:1], 0x30
	s_load_b32 s10, s[0:1], 0x40
	v_lshl_or_b32 v1, s14, 9, v0
	v_mov_b32_e32 v3, 0
	s_mov_b32 s2, s15
	s_mov_b32 s3, 0
	s_mov_b32 s12, exec_lo
	s_waitcnt lgkmcnt(0)
	v_cmpx_gt_i32_e64 s11, v1
	s_cbranch_execz .LBB532_4
; %bb.1:
	s_clause 0x2
	s_load_b32 s13, s[0:1], 0x18
	s_load_b64 s[8:9], s[0:1], 0x20
	s_load_b128 s[16:19], s[0:1], 0x8
	s_lshl_b32 s1, s10, 9
	s_mov_b32 s15, s3
	v_add_nc_u32_e32 v4, s1, v1
	s_waitcnt lgkmcnt(0)
	v_mad_i64_i32 v[2:3], null, s13, v1, 0
	s_mul_i32 s0, s9, s2
	s_mul_hi_u32 s9, s8, s2
	s_mul_i32 s8, s8, s2
	s_add_i32 s9, s9, s0
	s_lshl_b64 s[18:19], s[18:19], 1
	s_lshl_b64 s[8:9], s[8:9], 1
	s_delay_alu instid0(VALU_DEP_1)
	v_lshlrev_b64 v[1:2], 1, v[2:3]
	v_mov_b32_e32 v3, 0
	s_add_u32 s0, s16, s18
	s_mul_hi_i32 s21, s13, s1
	s_mul_i32 s20, s13, s1
	s_addc_u32 s13, s17, s19
	s_add_u32 s0, s0, s8
	s_addc_u32 s8, s13, s9
	v_add_co_u32 v1, vcc_lo, s0, v1
	v_add_co_ci_u32_e32 v2, vcc_lo, s8, v2, vcc_lo
	s_lshl_b64 s[8:9], s[20:21], 1
	s_mov_b32 s13, s3
	.p2align	6
.LBB532_2:                              ; =>This Inner Loop Header: Depth=1
	global_load_u16 v5, v[1:2], off
	s_add_i32 s16, s15, 1
	v_cmp_le_i32_e32 vcc_lo, s11, v4
	v_add_co_u32 v1, s0, v1, s8
	s_cmp_gt_u32 s15, 6
	v_add_co_ci_u32_e64 v2, s0, s9, v2, s0
	s_cselect_b32 s0, -1, 0
	s_mov_b32 s15, s16
	s_or_b32 s0, s0, vcc_lo
	s_delay_alu instid0(SALU_CYCLE_1) | instskip(NEXT) | instid1(SALU_CYCLE_1)
	s_and_b32 s0, exec_lo, s0
	s_or_b32 s13, s0, s13
	s_waitcnt vmcnt(0)
	v_lshlrev_b32_e32 v5, 16, v5
	s_delay_alu instid0(VALU_DEP_1)
	v_dual_fmac_f32 v3, v5, v5 :: v_dual_add_nc_u32 v4, s1, v4
	s_and_not1_b32 exec_lo, exec_lo, s13
	s_cbranch_execnz .LBB532_2
; %bb.3:
	s_or_b32 exec_lo, exec_lo, s13
.LBB532_4:
	s_delay_alu instid0(SALU_CYCLE_1) | instskip(SKIP_2) | instid1(VALU_DEP_2)
	s_or_b32 exec_lo, exec_lo, s12
	v_and_b32_e32 v1, 31, v0
	v_cmp_gt_u32_e32 vcc_lo, 32, v0
	v_lshlrev_b32_e32 v2, 2, v1
	s_and_saveexec_b32 s0, vcc_lo
	s_cbranch_execz .LBB532_6
; %bb.5:
	v_mov_b32_e32 v4, 0
	ds_store_b32 v2, v4
.LBB532_6:
	s_or_b32 exec_lo, exec_lo, s0
	v_mbcnt_lo_u32_b32 v6, -1, 0
	s_mov_b32 s1, exec_lo
	s_waitcnt lgkmcnt(0)
	s_barrier
	buffer_gl0_inv
	v_cmp_gt_u32_e64 s0, 16, v6
	s_delay_alu instid0(VALU_DEP_1) | instskip(SKIP_1) | instid1(VALU_DEP_2)
	v_cndmask_b32_e64 v4, 0, 1, s0
	v_cmp_gt_u32_e64 s0, 24, v6
	v_lshlrev_b32_e32 v4, 4, v4
	s_delay_alu instid0(VALU_DEP_1) | instskip(SKIP_4) | instid1(VALU_DEP_2)
	v_add_lshl_u32 v4, v4, v6, 2
	ds_bpermute_b32 v5, v4, v3
	v_cndmask_b32_e64 v4, 0, 1, s0
	v_cmp_gt_u32_e64 s0, 28, v6
	s_waitcnt lgkmcnt(0)
	v_dual_add_f32 v5, v3, v5 :: v_dual_lshlrev_b32 v4, 3, v4
	s_delay_alu instid0(VALU_DEP_2) | instskip(SKIP_1) | instid1(VALU_DEP_3)
	v_cndmask_b32_e64 v3, 0, 1, s0
	v_cmp_gt_u32_e64 s0, 30, v6
	v_add_lshl_u32 v4, v4, v6, 2
	s_delay_alu instid0(VALU_DEP_3)
	v_lshlrev_b32_e32 v3, 2, v3
	ds_bpermute_b32 v7, v4, v5
	v_add_lshl_u32 v3, v3, v6, 2
	s_waitcnt lgkmcnt(0)
	v_add_f32_e32 v7, v5, v7
	v_cndmask_b32_e64 v5, 0, 1, s0
	v_cmp_ne_u32_e64 s0, 31, v6
	ds_bpermute_b32 v8, v3, v7
	v_lshlrev_b32_e32 v5, 1, v5
	s_delay_alu instid0(VALU_DEP_1) | instskip(SKIP_2) | instid1(VALU_DEP_1)
	v_add_lshl_u32 v5, v5, v6, 2
	v_add_co_ci_u32_e64 v6, s0, 0, v6, s0
	s_waitcnt lgkmcnt(0)
	v_dual_add_f32 v7, v7, v8 :: v_dual_lshlrev_b32 v6, 2, v6
	ds_bpermute_b32 v8, v5, v7
	s_waitcnt lgkmcnt(0)
	v_add_f32_e32 v7, v7, v8
	ds_bpermute_b32 v8, v6, v7
	v_cmpx_eq_u32_e32 0, v1
	s_cbranch_execz .LBB532_8
; %bb.7:
	v_lshrrev_b32_e32 v1, 3, v0
	s_waitcnt lgkmcnt(0)
	v_add_f32_e32 v7, v7, v8
	s_delay_alu instid0(VALU_DEP_2)
	v_and_b32_e32 v1, 60, v1
	ds_store_b32 v1, v7
.LBB532_8:
	s_or_b32 exec_lo, exec_lo, s1
	v_mov_b32_e32 v1, 0
	s_mov_b32 s1, exec_lo
	s_waitcnt lgkmcnt(0)
	s_barrier
	buffer_gl0_inv
	v_cmpx_gt_u32_e32 16, v0
	s_cbranch_execz .LBB532_10
; %bb.9:
	ds_load_b32 v1, v2
.LBB532_10:
	s_or_b32 exec_lo, exec_lo, s1
	s_and_saveexec_b32 s0, vcc_lo
	s_cbranch_execz .LBB532_12
; %bb.11:
	s_waitcnt lgkmcnt(0)
	ds_bpermute_b32 v2, v4, v1
	s_waitcnt lgkmcnt(0)
	v_add_f32_e32 v1, v1, v2
	ds_bpermute_b32 v2, v3, v1
	s_waitcnt lgkmcnt(0)
	v_add_f32_e32 v1, v1, v2
	;; [unrolled: 3-line block ×4, first 2 shown]
.LBB532_12:
	s_or_b32 exec_lo, exec_lo, s0
	s_delay_alu instid0(SALU_CYCLE_1)
	s_mov_b32 s0, exec_lo
	v_cmpx_eq_u32_e32 0, v0
	s_cbranch_execz .LBB532_21
; %bb.13:
	s_cmp_lg_u32 s10, 1
	s_mov_b32 s15, -1
	s_cbranch_scc0 .LBB532_15
; %bb.14:
	s_mul_hi_u32 s1, s10, s2
	s_mul_i32 s0, s10, s2
	s_mov_b32 s15, 0
	s_lshl_b64 s[0:1], s[0:1], 2
	v_mov_b32_e32 v0, 0
	s_add_u32 s4, s4, s0
	s_addc_u32 s5, s5, s1
	s_lshl_b64 s[0:1], s[14:15], 2
	s_delay_alu instid0(SALU_CYCLE_1)
	s_add_u32 s0, s4, s0
	s_addc_u32 s1, s5, s1
	s_waitcnt lgkmcnt(0)
	global_store_b32 v0, v1, s[0:1]
.LBB532_15:
	s_and_not1_b32 vcc_lo, exec_lo, s15
	s_cbranch_vccnz .LBB532_21
; %bb.16:
	s_waitcnt lgkmcnt(0)
	v_and_b32_e32 v0, 0x7f800000, v1
	s_delay_alu instid0(VALU_DEP_1) | instskip(SKIP_1) | instid1(SALU_CYCLE_1)
	v_cmp_ne_u32_e32 vcc_lo, 0x7f800000, v0
                                        ; implicit-def: $vgpr0
	s_and_saveexec_b32 s0, vcc_lo
	s_xor_b32 s0, exec_lo, s0
; %bb.17:
	v_bfe_u32 v0, v1, 16, 1
	s_delay_alu instid0(VALU_DEP_1)
	v_add3_u32 v0, v1, v0, 0x7fff
                                        ; implicit-def: $vgpr1
; %bb.18:
	s_and_not1_saveexec_b32 s0, s0
; %bb.19:
	v_and_b32_e32 v0, 0xffff, v1
	v_or_b32_e32 v2, 0x10000, v1
	s_delay_alu instid0(VALU_DEP_2) | instskip(NEXT) | instid1(VALU_DEP_2)
	v_cmp_eq_u32_e32 vcc_lo, 0, v0
	v_cndmask_b32_e32 v0, v2, v1, vcc_lo
; %bb.20:
	s_or_b32 exec_lo, exec_lo, s0
	s_lshl_b64 s[0:1], s[2:3], 1
	v_mov_b32_e32 v1, 0
	s_add_u32 s0, s6, s0
	s_addc_u32 s1, s7, s1
	global_store_d16_hi_b16 v1, v0, s[0:1]
.LBB532_21:
	s_nop 0
	s_sendmsg sendmsg(MSG_DEALLOC_VGPRS)
	s_endpgm
	.section	.rodata,"a",@progbits
	.p2align	6, 0x0
	.amdhsa_kernel _ZL24rocblas_dot_kernel_magsqIiLb0ELi512ELi8ELb1E16rocblas_bfloat16PKS0_fEviT5_lT_liPT6_PT4_
		.amdhsa_group_segment_fixed_size 128
		.amdhsa_private_segment_fixed_size 0
		.amdhsa_kernarg_size 320
		.amdhsa_user_sgpr_count 14
		.amdhsa_user_sgpr_dispatch_ptr 0
		.amdhsa_user_sgpr_queue_ptr 0
		.amdhsa_user_sgpr_kernarg_segment_ptr 1
		.amdhsa_user_sgpr_dispatch_id 0
		.amdhsa_user_sgpr_private_segment_size 0
		.amdhsa_wavefront_size32 1
		.amdhsa_uses_dynamic_stack 0
		.amdhsa_enable_private_segment 0
		.amdhsa_system_sgpr_workgroup_id_x 1
		.amdhsa_system_sgpr_workgroup_id_y 0
		.amdhsa_system_sgpr_workgroup_id_z 1
		.amdhsa_system_sgpr_workgroup_info 0
		.amdhsa_system_vgpr_workitem_id 0
		.amdhsa_next_free_vgpr 9
		.amdhsa_next_free_sgpr 22
		.amdhsa_reserve_vcc 1
		.amdhsa_float_round_mode_32 0
		.amdhsa_float_round_mode_16_64 0
		.amdhsa_float_denorm_mode_32 3
		.amdhsa_float_denorm_mode_16_64 3
		.amdhsa_dx10_clamp 1
		.amdhsa_ieee_mode 1
		.amdhsa_fp16_overflow 0
		.amdhsa_workgroup_processor_mode 1
		.amdhsa_memory_ordered 1
		.amdhsa_forward_progress 0
		.amdhsa_shared_vgpr_count 0
		.amdhsa_exception_fp_ieee_invalid_op 0
		.amdhsa_exception_fp_denorm_src 0
		.amdhsa_exception_fp_ieee_div_zero 0
		.amdhsa_exception_fp_ieee_overflow 0
		.amdhsa_exception_fp_ieee_underflow 0
		.amdhsa_exception_fp_ieee_inexact 0
		.amdhsa_exception_int_div_zero 0
	.end_amdhsa_kernel
	.section	.text._ZL24rocblas_dot_kernel_magsqIiLb0ELi512ELi8ELb1E16rocblas_bfloat16PKS0_fEviT5_lT_liPT6_PT4_,"axG",@progbits,_ZL24rocblas_dot_kernel_magsqIiLb0ELi512ELi8ELb1E16rocblas_bfloat16PKS0_fEviT5_lT_liPT6_PT4_,comdat
.Lfunc_end532:
	.size	_ZL24rocblas_dot_kernel_magsqIiLb0ELi512ELi8ELb1E16rocblas_bfloat16PKS0_fEviT5_lT_liPT6_PT4_, .Lfunc_end532-_ZL24rocblas_dot_kernel_magsqIiLb0ELi512ELi8ELb1E16rocblas_bfloat16PKS0_fEviT5_lT_liPT6_PT4_
                                        ; -- End function
	.section	.AMDGPU.csdata,"",@progbits
; Kernel info:
; codeLenInByte = 976
; NumSgprs: 24
; NumVgprs: 9
; ScratchSize: 0
; MemoryBound: 0
; FloatMode: 240
; IeeeMode: 1
; LDSByteSize: 128 bytes/workgroup (compile time only)
; SGPRBlocks: 2
; VGPRBlocks: 1
; NumSGPRsForWavesPerEU: 24
; NumVGPRsForWavesPerEU: 9
; Occupancy: 16
; WaveLimiterHint : 0
; COMPUTE_PGM_RSRC2:SCRATCH_EN: 0
; COMPUTE_PGM_RSRC2:USER_SGPR: 14
; COMPUTE_PGM_RSRC2:TRAP_HANDLER: 0
; COMPUTE_PGM_RSRC2:TGID_X_EN: 1
; COMPUTE_PGM_RSRC2:TGID_Y_EN: 0
; COMPUTE_PGM_RSRC2:TGID_Z_EN: 1
; COMPUTE_PGM_RSRC2:TIDIG_COMP_CNT: 0
	.section	.text._ZL28rocblas_dot_batched_4_kernelIiLi32ELi4ELb1EffPK16rocblas_bfloat16EviT5_lT_lS3_lS4_liPT4_,"axG",@progbits,_ZL28rocblas_dot_batched_4_kernelIiLi32ELi4ELb1EffPK16rocblas_bfloat16EviT5_lT_lS3_lS4_liPT4_,comdat
	.globl	_ZL28rocblas_dot_batched_4_kernelIiLi32ELi4ELb1EffPK16rocblas_bfloat16EviT5_lT_lS3_lS4_liPT4_ ; -- Begin function _ZL28rocblas_dot_batched_4_kernelIiLi32ELi4ELb1EffPK16rocblas_bfloat16EviT5_lT_lS3_lS4_liPT4_
	.p2align	8
	.type	_ZL28rocblas_dot_batched_4_kernelIiLi32ELi4ELb1EffPK16rocblas_bfloat16EviT5_lT_lS3_lS4_liPT4_,@function
_ZL28rocblas_dot_batched_4_kernelIiLi32ELi4ELb1EffPK16rocblas_bfloat16EviT5_lT_lS3_lS4_liPT4_: ; @_ZL28rocblas_dot_batched_4_kernelIiLi32ELi4ELb1EffPK16rocblas_bfloat16EviT5_lT_lS3_lS4_liPT4_
; %bb.0:
	s_load_b32 s2, s[0:1], 0x48
	v_bfe_u32 v1, v0, 10, 10
	s_delay_alu instid0(VALU_DEP_1) | instskip(SKIP_1) | instid1(VALU_DEP_1)
	v_lshl_add_u32 v1, s15, 2, v1
	s_waitcnt lgkmcnt(0)
	v_cmp_gt_u32_e32 vcc_lo, s2, v1
	s_and_saveexec_b32 s2, vcc_lo
	s_cbranch_execz .LBB533_7
; %bb.1:
	s_clause 0x1
	s_load_b32 s12, s[0:1], 0x0
	s_load_b64 s[2:3], s[0:1], 0x50
	v_mov_b32_e32 v2, 0
	v_and_b32_e32 v0, 0x3ff, v0
	s_mov_b32 s13, exec_lo
	s_delay_alu instid0(VALU_DEP_2) | instskip(SKIP_1) | instid1(VALU_DEP_2)
	v_mov_b32_e32 v7, v2
	s_waitcnt lgkmcnt(0)
	v_cmpx_gt_i32_e64 s12, v0
	s_cbranch_execz .LBB533_5
; %bb.2:
	s_clause 0x5
	s_load_b128 s[4:7], s[0:1], 0x20
	s_load_b64 s[14:15], s[0:1], 0x40
	s_load_b32 s16, s[0:1], 0x18
	s_load_b32 s18, s[0:1], 0x38
	s_load_b128 s[8:11], s[0:1], 0x8
	s_load_b64 s[0:1], s[0:1], 0x30
	s_waitcnt lgkmcnt(0)
	v_mad_u64_u32 v[3:4], null, s4, v1, 0
	v_mad_u64_u32 v[5:6], null, s14, v1, 0
	v_mad_i64_i32 v[8:9], null, s16, v0, 0
	s_ashr_i32 s17, s16, 31
	s_ashr_i32 s19, s18, 31
	s_delay_alu instid0(VALU_DEP_2) | instskip(SKIP_1) | instid1(VALU_DEP_3)
	v_mad_u64_u32 v[10:11], null, s5, v1, v[4:5]
	v_mov_b32_e32 v7, 0
	v_lshlrev_b64 v[8:9], 1, v[8:9]
	s_lshl_b64 s[4:5], s[10:11], 1
	s_delay_alu instid0(SALU_CYCLE_1) | instskip(SKIP_1) | instid1(VALU_DEP_3)
	s_add_u32 s8, s8, s4
	s_addc_u32 s9, s9, s5
	v_mov_b32_e32 v4, v10
	v_mad_u64_u32 v[11:12], null, s15, v1, v[6:7]
	v_mad_i64_i32 v[12:13], null, s18, v0, 0
	s_delay_alu instid0(VALU_DEP_3) | instskip(SKIP_3) | instid1(VALU_DEP_3)
	v_lshlrev_b64 v[3:4], 1, v[3:4]
	s_lshl_b64 s[0:1], s[0:1], 1
	s_lshl_b64 s[4:5], s[16:17], 6
	s_add_u32 s0, s6, s0
	v_mov_b32_e32 v6, v11
	s_addc_u32 s1, s7, s1
	s_delay_alu instid0(VALU_DEP_3) | instskip(SKIP_1) | instid1(VALU_DEP_3)
	v_lshlrev_b64 v[10:11], 1, v[12:13]
	v_add_co_u32 v3, vcc_lo, v8, v3
	v_lshlrev_b64 v[5:6], 1, v[5:6]
	v_add_co_ci_u32_e32 v4, vcc_lo, v9, v4, vcc_lo
	v_mov_b32_e32 v8, v0
	s_lshl_b64 s[6:7], s[18:19], 6
	s_delay_alu instid0(VALU_DEP_3) | instskip(NEXT) | instid1(VALU_DEP_4)
	v_add_co_u32 v5, vcc_lo, v10, v5
	v_add_co_ci_u32_e32 v6, vcc_lo, v11, v6, vcc_lo
	v_add_co_u32 v3, vcc_lo, s8, v3
	v_add_co_ci_u32_e32 v4, vcc_lo, s9, v4, vcc_lo
	s_delay_alu instid0(VALU_DEP_4) | instskip(NEXT) | instid1(VALU_DEP_4)
	v_add_co_u32 v5, vcc_lo, s0, v5
	v_add_co_ci_u32_e32 v6, vcc_lo, s1, v6, vcc_lo
	s_mov_b32 s1, 0
	.p2align	6
.LBB533_3:                              ; =>This Inner Loop Header: Depth=1
	global_load_u16 v9, v[5:6], off
	global_load_u16 v10, v[3:4], off
	v_add_co_u32 v3, vcc_lo, v3, s4
	v_add_co_ci_u32_e32 v4, vcc_lo, s5, v4, vcc_lo
	v_add_co_u32 v5, vcc_lo, v5, s6
	v_add_co_ci_u32_e32 v6, vcc_lo, s7, v6, vcc_lo
	s_waitcnt vmcnt(1)
	v_lshlrev_b32_e32 v9, 16, v9
	s_waitcnt vmcnt(0)
	v_lshlrev_b32_e32 v10, 16, v10
	s_delay_alu instid0(VALU_DEP_1) | instskip(NEXT) | instid1(VALU_DEP_1)
	v_dual_fmac_f32 v7, v10, v9 :: v_dual_add_nc_u32 v8, 32, v8
	v_cmp_le_i32_e64 s0, s12, v8
	s_delay_alu instid0(VALU_DEP_1) | instskip(NEXT) | instid1(SALU_CYCLE_1)
	s_or_b32 s1, s0, s1
	s_and_not1_b32 exec_lo, exec_lo, s1
	s_cbranch_execnz .LBB533_3
; %bb.4:
	s_or_b32 exec_lo, exec_lo, s1
.LBB533_5:
	s_delay_alu instid0(SALU_CYCLE_1)
	s_or_b32 exec_lo, exec_lo, s13
	v_mbcnt_lo_u32_b32 v3, -1, 0
	s_barrier
	buffer_gl0_inv
	v_cmp_gt_u32_e32 vcc_lo, 16, v3
	v_cndmask_b32_e64 v4, 0, 1, vcc_lo
	v_cmp_gt_u32_e32 vcc_lo, 24, v3
	s_delay_alu instid0(VALU_DEP_2) | instskip(SKIP_2) | instid1(VALU_DEP_3)
	v_lshlrev_b32_e32 v4, 4, v4
	v_cndmask_b32_e64 v5, 0, 1, vcc_lo
	v_cmp_gt_u32_e32 vcc_lo, 28, v3
	v_add_lshl_u32 v4, v4, v3, 2
	v_cndmask_b32_e64 v6, 0, 1, vcc_lo
	v_cmp_gt_u32_e32 vcc_lo, 30, v3
	ds_bpermute_b32 v4, v4, v7
	v_lshlrev_b32_e32 v5, 3, v5
	v_lshlrev_b32_e32 v6, 2, v6
	s_delay_alu instid0(VALU_DEP_1)
	v_add_lshl_u32 v6, v6, v3, 2
	s_waitcnt lgkmcnt(0)
	v_add_f32_e32 v4, v7, v4
	v_add_lshl_u32 v5, v5, v3, 2
	ds_bpermute_b32 v5, v5, v4
	s_waitcnt lgkmcnt(0)
	v_add_f32_e32 v4, v4, v5
	ds_bpermute_b32 v5, v6, v4
	v_cndmask_b32_e64 v6, 0, 1, vcc_lo
	v_cmp_ne_u32_e32 vcc_lo, 31, v3
	s_delay_alu instid0(VALU_DEP_2) | instskip(NEXT) | instid1(VALU_DEP_1)
	v_lshlrev_b32_e32 v6, 1, v6
	v_add_lshl_u32 v6, v6, v3, 2
	s_waitcnt lgkmcnt(0)
	v_add_f32_e32 v4, v4, v5
	ds_bpermute_b32 v5, v6, v4
	v_add_co_ci_u32_e32 v6, vcc_lo, 0, v3, vcc_lo
	v_cmp_eq_u32_e32 vcc_lo, 0, v0
	s_waitcnt lgkmcnt(0)
	s_delay_alu instid0(VALU_DEP_2)
	v_dual_add_f32 v3, v4, v5 :: v_dual_lshlrev_b32 v4, 2, v6
	ds_bpermute_b32 v4, v4, v3
	s_and_b32 exec_lo, exec_lo, vcc_lo
	s_cbranch_execz .LBB533_7
; %bb.6:
	v_lshlrev_b64 v[0:1], 2, v[1:2]
	s_waitcnt lgkmcnt(0)
	v_add_f32_e32 v2, v3, v4
	s_delay_alu instid0(VALU_DEP_2) | instskip(NEXT) | instid1(VALU_DEP_3)
	v_add_co_u32 v0, vcc_lo, s2, v0
	v_add_co_ci_u32_e32 v1, vcc_lo, s3, v1, vcc_lo
	global_store_b32 v[0:1], v2, off
.LBB533_7:
	s_nop 0
	s_sendmsg sendmsg(MSG_DEALLOC_VGPRS)
	s_endpgm
	.section	.rodata,"a",@progbits
	.p2align	6, 0x0
	.amdhsa_kernel _ZL28rocblas_dot_batched_4_kernelIiLi32ELi4ELb1EffPK16rocblas_bfloat16EviT5_lT_lS3_lS4_liPT4_
		.amdhsa_group_segment_fixed_size 0
		.amdhsa_private_segment_fixed_size 0
		.amdhsa_kernarg_size 88
		.amdhsa_user_sgpr_count 15
		.amdhsa_user_sgpr_dispatch_ptr 0
		.amdhsa_user_sgpr_queue_ptr 0
		.amdhsa_user_sgpr_kernarg_segment_ptr 1
		.amdhsa_user_sgpr_dispatch_id 0
		.amdhsa_user_sgpr_private_segment_size 0
		.amdhsa_wavefront_size32 1
		.amdhsa_uses_dynamic_stack 0
		.amdhsa_enable_private_segment 0
		.amdhsa_system_sgpr_workgroup_id_x 1
		.amdhsa_system_sgpr_workgroup_id_y 0
		.amdhsa_system_sgpr_workgroup_id_z 0
		.amdhsa_system_sgpr_workgroup_info 0
		.amdhsa_system_vgpr_workitem_id 1
		.amdhsa_next_free_vgpr 14
		.amdhsa_next_free_sgpr 20
		.amdhsa_reserve_vcc 1
		.amdhsa_float_round_mode_32 0
		.amdhsa_float_round_mode_16_64 0
		.amdhsa_float_denorm_mode_32 3
		.amdhsa_float_denorm_mode_16_64 3
		.amdhsa_dx10_clamp 1
		.amdhsa_ieee_mode 1
		.amdhsa_fp16_overflow 0
		.amdhsa_workgroup_processor_mode 1
		.amdhsa_memory_ordered 1
		.amdhsa_forward_progress 0
		.amdhsa_shared_vgpr_count 0
		.amdhsa_exception_fp_ieee_invalid_op 0
		.amdhsa_exception_fp_denorm_src 0
		.amdhsa_exception_fp_ieee_div_zero 0
		.amdhsa_exception_fp_ieee_overflow 0
		.amdhsa_exception_fp_ieee_underflow 0
		.amdhsa_exception_fp_ieee_inexact 0
		.amdhsa_exception_int_div_zero 0
	.end_amdhsa_kernel
	.section	.text._ZL28rocblas_dot_batched_4_kernelIiLi32ELi4ELb1EffPK16rocblas_bfloat16EviT5_lT_lS3_lS4_liPT4_,"axG",@progbits,_ZL28rocblas_dot_batched_4_kernelIiLi32ELi4ELb1EffPK16rocblas_bfloat16EviT5_lT_lS3_lS4_liPT4_,comdat
.Lfunc_end533:
	.size	_ZL28rocblas_dot_batched_4_kernelIiLi32ELi4ELb1EffPK16rocblas_bfloat16EviT5_lT_lS3_lS4_liPT4_, .Lfunc_end533-_ZL28rocblas_dot_batched_4_kernelIiLi32ELi4ELb1EffPK16rocblas_bfloat16EviT5_lT_lS3_lS4_liPT4_
                                        ; -- End function
	.section	.AMDGPU.csdata,"",@progbits
; Kernel info:
; codeLenInByte = 756
; NumSgprs: 22
; NumVgprs: 14
; ScratchSize: 0
; MemoryBound: 0
; FloatMode: 240
; IeeeMode: 1
; LDSByteSize: 0 bytes/workgroup (compile time only)
; SGPRBlocks: 2
; VGPRBlocks: 1
; NumSGPRsForWavesPerEU: 22
; NumVGPRsForWavesPerEU: 14
; Occupancy: 16
; WaveLimiterHint : 0
; COMPUTE_PGM_RSRC2:SCRATCH_EN: 0
; COMPUTE_PGM_RSRC2:USER_SGPR: 15
; COMPUTE_PGM_RSRC2:TRAP_HANDLER: 0
; COMPUTE_PGM_RSRC2:TGID_X_EN: 1
; COMPUTE_PGM_RSRC2:TGID_Y_EN: 0
; COMPUTE_PGM_RSRC2:TGID_Z_EN: 0
; COMPUTE_PGM_RSRC2:TIDIG_COMP_CNT: 1
	.section	.text._ZL28rocblas_dot_batched_4_kernelIiLi64ELi4ELb1EffPK16rocblas_bfloat16EviT5_lT_lS3_lS4_liPT4_,"axG",@progbits,_ZL28rocblas_dot_batched_4_kernelIiLi64ELi4ELb1EffPK16rocblas_bfloat16EviT5_lT_lS3_lS4_liPT4_,comdat
	.globl	_ZL28rocblas_dot_batched_4_kernelIiLi64ELi4ELb1EffPK16rocblas_bfloat16EviT5_lT_lS3_lS4_liPT4_ ; -- Begin function _ZL28rocblas_dot_batched_4_kernelIiLi64ELi4ELb1EffPK16rocblas_bfloat16EviT5_lT_lS3_lS4_liPT4_
	.p2align	8
	.type	_ZL28rocblas_dot_batched_4_kernelIiLi64ELi4ELb1EffPK16rocblas_bfloat16EviT5_lT_lS3_lS4_liPT4_,@function
_ZL28rocblas_dot_batched_4_kernelIiLi64ELi4ELb1EffPK16rocblas_bfloat16EviT5_lT_lS3_lS4_liPT4_: ; @_ZL28rocblas_dot_batched_4_kernelIiLi64ELi4ELb1EffPK16rocblas_bfloat16EviT5_lT_lS3_lS4_liPT4_
; %bb.0:
	s_load_b32 s2, s[0:1], 0x48
	v_bfe_u32 v1, v0, 10, 10
	s_delay_alu instid0(VALU_DEP_1) | instskip(SKIP_1) | instid1(VALU_DEP_1)
	v_lshl_add_u32 v1, s15, 2, v1
	s_waitcnt lgkmcnt(0)
	v_cmp_gt_u32_e32 vcc_lo, s2, v1
	s_and_saveexec_b32 s2, vcc_lo
	s_cbranch_execz .LBB534_7
; %bb.1:
	s_clause 0x1
	s_load_b32 s12, s[0:1], 0x0
	s_load_b64 s[2:3], s[0:1], 0x50
	v_mov_b32_e32 v2, 0
	v_and_b32_e32 v0, 0x3ff, v0
	s_mov_b32 s13, exec_lo
	s_delay_alu instid0(VALU_DEP_2) | instskip(SKIP_1) | instid1(VALU_DEP_2)
	v_mov_b32_e32 v7, v2
	s_waitcnt lgkmcnt(0)
	v_cmpx_gt_i32_e64 s12, v0
	s_cbranch_execz .LBB534_5
; %bb.2:
	s_clause 0x5
	s_load_b128 s[4:7], s[0:1], 0x20
	s_load_b64 s[14:15], s[0:1], 0x40
	s_load_b32 s16, s[0:1], 0x18
	s_load_b32 s18, s[0:1], 0x38
	s_load_b128 s[8:11], s[0:1], 0x8
	s_load_b64 s[0:1], s[0:1], 0x30
	s_waitcnt lgkmcnt(0)
	v_mad_u64_u32 v[3:4], null, s4, v1, 0
	v_mad_u64_u32 v[5:6], null, s14, v1, 0
	v_mad_i64_i32 v[8:9], null, s16, v0, 0
	s_ashr_i32 s17, s16, 31
	s_ashr_i32 s19, s18, 31
	s_delay_alu instid0(VALU_DEP_2) | instskip(SKIP_1) | instid1(VALU_DEP_3)
	v_mad_u64_u32 v[10:11], null, s5, v1, v[4:5]
	v_mov_b32_e32 v7, 0
	v_lshlrev_b64 v[8:9], 1, v[8:9]
	s_lshl_b64 s[4:5], s[10:11], 1
	s_delay_alu instid0(SALU_CYCLE_1) | instskip(SKIP_1) | instid1(VALU_DEP_3)
	s_add_u32 s8, s8, s4
	s_addc_u32 s9, s9, s5
	v_mov_b32_e32 v4, v10
	v_mad_u64_u32 v[11:12], null, s15, v1, v[6:7]
	v_mad_i64_i32 v[12:13], null, s18, v0, 0
	s_delay_alu instid0(VALU_DEP_3) | instskip(SKIP_3) | instid1(VALU_DEP_3)
	v_lshlrev_b64 v[3:4], 1, v[3:4]
	s_lshl_b64 s[0:1], s[0:1], 1
	s_lshl_b64 s[4:5], s[16:17], 7
	s_add_u32 s0, s6, s0
	v_mov_b32_e32 v6, v11
	s_addc_u32 s1, s7, s1
	s_delay_alu instid0(VALU_DEP_3) | instskip(SKIP_1) | instid1(VALU_DEP_3)
	v_lshlrev_b64 v[10:11], 1, v[12:13]
	v_add_co_u32 v3, vcc_lo, v8, v3
	v_lshlrev_b64 v[5:6], 1, v[5:6]
	v_add_co_ci_u32_e32 v4, vcc_lo, v9, v4, vcc_lo
	v_mov_b32_e32 v8, v0
	s_lshl_b64 s[6:7], s[18:19], 7
	s_delay_alu instid0(VALU_DEP_3) | instskip(NEXT) | instid1(VALU_DEP_4)
	v_add_co_u32 v5, vcc_lo, v10, v5
	v_add_co_ci_u32_e32 v6, vcc_lo, v11, v6, vcc_lo
	v_add_co_u32 v3, vcc_lo, s8, v3
	v_add_co_ci_u32_e32 v4, vcc_lo, s9, v4, vcc_lo
	s_delay_alu instid0(VALU_DEP_4) | instskip(NEXT) | instid1(VALU_DEP_4)
	v_add_co_u32 v5, vcc_lo, s0, v5
	v_add_co_ci_u32_e32 v6, vcc_lo, s1, v6, vcc_lo
	s_mov_b32 s1, 0
	.p2align	6
.LBB534_3:                              ; =>This Inner Loop Header: Depth=1
	global_load_u16 v9, v[5:6], off
	global_load_u16 v10, v[3:4], off
	v_add_co_u32 v3, vcc_lo, v3, s4
	v_add_co_ci_u32_e32 v4, vcc_lo, s5, v4, vcc_lo
	v_add_co_u32 v5, vcc_lo, v5, s6
	v_add_co_ci_u32_e32 v6, vcc_lo, s7, v6, vcc_lo
	s_waitcnt vmcnt(1)
	v_lshlrev_b32_e32 v9, 16, v9
	s_waitcnt vmcnt(0)
	v_lshlrev_b32_e32 v10, 16, v10
	s_delay_alu instid0(VALU_DEP_1) | instskip(NEXT) | instid1(VALU_DEP_1)
	v_dual_fmac_f32 v7, v10, v9 :: v_dual_add_nc_u32 v8, 64, v8
	v_cmp_le_i32_e64 s0, s12, v8
	s_delay_alu instid0(VALU_DEP_1) | instskip(NEXT) | instid1(SALU_CYCLE_1)
	s_or_b32 s1, s0, s1
	s_and_not1_b32 exec_lo, exec_lo, s1
	s_cbranch_execnz .LBB534_3
; %bb.4:
	s_or_b32 exec_lo, exec_lo, s1
.LBB534_5:
	s_delay_alu instid0(SALU_CYCLE_1)
	s_or_b32 exec_lo, exec_lo, s13
	v_mbcnt_lo_u32_b32 v3, -1, 0
	s_barrier
	buffer_gl0_inv
	v_lshlrev_b32_e32 v4, 2, v3
	v_cmp_gt_u32_e32 vcc_lo, 16, v3
	ds_bpermute_b32 v4, v4, v7
	v_cndmask_b32_e64 v5, 0, 1, vcc_lo
	v_cmp_gt_u32_e32 vcc_lo, 24, v3
	s_delay_alu instid0(VALU_DEP_2) | instskip(SKIP_2) | instid1(VALU_DEP_2)
	v_lshlrev_b32_e32 v5, 4, v5
	v_cndmask_b32_e64 v6, 0, 1, vcc_lo
	v_cmp_gt_u32_e32 vcc_lo, 28, v3
	v_lshlrev_b32_e32 v6, 3, v6
	s_delay_alu instid0(VALU_DEP_1)
	v_add_lshl_u32 v6, v6, v3, 2
	s_waitcnt lgkmcnt(0)
	v_add_f32_e32 v4, v7, v4
	v_add_lshl_u32 v5, v5, v3, 2
	ds_bpermute_b32 v5, v5, v4
	s_waitcnt lgkmcnt(0)
	v_add_f32_e32 v4, v4, v5
	ds_bpermute_b32 v5, v6, v4
	v_cndmask_b32_e64 v6, 0, 1, vcc_lo
	v_cmp_gt_u32_e32 vcc_lo, 30, v3
	s_delay_alu instid0(VALU_DEP_2) | instskip(NEXT) | instid1(VALU_DEP_1)
	v_lshlrev_b32_e32 v6, 2, v6
	v_add_lshl_u32 v6, v6, v3, 2
	s_waitcnt lgkmcnt(0)
	v_add_f32_e32 v4, v4, v5
	ds_bpermute_b32 v5, v6, v4
	v_cndmask_b32_e64 v6, 0, 1, vcc_lo
	v_cmp_ne_u32_e32 vcc_lo, 31, v3
	s_delay_alu instid0(VALU_DEP_2) | instskip(NEXT) | instid1(VALU_DEP_1)
	v_lshlrev_b32_e32 v6, 1, v6
	v_add_lshl_u32 v6, v6, v3, 2
	s_waitcnt lgkmcnt(0)
	v_add_f32_e32 v4, v4, v5
	ds_bpermute_b32 v5, v6, v4
	v_add_co_ci_u32_e32 v6, vcc_lo, 0, v3, vcc_lo
	v_cmp_eq_u32_e32 vcc_lo, 0, v0
	s_waitcnt lgkmcnt(0)
	s_delay_alu instid0(VALU_DEP_2)
	v_dual_add_f32 v3, v4, v5 :: v_dual_lshlrev_b32 v4, 2, v6
	ds_bpermute_b32 v4, v4, v3
	s_and_b32 exec_lo, exec_lo, vcc_lo
	s_cbranch_execz .LBB534_7
; %bb.6:
	v_lshlrev_b64 v[0:1], 2, v[1:2]
	s_waitcnt lgkmcnt(0)
	v_add_f32_e32 v2, v3, v4
	s_delay_alu instid0(VALU_DEP_2) | instskip(NEXT) | instid1(VALU_DEP_3)
	v_add_co_u32 v0, vcc_lo, s2, v0
	v_add_co_ci_u32_e32 v1, vcc_lo, s3, v1, vcc_lo
	global_store_b32 v[0:1], v2, off
.LBB534_7:
	s_nop 0
	s_sendmsg sendmsg(MSG_DEALLOC_VGPRS)
	s_endpgm
	.section	.rodata,"a",@progbits
	.p2align	6, 0x0
	.amdhsa_kernel _ZL28rocblas_dot_batched_4_kernelIiLi64ELi4ELb1EffPK16rocblas_bfloat16EviT5_lT_lS3_lS4_liPT4_
		.amdhsa_group_segment_fixed_size 0
		.amdhsa_private_segment_fixed_size 0
		.amdhsa_kernarg_size 88
		.amdhsa_user_sgpr_count 15
		.amdhsa_user_sgpr_dispatch_ptr 0
		.amdhsa_user_sgpr_queue_ptr 0
		.amdhsa_user_sgpr_kernarg_segment_ptr 1
		.amdhsa_user_sgpr_dispatch_id 0
		.amdhsa_user_sgpr_private_segment_size 0
		.amdhsa_wavefront_size32 1
		.amdhsa_uses_dynamic_stack 0
		.amdhsa_enable_private_segment 0
		.amdhsa_system_sgpr_workgroup_id_x 1
		.amdhsa_system_sgpr_workgroup_id_y 0
		.amdhsa_system_sgpr_workgroup_id_z 0
		.amdhsa_system_sgpr_workgroup_info 0
		.amdhsa_system_vgpr_workitem_id 1
		.amdhsa_next_free_vgpr 14
		.amdhsa_next_free_sgpr 20
		.amdhsa_reserve_vcc 1
		.amdhsa_float_round_mode_32 0
		.amdhsa_float_round_mode_16_64 0
		.amdhsa_float_denorm_mode_32 3
		.amdhsa_float_denorm_mode_16_64 3
		.amdhsa_dx10_clamp 1
		.amdhsa_ieee_mode 1
		.amdhsa_fp16_overflow 0
		.amdhsa_workgroup_processor_mode 1
		.amdhsa_memory_ordered 1
		.amdhsa_forward_progress 0
		.amdhsa_shared_vgpr_count 0
		.amdhsa_exception_fp_ieee_invalid_op 0
		.amdhsa_exception_fp_denorm_src 0
		.amdhsa_exception_fp_ieee_div_zero 0
		.amdhsa_exception_fp_ieee_overflow 0
		.amdhsa_exception_fp_ieee_underflow 0
		.amdhsa_exception_fp_ieee_inexact 0
		.amdhsa_exception_int_div_zero 0
	.end_amdhsa_kernel
	.section	.text._ZL28rocblas_dot_batched_4_kernelIiLi64ELi4ELb1EffPK16rocblas_bfloat16EviT5_lT_lS3_lS4_liPT4_,"axG",@progbits,_ZL28rocblas_dot_batched_4_kernelIiLi64ELi4ELb1EffPK16rocblas_bfloat16EviT5_lT_lS3_lS4_liPT4_,comdat
.Lfunc_end534:
	.size	_ZL28rocblas_dot_batched_4_kernelIiLi64ELi4ELb1EffPK16rocblas_bfloat16EviT5_lT_lS3_lS4_liPT4_, .Lfunc_end534-_ZL28rocblas_dot_batched_4_kernelIiLi64ELi4ELb1EffPK16rocblas_bfloat16EviT5_lT_lS3_lS4_liPT4_
                                        ; -- End function
	.section	.AMDGPU.csdata,"",@progbits
; Kernel info:
; codeLenInByte = 780
; NumSgprs: 22
; NumVgprs: 14
; ScratchSize: 0
; MemoryBound: 0
; FloatMode: 240
; IeeeMode: 1
; LDSByteSize: 0 bytes/workgroup (compile time only)
; SGPRBlocks: 2
; VGPRBlocks: 1
; NumSGPRsForWavesPerEU: 22
; NumVGPRsForWavesPerEU: 14
; Occupancy: 16
; WaveLimiterHint : 0
; COMPUTE_PGM_RSRC2:SCRATCH_EN: 0
; COMPUTE_PGM_RSRC2:USER_SGPR: 15
; COMPUTE_PGM_RSRC2:TRAP_HANDLER: 0
; COMPUTE_PGM_RSRC2:TGID_X_EN: 1
; COMPUTE_PGM_RSRC2:TGID_Y_EN: 0
; COMPUTE_PGM_RSRC2:TGID_Z_EN: 0
; COMPUTE_PGM_RSRC2:TIDIG_COMP_CNT: 1
	.section	.text._ZL18rocblas_dot_kernelIiLb1ELi1024ELi32ELb1EfPK16rocblas_bfloat16fEviT5_lT_lS3_lS4_liPT6_PT4_,"axG",@progbits,_ZL18rocblas_dot_kernelIiLb1ELi1024ELi32ELb1EfPK16rocblas_bfloat16fEviT5_lT_lS3_lS4_liPT6_PT4_,comdat
	.globl	_ZL18rocblas_dot_kernelIiLb1ELi1024ELi32ELb1EfPK16rocblas_bfloat16fEviT5_lT_lS3_lS4_liPT6_PT4_ ; -- Begin function _ZL18rocblas_dot_kernelIiLb1ELi1024ELi32ELb1EfPK16rocblas_bfloat16fEviT5_lT_lS3_lS4_liPT6_PT4_
	.p2align	8
	.type	_ZL18rocblas_dot_kernelIiLb1ELi1024ELi32ELb1EfPK16rocblas_bfloat16fEviT5_lT_lS3_lS4_liPT6_PT4_,@function
_ZL18rocblas_dot_kernelIiLb1ELi1024ELi32ELb1EfPK16rocblas_bfloat16fEviT5_lT_lS3_lS4_liPT6_PT4_: ; @_ZL18rocblas_dot_kernelIiLb1ELi1024ELi32ELb1EfPK16rocblas_bfloat16fEviT5_lT_lS3_lS4_liPT6_PT4_
; %bb.0:
	s_clause 0x1
	s_load_b32 s10, s[0:1], 0x0
	s_load_b64 s[2:3], s[0:1], 0x58
	v_mov_b32_e32 v5, 0
	s_mov_b32 s8, s15
	s_mov_b32 s9, 0
	s_mov_b32 s11, exec_lo
	s_waitcnt lgkmcnt(0)
	v_cmpx_gt_i32_e64 s10, v0
	s_cbranch_execz .LBB535_4
; %bb.1:
	s_clause 0x6
	s_load_b32 s20, s[0:1], 0x60
	s_load_b128 s[4:7], s[0:1], 0x20
	s_load_b32 s22, s[0:1], 0x18
	s_load_b128 s[12:15], s[0:1], 0x8
	s_load_b64 s[16:17], s[0:1], 0x40
	s_load_b32 s23, s[0:1], 0x38
	s_load_b64 s[18:19], s[0:1], 0x30
	v_mov_b32_e32 v5, 0
	s_waitcnt lgkmcnt(0)
	s_lshl_b32 s1, s20, 10
	s_mul_i32 s0, s5, s8
	v_mad_i64_i32 v[1:2], null, s22, v0, 0
	s_mul_hi_u32 s5, s4, s8
	s_mul_i32 s4, s4, s8
	v_mad_i64_i32 v[3:4], null, s23, v0, 0
	s_add_i32 s5, s5, s0
	s_lshl_b64 s[14:15], s[14:15], 1
	s_delay_alu instid0(VALU_DEP_2)
	v_lshlrev_b64 v[1:2], 1, v[1:2]
	s_lshl_b64 s[4:5], s[4:5], 1
	s_add_u32 s0, s12, s14
	s_addc_u32 s12, s13, s15
	s_mul_i32 s17, s17, s8
	s_mul_hi_u32 s24, s16, s8
	s_add_u32 s0, s0, s4
	s_mul_i32 s16, s16, s8
	s_mul_hi_i32 s21, s22, s1
	s_mul_i32 s20, s22, s1
	s_addc_u32 s12, s12, s5
	s_add_i32 s17, s24, s17
	v_add_co_u32 v1, vcc_lo, s0, v1
	s_lshl_b64 s[14:15], s[18:19], 1
	v_lshlrev_b64 v[3:4], 1, v[3:4]
	s_lshl_b64 s[4:5], s[20:21], 1
	v_add_co_ci_u32_e32 v2, vcc_lo, s12, v2, vcc_lo
	s_lshl_b64 s[12:13], s[16:17], 1
	s_add_u32 s0, s6, s14
	s_addc_u32 s6, s7, s15
	s_add_u32 s0, s0, s12
	s_addc_u32 s6, s6, s13
	v_add_co_u32 v3, vcc_lo, s0, v3
	v_or_b32_e32 v6, s1, v0
	v_add_co_ci_u32_e32 v4, vcc_lo, s6, v4, vcc_lo
	s_mul_hi_i32 s7, s23, s1
	s_mul_i32 s6, s23, s1
	s_mov_b32 s12, s9
	s_lshl_b64 s[6:7], s[6:7], 1
	s_mov_b32 s13, s9
	.p2align	6
.LBB535_2:                              ; =>This Inner Loop Header: Depth=1
	global_load_u16 v7, v[1:2], off
	global_load_u16 v8, v[3:4], off
	v_add_co_u32 v1, s0, v1, s4
	s_delay_alu instid0(VALU_DEP_1)
	v_add_co_ci_u32_e64 v2, s0, s5, v2, s0
	s_add_i32 s14, s13, 1
	v_cmp_le_i32_e32 vcc_lo, s10, v6
	v_add_co_u32 v3, s0, v3, s6
	s_cmp_gt_u32 s13, 30
	v_add_co_ci_u32_e64 v4, s0, s7, v4, s0
	s_cselect_b32 s0, -1, 0
	s_mov_b32 s13, s14
	s_or_b32 s0, s0, vcc_lo
	s_delay_alu instid0(SALU_CYCLE_1) | instskip(NEXT) | instid1(SALU_CYCLE_1)
	s_and_b32 s0, exec_lo, s0
	s_or_b32 s12, s0, s12
	s_waitcnt vmcnt(1)
	v_lshlrev_b32_e32 v7, 16, v7
	s_waitcnt vmcnt(0)
	v_lshlrev_b32_e32 v8, 16, v8
	s_delay_alu instid0(VALU_DEP_1)
	v_dual_fmac_f32 v5, v8, v7 :: v_dual_add_nc_u32 v6, s1, v6
	s_and_not1_b32 exec_lo, exec_lo, s12
	s_cbranch_execnz .LBB535_2
; %bb.3:
	s_or_b32 exec_lo, exec_lo, s12
.LBB535_4:
	s_delay_alu instid0(SALU_CYCLE_1) | instskip(SKIP_2) | instid1(VALU_DEP_2)
	s_or_b32 exec_lo, exec_lo, s11
	v_and_b32_e32 v7, 31, v0
	v_cmp_gt_u32_e32 vcc_lo, 32, v0
	v_lshlrev_b32_e32 v1, 2, v7
	s_and_saveexec_b32 s0, vcc_lo
	s_cbranch_execz .LBB535_6
; %bb.5:
	v_mov_b32_e32 v2, 0
	ds_store_b32 v1, v2
.LBB535_6:
	s_or_b32 exec_lo, exec_lo, s0
	v_mbcnt_lo_u32_b32 v6, -1, 0
	s_mov_b32 s1, exec_lo
	s_waitcnt lgkmcnt(0)
	s_barrier
	buffer_gl0_inv
	v_cmp_gt_u32_e64 s0, 16, v6
	s_delay_alu instid0(VALU_DEP_1) | instskip(SKIP_1) | instid1(VALU_DEP_2)
	v_cndmask_b32_e64 v2, 0, 1, s0
	v_cmp_gt_u32_e64 s0, 24, v6
	v_lshlrev_b32_e32 v2, 4, v2
	s_delay_alu instid0(VALU_DEP_2) | instskip(SKIP_1) | instid1(VALU_DEP_3)
	v_cndmask_b32_e64 v3, 0, 1, s0
	v_cmp_gt_u32_e64 s0, 28, v6
	v_add_lshl_u32 v2, v2, v6, 2
	ds_bpermute_b32 v4, v2, v5
	s_waitcnt lgkmcnt(0)
	v_add_f32_e32 v5, v5, v4
	v_lshlrev_b32_e32 v3, 3, v3
	v_cndmask_b32_e64 v4, 0, 1, s0
	v_cmp_gt_u32_e64 s0, 30, v6
	s_delay_alu instid0(VALU_DEP_3) | instskip(NEXT) | instid1(VALU_DEP_3)
	v_add_lshl_u32 v3, v3, v6, 2
	v_lshlrev_b32_e32 v4, 2, v4
	ds_bpermute_b32 v8, v3, v5
	v_add_lshl_u32 v4, v4, v6, 2
	s_waitcnt lgkmcnt(0)
	v_add_f32_e32 v8, v5, v8
	v_cndmask_b32_e64 v5, 0, 1, s0
	v_cmp_ne_u32_e64 s0, 31, v6
	ds_bpermute_b32 v9, v4, v8
	v_lshlrev_b32_e32 v5, 1, v5
	s_delay_alu instid0(VALU_DEP_1) | instskip(SKIP_1) | instid1(VALU_DEP_1)
	v_add_lshl_u32 v5, v5, v6, 2
	v_add_co_ci_u32_e64 v6, s0, 0, v6, s0
	v_lshlrev_b32_e32 v6, 2, v6
	s_waitcnt lgkmcnt(0)
	v_add_f32_e32 v8, v8, v9
	ds_bpermute_b32 v9, v5, v8
	s_waitcnt lgkmcnt(0)
	v_add_f32_e32 v8, v8, v9
	ds_bpermute_b32 v9, v6, v8
	v_cmpx_eq_u32_e32 0, v7
	s_cbranch_execz .LBB535_8
; %bb.7:
	v_lshrrev_b32_e32 v7, 3, v0
	s_waitcnt lgkmcnt(0)
	s_delay_alu instid0(VALU_DEP_1)
	v_dual_add_f32 v8, v8, v9 :: v_dual_and_b32 v7, 0x7c, v7
	ds_store_b32 v7, v8
.LBB535_8:
	s_or_b32 exec_lo, exec_lo, s1
	v_mov_b32_e32 v7, 0
	s_waitcnt lgkmcnt(0)
	s_barrier
	buffer_gl0_inv
	s_and_saveexec_b32 s0, vcc_lo
	s_cbranch_execz .LBB535_10
; %bb.9:
	ds_load_b32 v7, v1
.LBB535_10:
	s_or_b32 exec_lo, exec_lo, s0
	s_and_saveexec_b32 s0, vcc_lo
	s_cbranch_execz .LBB535_12
; %bb.11:
	s_waitcnt lgkmcnt(0)
	ds_bpermute_b32 v1, v2, v7
	s_waitcnt lgkmcnt(0)
	v_add_f32_e32 v1, v7, v1
	ds_bpermute_b32 v2, v3, v1
	s_waitcnt lgkmcnt(0)
	v_add_f32_e32 v1, v1, v2
	;; [unrolled: 3-line block ×5, first 2 shown]
.LBB535_12:
	s_or_b32 exec_lo, exec_lo, s0
	s_delay_alu instid0(SALU_CYCLE_1)
	s_mov_b32 s0, exec_lo
	v_cmpx_eq_u32_e32 0, v0
	s_cbranch_execz .LBB535_14
; %bb.13:
	s_lshl_b64 s[0:1], s[8:9], 2
	v_mov_b32_e32 v0, 0
	s_add_u32 s0, s2, s0
	s_addc_u32 s1, s3, s1
	s_waitcnt lgkmcnt(0)
	global_store_b32 v0, v7, s[0:1]
.LBB535_14:
	s_nop 0
	s_sendmsg sendmsg(MSG_DEALLOC_VGPRS)
	s_endpgm
	.section	.rodata,"a",@progbits
	.p2align	6, 0x0
	.amdhsa_kernel _ZL18rocblas_dot_kernelIiLb1ELi1024ELi32ELb1EfPK16rocblas_bfloat16fEviT5_lT_lS3_lS4_liPT6_PT4_
		.amdhsa_group_segment_fixed_size 128
		.amdhsa_private_segment_fixed_size 0
		.amdhsa_kernarg_size 352
		.amdhsa_user_sgpr_count 14
		.amdhsa_user_sgpr_dispatch_ptr 0
		.amdhsa_user_sgpr_queue_ptr 0
		.amdhsa_user_sgpr_kernarg_segment_ptr 1
		.amdhsa_user_sgpr_dispatch_id 0
		.amdhsa_user_sgpr_private_segment_size 0
		.amdhsa_wavefront_size32 1
		.amdhsa_uses_dynamic_stack 0
		.amdhsa_enable_private_segment 0
		.amdhsa_system_sgpr_workgroup_id_x 1
		.amdhsa_system_sgpr_workgroup_id_y 0
		.amdhsa_system_sgpr_workgroup_id_z 1
		.amdhsa_system_sgpr_workgroup_info 0
		.amdhsa_system_vgpr_workitem_id 0
		.amdhsa_next_free_vgpr 10
		.amdhsa_next_free_sgpr 25
		.amdhsa_reserve_vcc 1
		.amdhsa_float_round_mode_32 0
		.amdhsa_float_round_mode_16_64 0
		.amdhsa_float_denorm_mode_32 3
		.amdhsa_float_denorm_mode_16_64 3
		.amdhsa_dx10_clamp 1
		.amdhsa_ieee_mode 1
		.amdhsa_fp16_overflow 0
		.amdhsa_workgroup_processor_mode 1
		.amdhsa_memory_ordered 1
		.amdhsa_forward_progress 0
		.amdhsa_shared_vgpr_count 0
		.amdhsa_exception_fp_ieee_invalid_op 0
		.amdhsa_exception_fp_denorm_src 0
		.amdhsa_exception_fp_ieee_div_zero 0
		.amdhsa_exception_fp_ieee_overflow 0
		.amdhsa_exception_fp_ieee_underflow 0
		.amdhsa_exception_fp_ieee_inexact 0
		.amdhsa_exception_int_div_zero 0
	.end_amdhsa_kernel
	.section	.text._ZL18rocblas_dot_kernelIiLb1ELi1024ELi32ELb1EfPK16rocblas_bfloat16fEviT5_lT_lS3_lS4_liPT6_PT4_,"axG",@progbits,_ZL18rocblas_dot_kernelIiLb1ELi1024ELi32ELb1EfPK16rocblas_bfloat16fEviT5_lT_lS3_lS4_liPT6_PT4_,comdat
.Lfunc_end535:
	.size	_ZL18rocblas_dot_kernelIiLb1ELi1024ELi32ELb1EfPK16rocblas_bfloat16fEviT5_lT_lS3_lS4_liPT6_PT4_, .Lfunc_end535-_ZL18rocblas_dot_kernelIiLb1ELi1024ELi32ELb1EfPK16rocblas_bfloat16fEviT5_lT_lS3_lS4_liPT6_PT4_
                                        ; -- End function
	.section	.AMDGPU.csdata,"",@progbits
; Kernel info:
; codeLenInByte = 956
; NumSgprs: 27
; NumVgprs: 10
; ScratchSize: 0
; MemoryBound: 0
; FloatMode: 240
; IeeeMode: 1
; LDSByteSize: 128 bytes/workgroup (compile time only)
; SGPRBlocks: 3
; VGPRBlocks: 1
; NumSGPRsForWavesPerEU: 27
; NumVGPRsForWavesPerEU: 10
; Occupancy: 16
; WaveLimiterHint : 0
; COMPUTE_PGM_RSRC2:SCRATCH_EN: 0
; COMPUTE_PGM_RSRC2:USER_SGPR: 14
; COMPUTE_PGM_RSRC2:TRAP_HANDLER: 0
; COMPUTE_PGM_RSRC2:TGID_X_EN: 1
; COMPUTE_PGM_RSRC2:TGID_Y_EN: 0
; COMPUTE_PGM_RSRC2:TGID_Z_EN: 1
; COMPUTE_PGM_RSRC2:TIDIG_COMP_CNT: 0
	.section	.text._ZL24rocblas_dot_kernel_magsqIiLb1ELi1024ELi32ELb1EfPK16rocblas_bfloat16fEviT5_lT_liPT6_PT4_,"axG",@progbits,_ZL24rocblas_dot_kernel_magsqIiLb1ELi1024ELi32ELb1EfPK16rocblas_bfloat16fEviT5_lT_liPT6_PT4_,comdat
	.globl	_ZL24rocblas_dot_kernel_magsqIiLb1ELi1024ELi32ELb1EfPK16rocblas_bfloat16fEviT5_lT_liPT6_PT4_ ; -- Begin function _ZL24rocblas_dot_kernel_magsqIiLb1ELi1024ELi32ELb1EfPK16rocblas_bfloat16fEviT5_lT_liPT6_PT4_
	.p2align	8
	.type	_ZL24rocblas_dot_kernel_magsqIiLb1ELi1024ELi32ELb1EfPK16rocblas_bfloat16fEviT5_lT_liPT6_PT4_,@function
_ZL24rocblas_dot_kernel_magsqIiLb1ELi1024ELi32ELb1EfPK16rocblas_bfloat16fEviT5_lT_liPT6_PT4_: ; @_ZL24rocblas_dot_kernel_magsqIiLb1ELi1024ELi32ELb1EfPK16rocblas_bfloat16fEviT5_lT_liPT6_PT4_
; %bb.0:
	s_clause 0x1
	s_load_b32 s8, s[0:1], 0x0
	s_load_b64 s[2:3], s[0:1], 0x38
	v_mov_b32_e32 v3, 0
	s_mov_b32 s4, s15
	s_mov_b32 s5, 0
	s_mov_b32 s9, exec_lo
	s_waitcnt lgkmcnt(0)
	v_cmpx_gt_i32_e64 s8, v0
	s_cbranch_execz .LBB536_4
; %bb.1:
	s_clause 0x3
	s_load_b32 s10, s[0:1], 0x40
	s_load_b64 s[6:7], s[0:1], 0x20
	s_load_b32 s16, s[0:1], 0x18
	s_load_b128 s[12:15], s[0:1], 0x8
	v_mov_b32_e32 v3, 0
	s_waitcnt lgkmcnt(0)
	s_lshl_b32 s1, s10, 10
	s_mul_i32 s0, s7, s4
	v_mad_i64_i32 v[1:2], null, s16, v0, 0
	s_mul_hi_u32 s7, s6, s4
	s_mul_i32 s6, s6, s4
	s_add_i32 s7, s7, s0
	s_lshl_b64 s[10:11], s[14:15], 1
	s_lshl_b64 s[6:7], s[6:7], 1
	s_add_u32 s0, s12, s10
	s_delay_alu instid0(VALU_DEP_1)
	v_lshlrev_b64 v[1:2], 1, v[1:2]
	s_addc_u32 s10, s13, s11
	s_add_u32 s0, s0, s6
	s_addc_u32 s6, s10, s7
	v_or_b32_e32 v4, s1, v0
	s_mul_hi_i32 s15, s16, s1
	v_add_co_u32 v1, vcc_lo, s0, v1
	v_add_co_ci_u32_e32 v2, vcc_lo, s6, v2, vcc_lo
	s_mul_i32 s14, s16, s1
	s_mov_b32 s10, s5
	s_lshl_b64 s[6:7], s[14:15], 1
	s_mov_b32 s11, s5
	.p2align	6
.LBB536_2:                              ; =>This Inner Loop Header: Depth=1
	global_load_u16 v5, v[1:2], off
	s_add_i32 s12, s11, 1
	v_cmp_le_i32_e32 vcc_lo, s8, v4
	v_add_co_u32 v1, s0, v1, s6
	s_cmp_gt_u32 s11, 30
	v_add_co_ci_u32_e64 v2, s0, s7, v2, s0
	s_cselect_b32 s0, -1, 0
	s_mov_b32 s11, s12
	s_or_b32 s0, s0, vcc_lo
	s_delay_alu instid0(SALU_CYCLE_1) | instskip(NEXT) | instid1(SALU_CYCLE_1)
	s_and_b32 s0, exec_lo, s0
	s_or_b32 s10, s0, s10
	s_waitcnt vmcnt(0)
	v_lshlrev_b32_e32 v5, 16, v5
	s_delay_alu instid0(VALU_DEP_1)
	v_dual_fmac_f32 v3, v5, v5 :: v_dual_add_nc_u32 v4, s1, v4
	s_and_not1_b32 exec_lo, exec_lo, s10
	s_cbranch_execnz .LBB536_2
; %bb.3:
	s_or_b32 exec_lo, exec_lo, s10
.LBB536_4:
	s_delay_alu instid0(SALU_CYCLE_1) | instskip(SKIP_2) | instid1(VALU_DEP_2)
	s_or_b32 exec_lo, exec_lo, s9
	v_and_b32_e32 v7, 31, v0
	v_cmp_gt_u32_e32 vcc_lo, 32, v0
	v_lshlrev_b32_e32 v1, 2, v7
	s_and_saveexec_b32 s0, vcc_lo
	s_cbranch_execz .LBB536_6
; %bb.5:
	v_mov_b32_e32 v2, 0
	ds_store_b32 v1, v2
.LBB536_6:
	s_or_b32 exec_lo, exec_lo, s0
	v_mbcnt_lo_u32_b32 v6, -1, 0
	s_mov_b32 s1, exec_lo
	s_waitcnt lgkmcnt(0)
	s_barrier
	buffer_gl0_inv
	v_cmp_gt_u32_e64 s0, 16, v6
	s_delay_alu instid0(VALU_DEP_1) | instskip(SKIP_1) | instid1(VALU_DEP_2)
	v_cndmask_b32_e64 v2, 0, 1, s0
	v_cmp_gt_u32_e64 s0, 24, v6
	v_lshlrev_b32_e32 v2, 4, v2
	s_delay_alu instid0(VALU_DEP_2) | instskip(SKIP_1) | instid1(VALU_DEP_3)
	v_cndmask_b32_e64 v4, 0, 1, s0
	v_cmp_gt_u32_e64 s0, 28, v6
	v_add_lshl_u32 v2, v2, v6, 2
	s_delay_alu instid0(VALU_DEP_3)
	v_lshlrev_b32_e32 v4, 3, v4
	ds_bpermute_b32 v5, v2, v3
	v_add_lshl_u32 v4, v4, v6, 2
	s_waitcnt lgkmcnt(0)
	v_add_f32_e32 v5, v3, v5
	v_cndmask_b32_e64 v3, 0, 1, s0
	v_cmp_gt_u32_e64 s0, 30, v6
	ds_bpermute_b32 v8, v4, v5
	s_waitcnt lgkmcnt(0)
	v_dual_add_f32 v8, v5, v8 :: v_dual_lshlrev_b32 v3, 2, v3
	s_delay_alu instid0(VALU_DEP_1) | instskip(SKIP_4) | instid1(VALU_DEP_1)
	v_add_lshl_u32 v3, v3, v6, 2
	v_cndmask_b32_e64 v5, 0, 1, s0
	v_cmp_ne_u32_e64 s0, 31, v6
	ds_bpermute_b32 v9, v3, v8
	v_lshlrev_b32_e32 v5, 1, v5
	v_add_lshl_u32 v5, v5, v6, 2
	v_add_co_ci_u32_e64 v6, s0, 0, v6, s0
	s_delay_alu instid0(VALU_DEP_1)
	v_lshlrev_b32_e32 v6, 2, v6
	s_waitcnt lgkmcnt(0)
	v_add_f32_e32 v8, v8, v9
	ds_bpermute_b32 v9, v5, v8
	s_waitcnt lgkmcnt(0)
	v_add_f32_e32 v8, v8, v9
	ds_bpermute_b32 v9, v6, v8
	v_cmpx_eq_u32_e32 0, v7
	s_cbranch_execz .LBB536_8
; %bb.7:
	v_lshrrev_b32_e32 v7, 3, v0
	s_waitcnt lgkmcnt(0)
	s_delay_alu instid0(VALU_DEP_1)
	v_dual_add_f32 v8, v8, v9 :: v_dual_and_b32 v7, 0x7c, v7
	ds_store_b32 v7, v8
.LBB536_8:
	s_or_b32 exec_lo, exec_lo, s1
	v_mov_b32_e32 v7, 0
	s_waitcnt lgkmcnt(0)
	s_barrier
	buffer_gl0_inv
	s_and_saveexec_b32 s0, vcc_lo
	s_cbranch_execz .LBB536_10
; %bb.9:
	ds_load_b32 v7, v1
.LBB536_10:
	s_or_b32 exec_lo, exec_lo, s0
	s_and_saveexec_b32 s0, vcc_lo
	s_cbranch_execz .LBB536_12
; %bb.11:
	s_waitcnt lgkmcnt(0)
	ds_bpermute_b32 v1, v2, v7
	s_waitcnt lgkmcnt(0)
	v_add_f32_e32 v1, v7, v1
	ds_bpermute_b32 v2, v4, v1
	s_waitcnt lgkmcnt(0)
	v_add_f32_e32 v1, v1, v2
	;; [unrolled: 3-line block ×5, first 2 shown]
.LBB536_12:
	s_or_b32 exec_lo, exec_lo, s0
	s_delay_alu instid0(SALU_CYCLE_1)
	s_mov_b32 s0, exec_lo
	v_cmpx_eq_u32_e32 0, v0
	s_cbranch_execz .LBB536_14
; %bb.13:
	s_lshl_b64 s[0:1], s[4:5], 2
	v_mov_b32_e32 v0, 0
	s_add_u32 s0, s2, s0
	s_addc_u32 s1, s3, s1
	s_waitcnt lgkmcnt(0)
	global_store_b32 v0, v7, s[0:1]
.LBB536_14:
	s_nop 0
	s_sendmsg sendmsg(MSG_DEALLOC_VGPRS)
	s_endpgm
	.section	.rodata,"a",@progbits
	.p2align	6, 0x0
	.amdhsa_kernel _ZL24rocblas_dot_kernel_magsqIiLb1ELi1024ELi32ELb1EfPK16rocblas_bfloat16fEviT5_lT_liPT6_PT4_
		.amdhsa_group_segment_fixed_size 128
		.amdhsa_private_segment_fixed_size 0
		.amdhsa_kernarg_size 320
		.amdhsa_user_sgpr_count 14
		.amdhsa_user_sgpr_dispatch_ptr 0
		.amdhsa_user_sgpr_queue_ptr 0
		.amdhsa_user_sgpr_kernarg_segment_ptr 1
		.amdhsa_user_sgpr_dispatch_id 0
		.amdhsa_user_sgpr_private_segment_size 0
		.amdhsa_wavefront_size32 1
		.amdhsa_uses_dynamic_stack 0
		.amdhsa_enable_private_segment 0
		.amdhsa_system_sgpr_workgroup_id_x 1
		.amdhsa_system_sgpr_workgroup_id_y 0
		.amdhsa_system_sgpr_workgroup_id_z 1
		.amdhsa_system_sgpr_workgroup_info 0
		.amdhsa_system_vgpr_workitem_id 0
		.amdhsa_next_free_vgpr 10
		.amdhsa_next_free_sgpr 17
		.amdhsa_reserve_vcc 1
		.amdhsa_float_round_mode_32 0
		.amdhsa_float_round_mode_16_64 0
		.amdhsa_float_denorm_mode_32 3
		.amdhsa_float_denorm_mode_16_64 3
		.amdhsa_dx10_clamp 1
		.amdhsa_ieee_mode 1
		.amdhsa_fp16_overflow 0
		.amdhsa_workgroup_processor_mode 1
		.amdhsa_memory_ordered 1
		.amdhsa_forward_progress 0
		.amdhsa_shared_vgpr_count 0
		.amdhsa_exception_fp_ieee_invalid_op 0
		.amdhsa_exception_fp_denorm_src 0
		.amdhsa_exception_fp_ieee_div_zero 0
		.amdhsa_exception_fp_ieee_overflow 0
		.amdhsa_exception_fp_ieee_underflow 0
		.amdhsa_exception_fp_ieee_inexact 0
		.amdhsa_exception_int_div_zero 0
	.end_amdhsa_kernel
	.section	.text._ZL24rocblas_dot_kernel_magsqIiLb1ELi1024ELi32ELb1EfPK16rocblas_bfloat16fEviT5_lT_liPT6_PT4_,"axG",@progbits,_ZL24rocblas_dot_kernel_magsqIiLb1ELi1024ELi32ELb1EfPK16rocblas_bfloat16fEviT5_lT_liPT6_PT4_,comdat
.Lfunc_end536:
	.size	_ZL24rocblas_dot_kernel_magsqIiLb1ELi1024ELi32ELb1EfPK16rocblas_bfloat16fEviT5_lT_liPT6_PT4_, .Lfunc_end536-_ZL24rocblas_dot_kernel_magsqIiLb1ELi1024ELi32ELb1EfPK16rocblas_bfloat16fEviT5_lT_liPT6_PT4_
                                        ; -- End function
	.section	.AMDGPU.csdata,"",@progbits
; Kernel info:
; codeLenInByte = 820
; NumSgprs: 19
; NumVgprs: 10
; ScratchSize: 0
; MemoryBound: 0
; FloatMode: 240
; IeeeMode: 1
; LDSByteSize: 128 bytes/workgroup (compile time only)
; SGPRBlocks: 2
; VGPRBlocks: 1
; NumSGPRsForWavesPerEU: 19
; NumVGPRsForWavesPerEU: 10
; Occupancy: 16
; WaveLimiterHint : 0
; COMPUTE_PGM_RSRC2:SCRATCH_EN: 0
; COMPUTE_PGM_RSRC2:USER_SGPR: 14
; COMPUTE_PGM_RSRC2:TRAP_HANDLER: 0
; COMPUTE_PGM_RSRC2:TGID_X_EN: 1
; COMPUTE_PGM_RSRC2:TGID_Y_EN: 0
; COMPUTE_PGM_RSRC2:TGID_Z_EN: 1
; COMPUTE_PGM_RSRC2:TIDIG_COMP_CNT: 0
	.section	.text._ZL18rocblas_dot_kernelIiLb0ELi512ELi4ELb1EfPK16rocblas_bfloat16fEviT5_lT_lS3_lS4_liPT6_PT4_,"axG",@progbits,_ZL18rocblas_dot_kernelIiLb0ELi512ELi4ELb1EfPK16rocblas_bfloat16fEviT5_lT_lS3_lS4_liPT6_PT4_,comdat
	.globl	_ZL18rocblas_dot_kernelIiLb0ELi512ELi4ELb1EfPK16rocblas_bfloat16fEviT5_lT_lS3_lS4_liPT6_PT4_ ; -- Begin function _ZL18rocblas_dot_kernelIiLb0ELi512ELi4ELb1EfPK16rocblas_bfloat16fEviT5_lT_lS3_lS4_liPT6_PT4_
	.p2align	8
	.type	_ZL18rocblas_dot_kernelIiLb0ELi512ELi4ELb1EfPK16rocblas_bfloat16fEviT5_lT_lS3_lS4_liPT6_PT4_,@function
_ZL18rocblas_dot_kernelIiLb0ELi512ELi4ELb1EfPK16rocblas_bfloat16fEviT5_lT_lS3_lS4_liPT6_PT4_: ; @_ZL18rocblas_dot_kernelIiLb0ELi512ELi4ELb1EfPK16rocblas_bfloat16fEviT5_lT_lS3_lS4_liPT6_PT4_
; %bb.0:
	s_clause 0x2
	s_load_b32 s12, s[0:1], 0x60
	s_load_b32 s13, s[0:1], 0x0
	s_load_b128 s[4:7], s[0:1], 0x50
	v_lshl_or_b32 v1, s14, 9, v0
	v_mov_b32_e32 v6, 0
	s_mov_b32 s2, s15
	s_mov_b32 s3, 0
	s_mov_b32 s15, exec_lo
	s_waitcnt lgkmcnt(0)
	v_cmpx_gt_i32_e64 s13, v1
	s_cbranch_execz .LBB537_4
; %bb.1:
	s_clause 0x5
	s_load_b32 s17, s[0:1], 0x18
	s_load_b128 s[8:11], s[0:1], 0x20
	s_load_b128 s[20:23], s[0:1], 0x8
	s_load_b32 s26, s[0:1], 0x38
	s_load_b64 s[18:19], s[0:1], 0x40
	s_load_b64 s[0:1], s[0:1], 0x30
	s_lshl_b32 s16, s12, 9
	s_delay_alu instid0(SALU_CYCLE_1)
	v_add_nc_u32_e32 v5, s16, v1
	s_waitcnt lgkmcnt(0)
	v_mad_i64_i32 v[2:3], null, s17, v1, 0
	s_mul_i32 s9, s9, s2
	s_mul_hi_u32 s27, s8, s2
	v_mad_i64_i32 v[6:7], null, s26, v1, 0
	s_mul_i32 s8, s8, s2
	s_add_i32 s9, s27, s9
	s_lshl_b64 s[22:23], s[22:23], 1
	s_lshl_b64 s[8:9], s[8:9], 1
	s_add_u32 s20, s20, s22
	s_mul_hi_i32 s25, s17, s16
	s_mul_i32 s24, s17, s16
	s_mul_i32 s17, s19, s2
	s_mul_hi_u32 s19, s18, s2
	s_addc_u32 s21, s21, s23
	v_lshlrev_b64 v[1:2], 1, v[2:3]
	s_add_u32 s20, s20, s8
	s_mul_i32 s18, s18, s2
	s_addc_u32 s21, s21, s9
	s_add_i32 s19, s19, s17
	v_lshlrev_b64 v[3:4], 1, v[6:7]
	v_mov_b32_e32 v6, 0
	s_lshl_b64 s[0:1], s[0:1], 1
	s_lshl_b64 s[8:9], s[24:25], 1
	;; [unrolled: 1-line block ×3, first 2 shown]
	s_add_u32 s0, s10, s0
	v_add_co_u32 v1, vcc_lo, s20, v1
	s_addc_u32 s1, s11, s1
	s_add_u32 s0, s0, s18
	v_add_co_ci_u32_e32 v2, vcc_lo, s21, v2, vcc_lo
	s_addc_u32 s1, s1, s19
	v_add_co_u32 v3, vcc_lo, s0, v3
	v_add_co_ci_u32_e32 v4, vcc_lo, s1, v4, vcc_lo
	s_mul_hi_i32 s1, s26, s16
	s_mul_i32 s0, s26, s16
	s_mov_b32 s17, s3
	s_lshl_b64 s[10:11], s[0:1], 1
	s_mov_b32 s1, s3
	.p2align	6
.LBB537_2:                              ; =>This Inner Loop Header: Depth=1
	global_load_u16 v7, v[1:2], off
	global_load_u16 v8, v[3:4], off
	v_add_co_u32 v1, s0, v1, s8
	s_delay_alu instid0(VALU_DEP_1)
	v_add_co_ci_u32_e64 v2, s0, s9, v2, s0
	s_add_i32 s18, s17, 1
	v_cmp_le_i32_e32 vcc_lo, s13, v5
	v_add_co_u32 v3, s0, v3, s10
	s_cmp_gt_u32 s17, 2
	v_add_co_ci_u32_e64 v4, s0, s11, v4, s0
	s_cselect_b32 s0, -1, 0
	s_mov_b32 s17, s18
	s_or_b32 s0, s0, vcc_lo
	s_delay_alu instid0(SALU_CYCLE_1) | instskip(NEXT) | instid1(SALU_CYCLE_1)
	s_and_b32 s0, exec_lo, s0
	s_or_b32 s1, s0, s1
	s_waitcnt vmcnt(1)
	v_lshlrev_b32_e32 v7, 16, v7
	s_waitcnt vmcnt(0)
	v_lshlrev_b32_e32 v8, 16, v8
	s_delay_alu instid0(VALU_DEP_1)
	v_dual_fmac_f32 v6, v8, v7 :: v_dual_add_nc_u32 v5, s16, v5
	s_and_not1_b32 exec_lo, exec_lo, s1
	s_cbranch_execnz .LBB537_2
; %bb.3:
	s_or_b32 exec_lo, exec_lo, s1
.LBB537_4:
	s_delay_alu instid0(SALU_CYCLE_1) | instskip(SKIP_2) | instid1(VALU_DEP_2)
	s_or_b32 exec_lo, exec_lo, s15
	v_and_b32_e32 v2, 31, v0
	v_cmp_gt_u32_e32 vcc_lo, 32, v0
	v_lshlrev_b32_e32 v1, 2, v2
	s_and_saveexec_b32 s0, vcc_lo
	s_cbranch_execz .LBB537_6
; %bb.5:
	v_mov_b32_e32 v3, 0
	ds_store_b32 v1, v3
.LBB537_6:
	s_or_b32 exec_lo, exec_lo, s0
	v_mbcnt_lo_u32_b32 v7, -1, 0
	s_mov_b32 s1, exec_lo
	s_waitcnt lgkmcnt(0)
	s_barrier
	buffer_gl0_inv
	v_cmp_gt_u32_e64 s0, 16, v7
	s_delay_alu instid0(VALU_DEP_1) | instskip(SKIP_1) | instid1(VALU_DEP_2)
	v_cndmask_b32_e64 v3, 0, 1, s0
	v_cmp_gt_u32_e64 s0, 24, v7
	v_lshlrev_b32_e32 v3, 4, v3
	s_delay_alu instid0(VALU_DEP_1) | instskip(SKIP_3) | instid1(VALU_DEP_2)
	v_add_lshl_u32 v3, v3, v7, 2
	ds_bpermute_b32 v4, v3, v6
	v_cndmask_b32_e64 v3, 0, 1, s0
	v_cmp_gt_u32_e64 s0, 28, v7
	v_lshlrev_b32_e32 v3, 3, v3
	s_delay_alu instid0(VALU_DEP_1)
	v_add_lshl_u32 v3, v3, v7, 2
	s_waitcnt lgkmcnt(0)
	v_add_f32_e32 v5, v6, v4
	v_cndmask_b32_e64 v4, 0, 1, s0
	v_cmp_gt_u32_e64 s0, 30, v7
	ds_bpermute_b32 v6, v3, v5
	v_lshlrev_b32_e32 v4, 2, v4
	s_delay_alu instid0(VALU_DEP_1)
	v_add_lshl_u32 v4, v4, v7, 2
	s_waitcnt lgkmcnt(0)
	v_add_f32_e32 v6, v5, v6
	v_cndmask_b32_e64 v5, 0, 1, s0
	v_cmp_ne_u32_e64 s0, 31, v7
	ds_bpermute_b32 v8, v4, v6
	v_lshlrev_b32_e32 v5, 1, v5
	v_add_co_ci_u32_e64 v9, s0, 0, v7, s0
	s_delay_alu instid0(VALU_DEP_2)
	v_add_lshl_u32 v5, v5, v7, 2
	s_waitcnt lgkmcnt(0)
	v_add_f32_e32 v6, v6, v8
	ds_bpermute_b32 v8, v5, v6
	s_waitcnt lgkmcnt(0)
	v_dual_add_f32 v7, v6, v8 :: v_dual_lshlrev_b32 v6, 2, v9
	ds_bpermute_b32 v8, v6, v7
	v_cmpx_eq_u32_e32 0, v2
	s_cbranch_execz .LBB537_8
; %bb.7:
	v_lshrrev_b32_e32 v2, 3, v0
	s_waitcnt lgkmcnt(0)
	s_delay_alu instid0(VALU_DEP_1)
	v_dual_add_f32 v7, v7, v8 :: v_dual_and_b32 v2, 60, v2
	ds_store_b32 v2, v7
.LBB537_8:
	s_or_b32 exec_lo, exec_lo, s1
	v_mov_b32_e32 v2, 0
	s_mov_b32 s1, exec_lo
	s_waitcnt lgkmcnt(0)
	s_barrier
	buffer_gl0_inv
	v_cmpx_gt_u32_e32 16, v0
	s_cbranch_execz .LBB537_10
; %bb.9:
	ds_load_b32 v2, v1
.LBB537_10:
	s_or_b32 exec_lo, exec_lo, s1
	s_and_saveexec_b32 s0, vcc_lo
	s_cbranch_execz .LBB537_12
; %bb.11:
	s_waitcnt lgkmcnt(0)
	ds_bpermute_b32 v1, v3, v2
	s_waitcnt lgkmcnt(0)
	v_add_f32_e32 v1, v2, v1
	ds_bpermute_b32 v2, v4, v1
	s_waitcnt lgkmcnt(0)
	v_add_f32_e32 v1, v1, v2
	;; [unrolled: 3-line block ×4, first 2 shown]
.LBB537_12:
	s_or_b32 exec_lo, exec_lo, s0
	s_delay_alu instid0(SALU_CYCLE_1)
	s_mov_b32 s0, exec_lo
	v_cmpx_eq_u32_e32 0, v0
	s_cbranch_execz .LBB537_18
; %bb.13:
	s_cmp_lg_u32 s12, 1
	s_cbranch_scc0 .LBB537_15
; %bb.14:
	s_mul_hi_u32 s1, s12, s2
	s_mul_i32 s0, s12, s2
	s_mov_b32 s15, 0
	s_lshl_b64 s[0:1], s[0:1], 2
	s_delay_alu instid0(SALU_CYCLE_1) | instskip(SKIP_2) | instid1(SALU_CYCLE_1)
	s_add_u32 s4, s4, s0
	s_addc_u32 s5, s5, s1
	s_lshl_b64 s[0:1], s[14:15], 2
	s_add_u32 s0, s4, s0
	s_addc_u32 s1, s5, s1
	s_cbranch_execz .LBB537_16
	s_branch .LBB537_17
.LBB537_15:
                                        ; implicit-def: $sgpr0_sgpr1
.LBB537_16:
	s_lshl_b64 s[0:1], s[2:3], 2
	s_delay_alu instid0(SALU_CYCLE_1)
	s_add_u32 s0, s6, s0
	s_addc_u32 s1, s7, s1
.LBB537_17:
	v_mov_b32_e32 v0, 0
	s_waitcnt lgkmcnt(0)
	global_store_b32 v0, v2, s[0:1]
.LBB537_18:
	s_nop 0
	s_sendmsg sendmsg(MSG_DEALLOC_VGPRS)
	s_endpgm
	.section	.rodata,"a",@progbits
	.p2align	6, 0x0
	.amdhsa_kernel _ZL18rocblas_dot_kernelIiLb0ELi512ELi4ELb1EfPK16rocblas_bfloat16fEviT5_lT_lS3_lS4_liPT6_PT4_
		.amdhsa_group_segment_fixed_size 128
		.amdhsa_private_segment_fixed_size 0
		.amdhsa_kernarg_size 352
		.amdhsa_user_sgpr_count 14
		.amdhsa_user_sgpr_dispatch_ptr 0
		.amdhsa_user_sgpr_queue_ptr 0
		.amdhsa_user_sgpr_kernarg_segment_ptr 1
		.amdhsa_user_sgpr_dispatch_id 0
		.amdhsa_user_sgpr_private_segment_size 0
		.amdhsa_wavefront_size32 1
		.amdhsa_uses_dynamic_stack 0
		.amdhsa_enable_private_segment 0
		.amdhsa_system_sgpr_workgroup_id_x 1
		.amdhsa_system_sgpr_workgroup_id_y 0
		.amdhsa_system_sgpr_workgroup_id_z 1
		.amdhsa_system_sgpr_workgroup_info 0
		.amdhsa_system_vgpr_workitem_id 0
		.amdhsa_next_free_vgpr 10
		.amdhsa_next_free_sgpr 28
		.amdhsa_reserve_vcc 1
		.amdhsa_float_round_mode_32 0
		.amdhsa_float_round_mode_16_64 0
		.amdhsa_float_denorm_mode_32 3
		.amdhsa_float_denorm_mode_16_64 3
		.amdhsa_dx10_clamp 1
		.amdhsa_ieee_mode 1
		.amdhsa_fp16_overflow 0
		.amdhsa_workgroup_processor_mode 1
		.amdhsa_memory_ordered 1
		.amdhsa_forward_progress 0
		.amdhsa_shared_vgpr_count 0
		.amdhsa_exception_fp_ieee_invalid_op 0
		.amdhsa_exception_fp_denorm_src 0
		.amdhsa_exception_fp_ieee_div_zero 0
		.amdhsa_exception_fp_ieee_overflow 0
		.amdhsa_exception_fp_ieee_underflow 0
		.amdhsa_exception_fp_ieee_inexact 0
		.amdhsa_exception_int_div_zero 0
	.end_amdhsa_kernel
	.section	.text._ZL18rocblas_dot_kernelIiLb0ELi512ELi4ELb1EfPK16rocblas_bfloat16fEviT5_lT_lS3_lS4_liPT6_PT4_,"axG",@progbits,_ZL18rocblas_dot_kernelIiLb0ELi512ELi4ELb1EfPK16rocblas_bfloat16fEviT5_lT_lS3_lS4_liPT6_PT4_,comdat
.Lfunc_end537:
	.size	_ZL18rocblas_dot_kernelIiLb0ELi512ELi4ELb1EfPK16rocblas_bfloat16fEviT5_lT_lS3_lS4_liPT6_PT4_, .Lfunc_end537-_ZL18rocblas_dot_kernelIiLb0ELi512ELi4ELb1EfPK16rocblas_bfloat16fEviT5_lT_lS3_lS4_liPT6_PT4_
                                        ; -- End function
	.section	.AMDGPU.csdata,"",@progbits
; Kernel info:
; codeLenInByte = 1012
; NumSgprs: 30
; NumVgprs: 10
; ScratchSize: 0
; MemoryBound: 0
; FloatMode: 240
; IeeeMode: 1
; LDSByteSize: 128 bytes/workgroup (compile time only)
; SGPRBlocks: 3
; VGPRBlocks: 1
; NumSGPRsForWavesPerEU: 30
; NumVGPRsForWavesPerEU: 10
; Occupancy: 16
; WaveLimiterHint : 0
; COMPUTE_PGM_RSRC2:SCRATCH_EN: 0
; COMPUTE_PGM_RSRC2:USER_SGPR: 14
; COMPUTE_PGM_RSRC2:TRAP_HANDLER: 0
; COMPUTE_PGM_RSRC2:TGID_X_EN: 1
; COMPUTE_PGM_RSRC2:TGID_Y_EN: 0
; COMPUTE_PGM_RSRC2:TGID_Z_EN: 1
; COMPUTE_PGM_RSRC2:TIDIG_COMP_CNT: 0
	.section	.text._ZL24rocblas_dot_kernel_magsqIiLb0ELi512ELi4ELb1EfPK16rocblas_bfloat16fEviT5_lT_liPT6_PT4_,"axG",@progbits,_ZL24rocblas_dot_kernel_magsqIiLb0ELi512ELi4ELb1EfPK16rocblas_bfloat16fEviT5_lT_liPT6_PT4_,comdat
	.globl	_ZL24rocblas_dot_kernel_magsqIiLb0ELi512ELi4ELb1EfPK16rocblas_bfloat16fEviT5_lT_liPT6_PT4_ ; -- Begin function _ZL24rocblas_dot_kernel_magsqIiLb0ELi512ELi4ELb1EfPK16rocblas_bfloat16fEviT5_lT_liPT6_PT4_
	.p2align	8
	.type	_ZL24rocblas_dot_kernel_magsqIiLb0ELi512ELi4ELb1EfPK16rocblas_bfloat16fEviT5_lT_liPT6_PT4_,@function
_ZL24rocblas_dot_kernel_magsqIiLb0ELi512ELi4ELb1EfPK16rocblas_bfloat16fEviT5_lT_liPT6_PT4_: ; @_ZL24rocblas_dot_kernel_magsqIiLb0ELi512ELi4ELb1EfPK16rocblas_bfloat16fEviT5_lT_liPT6_PT4_
; %bb.0:
	s_clause 0x2
	s_load_b32 s11, s[0:1], 0x0
	s_load_b128 s[4:7], s[0:1], 0x30
	s_load_b32 s10, s[0:1], 0x40
	v_lshl_or_b32 v1, s14, 9, v0
	v_mov_b32_e32 v3, 0
	s_mov_b32 s2, s15
	s_mov_b32 s3, 0
	s_mov_b32 s12, exec_lo
	s_waitcnt lgkmcnt(0)
	v_cmpx_gt_i32_e64 s11, v1
	s_cbranch_execz .LBB538_4
; %bb.1:
	s_clause 0x2
	s_load_b32 s13, s[0:1], 0x18
	s_load_b64 s[8:9], s[0:1], 0x20
	s_load_b128 s[16:19], s[0:1], 0x8
	s_lshl_b32 s1, s10, 9
	s_mov_b32 s15, s3
	v_add_nc_u32_e32 v4, s1, v1
	s_waitcnt lgkmcnt(0)
	v_mad_i64_i32 v[2:3], null, s13, v1, 0
	s_mul_i32 s0, s9, s2
	s_mul_hi_u32 s9, s8, s2
	s_mul_i32 s8, s8, s2
	s_add_i32 s9, s9, s0
	s_lshl_b64 s[18:19], s[18:19], 1
	s_lshl_b64 s[8:9], s[8:9], 1
	s_delay_alu instid0(VALU_DEP_1)
	v_lshlrev_b64 v[1:2], 1, v[2:3]
	v_mov_b32_e32 v3, 0
	s_add_u32 s0, s16, s18
	s_mul_hi_i32 s21, s13, s1
	s_mul_i32 s20, s13, s1
	s_addc_u32 s13, s17, s19
	s_add_u32 s0, s0, s8
	s_addc_u32 s8, s13, s9
	v_add_co_u32 v1, vcc_lo, s0, v1
	v_add_co_ci_u32_e32 v2, vcc_lo, s8, v2, vcc_lo
	s_lshl_b64 s[8:9], s[20:21], 1
	s_mov_b32 s13, s3
	.p2align	6
.LBB538_2:                              ; =>This Inner Loop Header: Depth=1
	global_load_u16 v5, v[1:2], off
	s_add_i32 s16, s15, 1
	v_cmp_le_i32_e32 vcc_lo, s11, v4
	v_add_co_u32 v1, s0, v1, s8
	s_cmp_gt_u32 s15, 2
	v_add_co_ci_u32_e64 v2, s0, s9, v2, s0
	s_cselect_b32 s0, -1, 0
	s_mov_b32 s15, s16
	s_or_b32 s0, s0, vcc_lo
	s_delay_alu instid0(SALU_CYCLE_1) | instskip(NEXT) | instid1(SALU_CYCLE_1)
	s_and_b32 s0, exec_lo, s0
	s_or_b32 s13, s0, s13
	s_waitcnt vmcnt(0)
	v_lshlrev_b32_e32 v5, 16, v5
	s_delay_alu instid0(VALU_DEP_1)
	v_dual_fmac_f32 v3, v5, v5 :: v_dual_add_nc_u32 v4, s1, v4
	s_and_not1_b32 exec_lo, exec_lo, s13
	s_cbranch_execnz .LBB538_2
; %bb.3:
	s_or_b32 exec_lo, exec_lo, s13
.LBB538_4:
	s_delay_alu instid0(SALU_CYCLE_1) | instskip(SKIP_2) | instid1(VALU_DEP_2)
	s_or_b32 exec_lo, exec_lo, s12
	v_and_b32_e32 v2, 31, v0
	v_cmp_gt_u32_e32 vcc_lo, 32, v0
	v_lshlrev_b32_e32 v1, 2, v2
	s_and_saveexec_b32 s0, vcc_lo
	s_cbranch_execz .LBB538_6
; %bb.5:
	v_mov_b32_e32 v4, 0
	ds_store_b32 v1, v4
.LBB538_6:
	s_or_b32 exec_lo, exec_lo, s0
	v_mbcnt_lo_u32_b32 v6, -1, 0
	s_mov_b32 s1, exec_lo
	s_waitcnt lgkmcnt(0)
	s_barrier
	buffer_gl0_inv
	v_cmp_gt_u32_e64 s0, 16, v6
	s_delay_alu instid0(VALU_DEP_1) | instskip(SKIP_1) | instid1(VALU_DEP_2)
	v_cndmask_b32_e64 v4, 0, 1, s0
	v_cmp_gt_u32_e64 s0, 24, v6
	v_lshlrev_b32_e32 v4, 4, v4
	s_delay_alu instid0(VALU_DEP_1) | instskip(SKIP_4) | instid1(VALU_DEP_2)
	v_add_lshl_u32 v4, v4, v6, 2
	ds_bpermute_b32 v5, v4, v3
	v_cndmask_b32_e64 v4, 0, 1, s0
	v_cmp_gt_u32_e64 s0, 28, v6
	s_waitcnt lgkmcnt(0)
	v_dual_add_f32 v5, v3, v5 :: v_dual_lshlrev_b32 v4, 3, v4
	s_delay_alu instid0(VALU_DEP_2) | instskip(SKIP_1) | instid1(VALU_DEP_3)
	v_cndmask_b32_e64 v3, 0, 1, s0
	v_cmp_gt_u32_e64 s0, 30, v6
	v_add_lshl_u32 v4, v4, v6, 2
	s_delay_alu instid0(VALU_DEP_3)
	v_lshlrev_b32_e32 v3, 2, v3
	ds_bpermute_b32 v7, v4, v5
	v_add_lshl_u32 v3, v3, v6, 2
	s_waitcnt lgkmcnt(0)
	v_add_f32_e32 v7, v5, v7
	v_cndmask_b32_e64 v5, 0, 1, s0
	v_cmp_ne_u32_e64 s0, 31, v6
	ds_bpermute_b32 v8, v3, v7
	v_lshlrev_b32_e32 v5, 1, v5
	s_delay_alu instid0(VALU_DEP_1) | instskip(SKIP_2) | instid1(VALU_DEP_1)
	v_add_lshl_u32 v5, v5, v6, 2
	v_add_co_ci_u32_e64 v6, s0, 0, v6, s0
	s_waitcnt lgkmcnt(0)
	v_dual_add_f32 v7, v7, v8 :: v_dual_lshlrev_b32 v6, 2, v6
	ds_bpermute_b32 v8, v5, v7
	s_waitcnt lgkmcnt(0)
	v_add_f32_e32 v7, v7, v8
	ds_bpermute_b32 v8, v6, v7
	v_cmpx_eq_u32_e32 0, v2
	s_cbranch_execz .LBB538_8
; %bb.7:
	v_lshrrev_b32_e32 v2, 3, v0
	s_waitcnt lgkmcnt(0)
	s_delay_alu instid0(VALU_DEP_1)
	v_dual_add_f32 v7, v7, v8 :: v_dual_and_b32 v2, 60, v2
	ds_store_b32 v2, v7
.LBB538_8:
	s_or_b32 exec_lo, exec_lo, s1
	v_mov_b32_e32 v2, 0
	s_mov_b32 s1, exec_lo
	s_waitcnt lgkmcnt(0)
	s_barrier
	buffer_gl0_inv
	v_cmpx_gt_u32_e32 16, v0
	s_cbranch_execz .LBB538_10
; %bb.9:
	ds_load_b32 v2, v1
.LBB538_10:
	s_or_b32 exec_lo, exec_lo, s1
	s_and_saveexec_b32 s0, vcc_lo
	s_cbranch_execz .LBB538_12
; %bb.11:
	s_waitcnt lgkmcnt(0)
	ds_bpermute_b32 v1, v4, v2
	s_waitcnt lgkmcnt(0)
	v_add_f32_e32 v1, v2, v1
	ds_bpermute_b32 v2, v3, v1
	s_waitcnt lgkmcnt(0)
	v_add_f32_e32 v1, v1, v2
	;; [unrolled: 3-line block ×4, first 2 shown]
.LBB538_12:
	s_or_b32 exec_lo, exec_lo, s0
	s_delay_alu instid0(SALU_CYCLE_1)
	s_mov_b32 s0, exec_lo
	v_cmpx_eq_u32_e32 0, v0
	s_cbranch_execz .LBB538_18
; %bb.13:
	s_cmp_lg_u32 s10, 1
	s_cbranch_scc0 .LBB538_15
; %bb.14:
	s_mul_hi_u32 s1, s10, s2
	s_mul_i32 s0, s10, s2
	s_mov_b32 s15, 0
	s_lshl_b64 s[0:1], s[0:1], 2
	s_delay_alu instid0(SALU_CYCLE_1) | instskip(SKIP_2) | instid1(SALU_CYCLE_1)
	s_add_u32 s4, s4, s0
	s_addc_u32 s5, s5, s1
	s_lshl_b64 s[0:1], s[14:15], 2
	s_add_u32 s0, s4, s0
	s_addc_u32 s1, s5, s1
	s_cbranch_execz .LBB538_16
	s_branch .LBB538_17
.LBB538_15:
                                        ; implicit-def: $sgpr0_sgpr1
.LBB538_16:
	s_lshl_b64 s[0:1], s[2:3], 2
	s_delay_alu instid0(SALU_CYCLE_1)
	s_add_u32 s0, s6, s0
	s_addc_u32 s1, s7, s1
.LBB538_17:
	v_mov_b32_e32 v0, 0
	s_waitcnt lgkmcnt(0)
	global_store_b32 v0, v2, s[0:1]
.LBB538_18:
	s_nop 0
	s_sendmsg sendmsg(MSG_DEALLOC_VGPRS)
	s_endpgm
	.section	.rodata,"a",@progbits
	.p2align	6, 0x0
	.amdhsa_kernel _ZL24rocblas_dot_kernel_magsqIiLb0ELi512ELi4ELb1EfPK16rocblas_bfloat16fEviT5_lT_liPT6_PT4_
		.amdhsa_group_segment_fixed_size 128
		.amdhsa_private_segment_fixed_size 0
		.amdhsa_kernarg_size 320
		.amdhsa_user_sgpr_count 14
		.amdhsa_user_sgpr_dispatch_ptr 0
		.amdhsa_user_sgpr_queue_ptr 0
		.amdhsa_user_sgpr_kernarg_segment_ptr 1
		.amdhsa_user_sgpr_dispatch_id 0
		.amdhsa_user_sgpr_private_segment_size 0
		.amdhsa_wavefront_size32 1
		.amdhsa_uses_dynamic_stack 0
		.amdhsa_enable_private_segment 0
		.amdhsa_system_sgpr_workgroup_id_x 1
		.amdhsa_system_sgpr_workgroup_id_y 0
		.amdhsa_system_sgpr_workgroup_id_z 1
		.amdhsa_system_sgpr_workgroup_info 0
		.amdhsa_system_vgpr_workitem_id 0
		.amdhsa_next_free_vgpr 9
		.amdhsa_next_free_sgpr 22
		.amdhsa_reserve_vcc 1
		.amdhsa_float_round_mode_32 0
		.amdhsa_float_round_mode_16_64 0
		.amdhsa_float_denorm_mode_32 3
		.amdhsa_float_denorm_mode_16_64 3
		.amdhsa_dx10_clamp 1
		.amdhsa_ieee_mode 1
		.amdhsa_fp16_overflow 0
		.amdhsa_workgroup_processor_mode 1
		.amdhsa_memory_ordered 1
		.amdhsa_forward_progress 0
		.amdhsa_shared_vgpr_count 0
		.amdhsa_exception_fp_ieee_invalid_op 0
		.amdhsa_exception_fp_denorm_src 0
		.amdhsa_exception_fp_ieee_div_zero 0
		.amdhsa_exception_fp_ieee_overflow 0
		.amdhsa_exception_fp_ieee_underflow 0
		.amdhsa_exception_fp_ieee_inexact 0
		.amdhsa_exception_int_div_zero 0
	.end_amdhsa_kernel
	.section	.text._ZL24rocblas_dot_kernel_magsqIiLb0ELi512ELi4ELb1EfPK16rocblas_bfloat16fEviT5_lT_liPT6_PT4_,"axG",@progbits,_ZL24rocblas_dot_kernel_magsqIiLb0ELi512ELi4ELb1EfPK16rocblas_bfloat16fEviT5_lT_liPT6_PT4_,comdat
.Lfunc_end538:
	.size	_ZL24rocblas_dot_kernel_magsqIiLb0ELi512ELi4ELb1EfPK16rocblas_bfloat16fEviT5_lT_liPT6_PT4_, .Lfunc_end538-_ZL24rocblas_dot_kernel_magsqIiLb0ELi512ELi4ELb1EfPK16rocblas_bfloat16fEviT5_lT_liPT6_PT4_
                                        ; -- End function
	.section	.AMDGPU.csdata,"",@progbits
; Kernel info:
; codeLenInByte = 872
; NumSgprs: 24
; NumVgprs: 9
; ScratchSize: 0
; MemoryBound: 0
; FloatMode: 240
; IeeeMode: 1
; LDSByteSize: 128 bytes/workgroup (compile time only)
; SGPRBlocks: 2
; VGPRBlocks: 1
; NumSGPRsForWavesPerEU: 24
; NumVGPRsForWavesPerEU: 9
; Occupancy: 16
; WaveLimiterHint : 0
; COMPUTE_PGM_RSRC2:SCRATCH_EN: 0
; COMPUTE_PGM_RSRC2:USER_SGPR: 14
; COMPUTE_PGM_RSRC2:TRAP_HANDLER: 0
; COMPUTE_PGM_RSRC2:TGID_X_EN: 1
; COMPUTE_PGM_RSRC2:TGID_Y_EN: 0
; COMPUTE_PGM_RSRC2:TGID_Z_EN: 1
; COMPUTE_PGM_RSRC2:TIDIG_COMP_CNT: 0
	.section	.text._ZL30rocblas_reduction_kernel_part2ILi512ELi8E25rocblas_finalize_identityf16rocblas_bfloat16EviPT2_PT3_,"axG",@progbits,_ZL30rocblas_reduction_kernel_part2ILi512ELi8E25rocblas_finalize_identityf16rocblas_bfloat16EviPT2_PT3_,comdat
	.globl	_ZL30rocblas_reduction_kernel_part2ILi512ELi8E25rocblas_finalize_identityf16rocblas_bfloat16EviPT2_PT3_ ; -- Begin function _ZL30rocblas_reduction_kernel_part2ILi512ELi8E25rocblas_finalize_identityf16rocblas_bfloat16EviPT2_PT3_
	.p2align	8
	.type	_ZL30rocblas_reduction_kernel_part2ILi512ELi8E25rocblas_finalize_identityf16rocblas_bfloat16EviPT2_PT3_,@function
_ZL30rocblas_reduction_kernel_part2ILi512ELi8E25rocblas_finalize_identityf16rocblas_bfloat16EviPT2_PT3_: ; @_ZL30rocblas_reduction_kernel_part2ILi512ELi8E25rocblas_finalize_identityf16rocblas_bfloat16EviPT2_PT3_
; %bb.0:
	s_clause 0x1
	s_load_b32 s10, s[0:1], 0x0
	s_load_b128 s[4:7], s[0:1], 0x8
	v_dual_mov_b32 v3, 0 :: v_dual_lshlrev_b32 v4, 3, v0
	s_mov_b32 s2, s15
	s_mov_b32 s3, 0
	s_mov_b32 s11, exec_lo
	s_waitcnt lgkmcnt(0)
	s_ashr_i32 s0, s10, 31
	s_mul_hi_u32 s8, s10, s15
	s_lshr_b32 s1, s0, 29
	s_mul_i32 s0, s0, s15
	s_add_i32 s1, s10, s1
	s_add_i32 s9, s8, s0
	s_and_b32 s1, s1, -8
	s_mul_i32 s8, s10, s15
	v_cmpx_gt_i32_e64 s1, v4
	s_cbranch_execz .LBB539_4
; %bb.1:
	v_lshlrev_b32_e32 v1, 5, v0
	s_lshl_b64 s[12:13], s[8:9], 2
	v_mov_b32_e32 v3, 0
	s_add_u32 s0, s4, s12
	s_addc_u32 s12, s5, s13
	v_add_co_u32 v1, s0, s0, v1
	s_delay_alu instid0(VALU_DEP_1) | instskip(SKIP_1) | instid1(VALU_DEP_2)
	v_add_co_ci_u32_e64 v2, null, s12, 0, s0
	s_mov_b32 s12, s3
	v_add_co_u32 v1, vcc_lo, v1, 28
	s_delay_alu instid0(VALU_DEP_2)
	v_add_co_ci_u32_e32 v2, vcc_lo, 0, v2, vcc_lo
	.p2align	6
.LBB539_2:                              ; =>This Inner Loop Header: Depth=1
	s_clause 0x1
	global_load_b128 v[5:8], v[1:2], off offset:-28
	global_load_b128 v[9:12], v[1:2], off offset:-12
	v_add_co_u32 v1, vcc_lo, 0x4000, v1
	v_add_co_ci_u32_e32 v2, vcc_lo, 0, v2, vcc_lo
	v_add_nc_u32_e32 v4, 0x1000, v4
	s_delay_alu instid0(VALU_DEP_1) | instskip(NEXT) | instid1(VALU_DEP_1)
	v_cmp_le_i32_e64 s0, s1, v4
	s_or_b32 s12, s0, s12
	s_waitcnt vmcnt(1)
	v_add_f32_e32 v3, v3, v5
	s_delay_alu instid0(VALU_DEP_1) | instskip(NEXT) | instid1(VALU_DEP_1)
	v_add_f32_e32 v3, v3, v6
	v_add_f32_e32 v3, v3, v7
	s_delay_alu instid0(VALU_DEP_1) | instskip(SKIP_1) | instid1(VALU_DEP_1)
	v_add_f32_e32 v3, v3, v8
	s_waitcnt vmcnt(0)
	v_add_f32_e32 v3, v3, v9
	s_delay_alu instid0(VALU_DEP_1) | instskip(NEXT) | instid1(VALU_DEP_1)
	v_add_f32_e32 v3, v3, v10
	v_add_f32_e32 v3, v3, v11
	s_delay_alu instid0(VALU_DEP_1)
	v_add_f32_e32 v3, v3, v12
	s_and_not1_b32 exec_lo, exec_lo, s12
	s_cbranch_execnz .LBB539_2
; %bb.3:
	s_or_b32 exec_lo, exec_lo, s12
.LBB539_4:
	s_delay_alu instid0(SALU_CYCLE_1) | instskip(SKIP_1) | instid1(SALU_CYCLE_1)
	s_or_b32 exec_lo, exec_lo, s11
	s_sub_i32 s0, s10, s1
	v_cmp_gt_u32_e32 vcc_lo, s0, v0
	s_and_saveexec_b32 s0, vcc_lo
	s_cbranch_execz .LBB539_6
; %bb.5:
	v_xad_u32 v1, v0, -1, s10
	v_mov_b32_e32 v2, 0
	s_lshl_b64 s[8:9], s[8:9], 2
	s_delay_alu instid0(SALU_CYCLE_1) | instskip(SKIP_1) | instid1(VALU_DEP_1)
	s_add_u32 s1, s4, s8
	s_addc_u32 s4, s5, s9
	v_lshlrev_b64 v[1:2], 2, v[1:2]
	s_delay_alu instid0(VALU_DEP_1) | instskip(NEXT) | instid1(VALU_DEP_2)
	v_add_co_u32 v1, vcc_lo, s1, v1
	v_add_co_ci_u32_e32 v2, vcc_lo, s4, v2, vcc_lo
	global_load_b32 v1, v[1:2], off
	s_waitcnt vmcnt(0)
	v_add_f32_e32 v3, v3, v1
.LBB539_6:
	s_or_b32 exec_lo, exec_lo, s0
	v_and_b32_e32 v4, 31, v0
	v_cmp_gt_u32_e32 vcc_lo, 32, v0
	s_delay_alu instid0(VALU_DEP_2)
	v_lshlrev_b32_e32 v1, 2, v4
	s_and_saveexec_b32 s0, vcc_lo
	s_cbranch_execz .LBB539_8
; %bb.7:
	v_mov_b32_e32 v2, 0
	ds_store_b32 v1, v2
.LBB539_8:
	s_or_b32 exec_lo, exec_lo, s0
	v_mbcnt_lo_u32_b32 v6, -1, 0
	s_mov_b32 s1, exec_lo
	s_waitcnt lgkmcnt(0)
	s_barrier
	buffer_gl0_inv
	v_cmp_gt_u32_e64 s0, 16, v6
	s_delay_alu instid0(VALU_DEP_1) | instskip(SKIP_1) | instid1(VALU_DEP_2)
	v_cndmask_b32_e64 v2, 0, 1, s0
	v_cmp_gt_u32_e64 s0, 24, v6
	v_lshlrev_b32_e32 v2, 4, v2
	s_delay_alu instid0(VALU_DEP_1) | instskip(SKIP_4) | instid1(VALU_DEP_2)
	v_add_lshl_u32 v2, v2, v6, 2
	ds_bpermute_b32 v5, v2, v3
	v_cndmask_b32_e64 v2, 0, 1, s0
	v_cmp_gt_u32_e64 s0, 28, v6
	s_waitcnt lgkmcnt(0)
	v_dual_add_f32 v5, v3, v5 :: v_dual_lshlrev_b32 v2, 3, v2
	s_delay_alu instid0(VALU_DEP_2) | instskip(SKIP_1) | instid1(VALU_DEP_3)
	v_cndmask_b32_e64 v3, 0, 1, s0
	v_cmp_gt_u32_e64 s0, 30, v6
	v_add_lshl_u32 v2, v2, v6, 2
	s_delay_alu instid0(VALU_DEP_3)
	v_lshlrev_b32_e32 v3, 2, v3
	ds_bpermute_b32 v7, v2, v5
	v_add_lshl_u32 v3, v3, v6, 2
	s_waitcnt lgkmcnt(0)
	v_add_f32_e32 v7, v5, v7
	v_cndmask_b32_e64 v5, 0, 1, s0
	v_cmp_ne_u32_e64 s0, 31, v6
	ds_bpermute_b32 v8, v3, v7
	v_lshlrev_b32_e32 v5, 1, v5
	s_delay_alu instid0(VALU_DEP_1) | instskip(SKIP_2) | instid1(VALU_DEP_1)
	v_add_lshl_u32 v5, v5, v6, 2
	v_add_co_ci_u32_e64 v6, s0, 0, v6, s0
	s_waitcnt lgkmcnt(0)
	v_dual_add_f32 v7, v7, v8 :: v_dual_lshlrev_b32 v6, 2, v6
	ds_bpermute_b32 v8, v5, v7
	s_waitcnt lgkmcnt(0)
	v_add_f32_e32 v7, v7, v8
	ds_bpermute_b32 v8, v6, v7
	v_cmpx_eq_u32_e32 0, v4
	s_cbranch_execz .LBB539_10
; %bb.9:
	v_lshrrev_b32_e32 v4, 3, v0
	s_waitcnt lgkmcnt(0)
	v_add_f32_e32 v7, v7, v8
	s_delay_alu instid0(VALU_DEP_2)
	v_and_b32_e32 v4, 60, v4
	ds_store_b32 v4, v7
.LBB539_10:
	s_or_b32 exec_lo, exec_lo, s1
	v_mov_b32_e32 v4, 0
	s_mov_b32 s1, exec_lo
	s_waitcnt lgkmcnt(0)
	s_barrier
	buffer_gl0_inv
	v_cmpx_gt_u32_e32 16, v0
	s_cbranch_execz .LBB539_12
; %bb.11:
	ds_load_b32 v4, v1
.LBB539_12:
	s_or_b32 exec_lo, exec_lo, s1
	s_and_saveexec_b32 s0, vcc_lo
	s_cbranch_execz .LBB539_14
; %bb.13:
	s_waitcnt lgkmcnt(0)
	ds_bpermute_b32 v1, v2, v4
	s_waitcnt lgkmcnt(0)
	v_add_f32_e32 v1, v4, v1
	ds_bpermute_b32 v2, v3, v1
	s_waitcnt lgkmcnt(0)
	v_add_f32_e32 v1, v1, v2
	;; [unrolled: 3-line block ×4, first 2 shown]
.LBB539_14:
	s_or_b32 exec_lo, exec_lo, s0
	s_delay_alu instid0(SALU_CYCLE_1)
	s_mov_b32 s0, exec_lo
	v_cmpx_eq_u32_e32 0, v0
	s_cbranch_execz .LBB539_20
; %bb.15:
	s_waitcnt lgkmcnt(0)
	v_and_b32_e32 v0, 0x7f800000, v4
	s_delay_alu instid0(VALU_DEP_1) | instskip(SKIP_1) | instid1(SALU_CYCLE_1)
	v_cmp_ne_u32_e32 vcc_lo, 0x7f800000, v0
                                        ; implicit-def: $vgpr0
	s_and_saveexec_b32 s0, vcc_lo
	s_xor_b32 s0, exec_lo, s0
; %bb.16:
	v_bfe_u32 v0, v4, 16, 1
	s_delay_alu instid0(VALU_DEP_1)
	v_add3_u32 v0, v4, v0, 0x7fff
                                        ; implicit-def: $vgpr4
; %bb.17:
	s_and_not1_saveexec_b32 s0, s0
; %bb.18:
	v_and_b32_e32 v0, 0xffff, v4
	v_or_b32_e32 v1, 0x10000, v4
	s_delay_alu instid0(VALU_DEP_2) | instskip(NEXT) | instid1(VALU_DEP_2)
	v_cmp_eq_u32_e32 vcc_lo, 0, v0
	v_cndmask_b32_e32 v0, v1, v4, vcc_lo
; %bb.19:
	s_or_b32 exec_lo, exec_lo, s0
	s_lshl_b64 s[0:1], s[2:3], 1
	v_mov_b32_e32 v1, 0
	s_add_u32 s0, s6, s0
	s_addc_u32 s1, s7, s1
	global_store_d16_hi_b16 v1, v0, s[0:1]
.LBB539_20:
	s_nop 0
	s_sendmsg sendmsg(MSG_DEALLOC_VGPRS)
	s_endpgm
	.section	.rodata,"a",@progbits
	.p2align	6, 0x0
	.amdhsa_kernel _ZL30rocblas_reduction_kernel_part2ILi512ELi8E25rocblas_finalize_identityf16rocblas_bfloat16EviPT2_PT3_
		.amdhsa_group_segment_fixed_size 128
		.amdhsa_private_segment_fixed_size 0
		.amdhsa_kernarg_size 24
		.amdhsa_user_sgpr_count 15
		.amdhsa_user_sgpr_dispatch_ptr 0
		.amdhsa_user_sgpr_queue_ptr 0
		.amdhsa_user_sgpr_kernarg_segment_ptr 1
		.amdhsa_user_sgpr_dispatch_id 0
		.amdhsa_user_sgpr_private_segment_size 0
		.amdhsa_wavefront_size32 1
		.amdhsa_uses_dynamic_stack 0
		.amdhsa_enable_private_segment 0
		.amdhsa_system_sgpr_workgroup_id_x 1
		.amdhsa_system_sgpr_workgroup_id_y 0
		.amdhsa_system_sgpr_workgroup_id_z 0
		.amdhsa_system_sgpr_workgroup_info 0
		.amdhsa_system_vgpr_workitem_id 0
		.amdhsa_next_free_vgpr 13
		.amdhsa_next_free_sgpr 16
		.amdhsa_reserve_vcc 1
		.amdhsa_float_round_mode_32 0
		.amdhsa_float_round_mode_16_64 0
		.amdhsa_float_denorm_mode_32 3
		.amdhsa_float_denorm_mode_16_64 3
		.amdhsa_dx10_clamp 1
		.amdhsa_ieee_mode 1
		.amdhsa_fp16_overflow 0
		.amdhsa_workgroup_processor_mode 1
		.amdhsa_memory_ordered 1
		.amdhsa_forward_progress 0
		.amdhsa_shared_vgpr_count 0
		.amdhsa_exception_fp_ieee_invalid_op 0
		.amdhsa_exception_fp_denorm_src 0
		.amdhsa_exception_fp_ieee_div_zero 0
		.amdhsa_exception_fp_ieee_overflow 0
		.amdhsa_exception_fp_ieee_underflow 0
		.amdhsa_exception_fp_ieee_inexact 0
		.amdhsa_exception_int_div_zero 0
	.end_amdhsa_kernel
	.section	.text._ZL30rocblas_reduction_kernel_part2ILi512ELi8E25rocblas_finalize_identityf16rocblas_bfloat16EviPT2_PT3_,"axG",@progbits,_ZL30rocblas_reduction_kernel_part2ILi512ELi8E25rocblas_finalize_identityf16rocblas_bfloat16EviPT2_PT3_,comdat
.Lfunc_end539:
	.size	_ZL30rocblas_reduction_kernel_part2ILi512ELi8E25rocblas_finalize_identityf16rocblas_bfloat16EviPT2_PT3_, .Lfunc_end539-_ZL30rocblas_reduction_kernel_part2ILi512ELi8E25rocblas_finalize_identityf16rocblas_bfloat16EviPT2_PT3_
                                        ; -- End function
	.section	.AMDGPU.csdata,"",@progbits
; Kernel info:
; codeLenInByte = 972
; NumSgprs: 18
; NumVgprs: 13
; ScratchSize: 0
; MemoryBound: 0
; FloatMode: 240
; IeeeMode: 1
; LDSByteSize: 128 bytes/workgroup (compile time only)
; SGPRBlocks: 2
; VGPRBlocks: 1
; NumSGPRsForWavesPerEU: 18
; NumVGPRsForWavesPerEU: 13
; Occupancy: 16
; WaveLimiterHint : 0
; COMPUTE_PGM_RSRC2:SCRATCH_EN: 0
; COMPUTE_PGM_RSRC2:USER_SGPR: 15
; COMPUTE_PGM_RSRC2:TRAP_HANDLER: 0
; COMPUTE_PGM_RSRC2:TGID_X_EN: 1
; COMPUTE_PGM_RSRC2:TGID_Y_EN: 0
; COMPUTE_PGM_RSRC2:TGID_Z_EN: 0
; COMPUTE_PGM_RSRC2:TIDIG_COMP_CNT: 0
	.section	.text._ZL28rocblas_dot_batched_4_kernelIlLi32ELi4ELb1Ef16rocblas_bfloat16PKS0_EviT5_lT_lS3_lS4_liPT4_,"axG",@progbits,_ZL28rocblas_dot_batched_4_kernelIlLi32ELi4ELb1Ef16rocblas_bfloat16PKS0_EviT5_lT_lS3_lS4_liPT4_,comdat
	.globl	_ZL28rocblas_dot_batched_4_kernelIlLi32ELi4ELb1Ef16rocblas_bfloat16PKS0_EviT5_lT_lS3_lS4_liPT4_ ; -- Begin function _ZL28rocblas_dot_batched_4_kernelIlLi32ELi4ELb1Ef16rocblas_bfloat16PKS0_EviT5_lT_lS3_lS4_liPT4_
	.p2align	8
	.type	_ZL28rocblas_dot_batched_4_kernelIlLi32ELi4ELb1Ef16rocblas_bfloat16PKS0_EviT5_lT_lS3_lS4_liPT4_,@function
_ZL28rocblas_dot_batched_4_kernelIlLi32ELi4ELb1Ef16rocblas_bfloat16PKS0_EviT5_lT_lS3_lS4_liPT4_: ; @_ZL28rocblas_dot_batched_4_kernelIlLi32ELi4ELb1Ef16rocblas_bfloat16PKS0_EviT5_lT_lS3_lS4_liPT4_
; %bb.0:
	s_load_b32 s2, s[0:1], 0x48
	v_bfe_u32 v1, v0, 10, 10
	s_delay_alu instid0(VALU_DEP_1) | instskip(SKIP_1) | instid1(VALU_DEP_1)
	v_lshl_add_u32 v1, s15, 2, v1
	s_waitcnt lgkmcnt(0)
	v_cmp_gt_u32_e32 vcc_lo, s2, v1
	s_and_saveexec_b32 s2, vcc_lo
	s_cbranch_execz .LBB540_11
; %bb.1:
	s_clause 0x1
	s_load_b32 s16, s[0:1], 0x0
	s_load_b64 s[2:3], s[0:1], 0x50
	v_mov_b32_e32 v2, 0
	v_and_b32_e32 v0, 0x3ff, v0
	s_mov_b32 s17, exec_lo
	s_delay_alu instid0(VALU_DEP_2) | instskip(SKIP_1) | instid1(VALU_DEP_2)
	v_mov_b32_e32 v7, v2
	s_waitcnt lgkmcnt(0)
	v_cmpx_gt_i32_e64 s16, v0
	s_cbranch_execz .LBB540_5
; %bb.2:
	s_clause 0x3
	s_load_b128 s[12:15], s[0:1], 0x10
	s_load_b256 s[4:11], s[0:1], 0x20
	s_load_b64 s[18:19], s[0:1], 0x40
	s_load_b64 s[0:1], s[0:1], 0x8
	s_waitcnt lgkmcnt(0)
	v_mad_u64_u32 v[3:4], null, s14, v0, 0
	v_mad_u64_u32 v[5:6], null, s4, v1, 0
	;; [unrolled: 1-line block ×4, first 2 shown]
	s_lshl_b64 s[12:13], s[12:13], 1
	s_delay_alu instid0(VALU_DEP_3) | instskip(SKIP_4) | instid1(VALU_DEP_2)
	v_mad_u64_u32 v[12:13], null, s15, v0, v[4:5]
	v_mov_b32_e32 v7, 0
	s_add_u32 s12, s0, s12
	s_addc_u32 s13, s1, s13
	s_lshl_b64 s[0:1], s[8:9], 1
	v_mov_b32_e32 v4, v12
	v_mad_u64_u32 v[13:14], null, s5, v1, v[6:7]
	v_mad_u64_u32 v[14:15], null, s11, v0, v[9:10]
	;; [unrolled: 1-line block ×3, first 2 shown]
	s_delay_alu instid0(VALU_DEP_4) | instskip(SKIP_1) | instid1(VALU_DEP_4)
	v_lshlrev_b64 v[3:4], 1, v[3:4]
	s_lshl_b64 s[4:5], s[14:15], 6
	v_mov_b32_e32 v6, v13
	s_add_u32 s0, s6, s0
	s_delay_alu instid0(VALU_DEP_4) | instskip(SKIP_1) | instid1(VALU_DEP_4)
	v_mov_b32_e32 v9, v14
	s_addc_u32 s1, s7, s1
	v_mov_b32_e32 v11, v15
	v_lshlrev_b64 v[5:6], 1, v[5:6]
	s_lshl_b64 s[6:7], s[10:11], 6
	v_lshlrev_b64 v[8:9], 1, v[8:9]
	s_delay_alu instid0(VALU_DEP_3) | instskip(NEXT) | instid1(VALU_DEP_3)
	v_lshlrev_b64 v[10:11], 1, v[10:11]
	v_add_co_u32 v3, vcc_lo, v3, v5
	s_delay_alu instid0(VALU_DEP_4) | instskip(NEXT) | instid1(VALU_DEP_3)
	v_add_co_ci_u32_e32 v4, vcc_lo, v4, v6, vcc_lo
	v_add_co_u32 v5, vcc_lo, v8, v10
	v_mov_b32_e32 v8, v0
	v_add_co_ci_u32_e32 v6, vcc_lo, v9, v11, vcc_lo
	v_add_co_u32 v3, vcc_lo, s12, v3
	v_add_co_ci_u32_e32 v4, vcc_lo, s13, v4, vcc_lo
	v_add_co_u32 v5, vcc_lo, s0, v5
	s_delay_alu instid0(VALU_DEP_4)
	v_add_co_ci_u32_e32 v6, vcc_lo, s1, v6, vcc_lo
	s_mov_b32 s1, 0
	.p2align	6
.LBB540_3:                              ; =>This Inner Loop Header: Depth=1
	global_load_u16 v9, v[5:6], off
	global_load_u16 v10, v[3:4], off
	v_add_co_u32 v3, vcc_lo, v3, s4
	v_add_co_ci_u32_e32 v4, vcc_lo, s5, v4, vcc_lo
	v_add_co_u32 v5, vcc_lo, v5, s6
	v_add_co_ci_u32_e32 v6, vcc_lo, s7, v6, vcc_lo
	s_waitcnt vmcnt(1)
	v_lshlrev_b32_e32 v9, 16, v9
	s_waitcnt vmcnt(0)
	v_lshlrev_b32_e32 v10, 16, v10
	s_delay_alu instid0(VALU_DEP_1) | instskip(NEXT) | instid1(VALU_DEP_1)
	v_dual_fmac_f32 v7, v10, v9 :: v_dual_add_nc_u32 v8, 32, v8
	v_cmp_le_i32_e64 s0, s16, v8
	s_delay_alu instid0(VALU_DEP_1) | instskip(NEXT) | instid1(SALU_CYCLE_1)
	s_or_b32 s1, s0, s1
	s_and_not1_b32 exec_lo, exec_lo, s1
	s_cbranch_execnz .LBB540_3
; %bb.4:
	s_or_b32 exec_lo, exec_lo, s1
.LBB540_5:
	s_delay_alu instid0(SALU_CYCLE_1)
	s_or_b32 exec_lo, exec_lo, s17
	v_mbcnt_lo_u32_b32 v3, -1, 0
	s_barrier
	buffer_gl0_inv
	v_cmp_gt_u32_e32 vcc_lo, 16, v3
	v_cndmask_b32_e64 v4, 0, 1, vcc_lo
	v_cmp_gt_u32_e32 vcc_lo, 24, v3
	s_delay_alu instid0(VALU_DEP_2) | instskip(SKIP_2) | instid1(VALU_DEP_3)
	v_lshlrev_b32_e32 v4, 4, v4
	v_cndmask_b32_e64 v5, 0, 1, vcc_lo
	v_cmp_gt_u32_e32 vcc_lo, 28, v3
	v_add_lshl_u32 v4, v4, v3, 2
	v_cndmask_b32_e64 v6, 0, 1, vcc_lo
	v_cmp_gt_u32_e32 vcc_lo, 30, v3
	ds_bpermute_b32 v4, v4, v7
	v_lshlrev_b32_e32 v5, 3, v5
	v_lshlrev_b32_e32 v6, 2, v6
	s_delay_alu instid0(VALU_DEP_1)
	v_add_lshl_u32 v6, v6, v3, 2
	s_waitcnt lgkmcnt(0)
	v_add_f32_e32 v4, v7, v4
	v_add_lshl_u32 v5, v5, v3, 2
	ds_bpermute_b32 v5, v5, v4
	s_waitcnt lgkmcnt(0)
	v_add_f32_e32 v4, v4, v5
	ds_bpermute_b32 v5, v6, v4
	v_cndmask_b32_e64 v6, 0, 1, vcc_lo
	v_cmp_ne_u32_e32 vcc_lo, 31, v3
	s_delay_alu instid0(VALU_DEP_2) | instskip(NEXT) | instid1(VALU_DEP_1)
	v_lshlrev_b32_e32 v6, 1, v6
	v_add_lshl_u32 v6, v6, v3, 2
	s_waitcnt lgkmcnt(0)
	v_add_f32_e32 v4, v4, v5
	ds_bpermute_b32 v5, v6, v4
	v_add_co_ci_u32_e32 v6, vcc_lo, 0, v3, vcc_lo
	v_cmp_eq_u32_e32 vcc_lo, 0, v0
	s_waitcnt lgkmcnt(0)
	s_delay_alu instid0(VALU_DEP_2)
	v_dual_add_f32 v3, v4, v5 :: v_dual_lshlrev_b32 v4, 2, v6
	ds_bpermute_b32 v4, v4, v3
	s_and_b32 exec_lo, exec_lo, vcc_lo
	s_cbranch_execz .LBB540_11
; %bb.6:
	s_waitcnt lgkmcnt(0)
	v_add_f32_e32 v3, v3, v4
	s_delay_alu instid0(VALU_DEP_1) | instskip(NEXT) | instid1(VALU_DEP_1)
	v_and_b32_e32 v0, 0x7f800000, v3
	v_cmp_ne_u32_e32 vcc_lo, 0x7f800000, v0
                                        ; implicit-def: $vgpr0
	s_and_saveexec_b32 s0, vcc_lo
	s_delay_alu instid0(SALU_CYCLE_1)
	s_xor_b32 s0, exec_lo, s0
; %bb.7:
	v_bfe_u32 v0, v3, 16, 1
	s_delay_alu instid0(VALU_DEP_1)
	v_add3_u32 v0, v3, v0, 0x7fff
                                        ; implicit-def: $vgpr3
; %bb.8:
	s_and_not1_saveexec_b32 s0, s0
; %bb.9:
	v_and_b32_e32 v0, 0xffff, v3
	v_or_b32_e32 v4, 0x10000, v3
	s_delay_alu instid0(VALU_DEP_2) | instskip(NEXT) | instid1(VALU_DEP_2)
	v_cmp_eq_u32_e32 vcc_lo, 0, v0
	v_cndmask_b32_e32 v0, v4, v3, vcc_lo
; %bb.10:
	s_or_b32 exec_lo, exec_lo, s0
	v_lshlrev_b64 v[1:2], 1, v[1:2]
	s_delay_alu instid0(VALU_DEP_1) | instskip(NEXT) | instid1(VALU_DEP_2)
	v_add_co_u32 v1, vcc_lo, s2, v1
	v_add_co_ci_u32_e32 v2, vcc_lo, s3, v2, vcc_lo
	global_store_d16_hi_b16 v[1:2], v0, off
.LBB540_11:
	s_nop 0
	s_sendmsg sendmsg(MSG_DEALLOC_VGPRS)
	s_endpgm
	.section	.rodata,"a",@progbits
	.p2align	6, 0x0
	.amdhsa_kernel _ZL28rocblas_dot_batched_4_kernelIlLi32ELi4ELb1Ef16rocblas_bfloat16PKS0_EviT5_lT_lS3_lS4_liPT4_
		.amdhsa_group_segment_fixed_size 0
		.amdhsa_private_segment_fixed_size 0
		.amdhsa_kernarg_size 88
		.amdhsa_user_sgpr_count 15
		.amdhsa_user_sgpr_dispatch_ptr 0
		.amdhsa_user_sgpr_queue_ptr 0
		.amdhsa_user_sgpr_kernarg_segment_ptr 1
		.amdhsa_user_sgpr_dispatch_id 0
		.amdhsa_user_sgpr_private_segment_size 0
		.amdhsa_wavefront_size32 1
		.amdhsa_uses_dynamic_stack 0
		.amdhsa_enable_private_segment 0
		.amdhsa_system_sgpr_workgroup_id_x 1
		.amdhsa_system_sgpr_workgroup_id_y 0
		.amdhsa_system_sgpr_workgroup_id_z 0
		.amdhsa_system_sgpr_workgroup_info 0
		.amdhsa_system_vgpr_workitem_id 1
		.amdhsa_next_free_vgpr 17
		.amdhsa_next_free_sgpr 20
		.amdhsa_reserve_vcc 1
		.amdhsa_float_round_mode_32 0
		.amdhsa_float_round_mode_16_64 0
		.amdhsa_float_denorm_mode_32 3
		.amdhsa_float_denorm_mode_16_64 3
		.amdhsa_dx10_clamp 1
		.amdhsa_ieee_mode 1
		.amdhsa_fp16_overflow 0
		.amdhsa_workgroup_processor_mode 1
		.amdhsa_memory_ordered 1
		.amdhsa_forward_progress 0
		.amdhsa_shared_vgpr_count 0
		.amdhsa_exception_fp_ieee_invalid_op 0
		.amdhsa_exception_fp_denorm_src 0
		.amdhsa_exception_fp_ieee_div_zero 0
		.amdhsa_exception_fp_ieee_overflow 0
		.amdhsa_exception_fp_ieee_underflow 0
		.amdhsa_exception_fp_ieee_inexact 0
		.amdhsa_exception_int_div_zero 0
	.end_amdhsa_kernel
	.section	.text._ZL28rocblas_dot_batched_4_kernelIlLi32ELi4ELb1Ef16rocblas_bfloat16PKS0_EviT5_lT_lS3_lS4_liPT4_,"axG",@progbits,_ZL28rocblas_dot_batched_4_kernelIlLi32ELi4ELb1Ef16rocblas_bfloat16PKS0_EviT5_lT_lS3_lS4_liPT4_,comdat
.Lfunc_end540:
	.size	_ZL28rocblas_dot_batched_4_kernelIlLi32ELi4ELb1Ef16rocblas_bfloat16PKS0_EviT5_lT_lS3_lS4_liPT4_, .Lfunc_end540-_ZL28rocblas_dot_batched_4_kernelIlLi32ELi4ELb1Ef16rocblas_bfloat16PKS0_EviT5_lT_lS3_lS4_liPT4_
                                        ; -- End function
	.section	.AMDGPU.csdata,"",@progbits
; Kernel info:
; codeLenInByte = 848
; NumSgprs: 22
; NumVgprs: 17
; ScratchSize: 0
; MemoryBound: 0
; FloatMode: 240
; IeeeMode: 1
; LDSByteSize: 0 bytes/workgroup (compile time only)
; SGPRBlocks: 2
; VGPRBlocks: 2
; NumSGPRsForWavesPerEU: 22
; NumVGPRsForWavesPerEU: 17
; Occupancy: 16
; WaveLimiterHint : 0
; COMPUTE_PGM_RSRC2:SCRATCH_EN: 0
; COMPUTE_PGM_RSRC2:USER_SGPR: 15
; COMPUTE_PGM_RSRC2:TRAP_HANDLER: 0
; COMPUTE_PGM_RSRC2:TGID_X_EN: 1
; COMPUTE_PGM_RSRC2:TGID_Y_EN: 0
; COMPUTE_PGM_RSRC2:TGID_Z_EN: 0
; COMPUTE_PGM_RSRC2:TIDIG_COMP_CNT: 1
	.section	.text._ZL28rocblas_dot_batched_4_kernelIlLi64ELi4ELb1Ef16rocblas_bfloat16PKS0_EviT5_lT_lS3_lS4_liPT4_,"axG",@progbits,_ZL28rocblas_dot_batched_4_kernelIlLi64ELi4ELb1Ef16rocblas_bfloat16PKS0_EviT5_lT_lS3_lS4_liPT4_,comdat
	.globl	_ZL28rocblas_dot_batched_4_kernelIlLi64ELi4ELb1Ef16rocblas_bfloat16PKS0_EviT5_lT_lS3_lS4_liPT4_ ; -- Begin function _ZL28rocblas_dot_batched_4_kernelIlLi64ELi4ELb1Ef16rocblas_bfloat16PKS0_EviT5_lT_lS3_lS4_liPT4_
	.p2align	8
	.type	_ZL28rocblas_dot_batched_4_kernelIlLi64ELi4ELb1Ef16rocblas_bfloat16PKS0_EviT5_lT_lS3_lS4_liPT4_,@function
_ZL28rocblas_dot_batched_4_kernelIlLi64ELi4ELb1Ef16rocblas_bfloat16PKS0_EviT5_lT_lS3_lS4_liPT4_: ; @_ZL28rocblas_dot_batched_4_kernelIlLi64ELi4ELb1Ef16rocblas_bfloat16PKS0_EviT5_lT_lS3_lS4_liPT4_
; %bb.0:
	s_load_b32 s2, s[0:1], 0x48
	v_bfe_u32 v1, v0, 10, 10
	s_delay_alu instid0(VALU_DEP_1) | instskip(SKIP_1) | instid1(VALU_DEP_1)
	v_lshl_add_u32 v1, s15, 2, v1
	s_waitcnt lgkmcnt(0)
	v_cmp_gt_u32_e32 vcc_lo, s2, v1
	s_and_saveexec_b32 s2, vcc_lo
	s_cbranch_execz .LBB541_11
; %bb.1:
	s_clause 0x1
	s_load_b32 s16, s[0:1], 0x0
	s_load_b64 s[2:3], s[0:1], 0x50
	v_mov_b32_e32 v2, 0
	v_and_b32_e32 v0, 0x3ff, v0
	s_mov_b32 s17, exec_lo
	s_delay_alu instid0(VALU_DEP_2) | instskip(SKIP_1) | instid1(VALU_DEP_2)
	v_mov_b32_e32 v7, v2
	s_waitcnt lgkmcnt(0)
	v_cmpx_gt_i32_e64 s16, v0
	s_cbranch_execz .LBB541_5
; %bb.2:
	s_clause 0x3
	s_load_b128 s[12:15], s[0:1], 0x10
	s_load_b256 s[4:11], s[0:1], 0x20
	s_load_b64 s[18:19], s[0:1], 0x40
	s_load_b64 s[0:1], s[0:1], 0x8
	s_waitcnt lgkmcnt(0)
	v_mad_u64_u32 v[3:4], null, s14, v0, 0
	v_mad_u64_u32 v[5:6], null, s4, v1, 0
	;; [unrolled: 1-line block ×4, first 2 shown]
	s_lshl_b64 s[12:13], s[12:13], 1
	s_delay_alu instid0(VALU_DEP_3) | instskip(SKIP_4) | instid1(VALU_DEP_2)
	v_mad_u64_u32 v[12:13], null, s15, v0, v[4:5]
	v_mov_b32_e32 v7, 0
	s_add_u32 s12, s0, s12
	s_addc_u32 s13, s1, s13
	s_lshl_b64 s[0:1], s[8:9], 1
	v_mov_b32_e32 v4, v12
	v_mad_u64_u32 v[13:14], null, s5, v1, v[6:7]
	v_mad_u64_u32 v[14:15], null, s11, v0, v[9:10]
	;; [unrolled: 1-line block ×3, first 2 shown]
	s_delay_alu instid0(VALU_DEP_4) | instskip(SKIP_1) | instid1(VALU_DEP_4)
	v_lshlrev_b64 v[3:4], 1, v[3:4]
	s_lshl_b64 s[4:5], s[14:15], 7
	v_mov_b32_e32 v6, v13
	s_add_u32 s0, s6, s0
	s_delay_alu instid0(VALU_DEP_4) | instskip(SKIP_1) | instid1(VALU_DEP_4)
	v_mov_b32_e32 v9, v14
	s_addc_u32 s1, s7, s1
	v_mov_b32_e32 v11, v15
	v_lshlrev_b64 v[5:6], 1, v[5:6]
	s_lshl_b64 s[6:7], s[10:11], 7
	v_lshlrev_b64 v[8:9], 1, v[8:9]
	s_delay_alu instid0(VALU_DEP_3) | instskip(NEXT) | instid1(VALU_DEP_3)
	v_lshlrev_b64 v[10:11], 1, v[10:11]
	v_add_co_u32 v3, vcc_lo, v3, v5
	s_delay_alu instid0(VALU_DEP_4) | instskip(NEXT) | instid1(VALU_DEP_3)
	v_add_co_ci_u32_e32 v4, vcc_lo, v4, v6, vcc_lo
	v_add_co_u32 v5, vcc_lo, v8, v10
	v_mov_b32_e32 v8, v0
	v_add_co_ci_u32_e32 v6, vcc_lo, v9, v11, vcc_lo
	v_add_co_u32 v3, vcc_lo, s12, v3
	v_add_co_ci_u32_e32 v4, vcc_lo, s13, v4, vcc_lo
	v_add_co_u32 v5, vcc_lo, s0, v5
	s_delay_alu instid0(VALU_DEP_4)
	v_add_co_ci_u32_e32 v6, vcc_lo, s1, v6, vcc_lo
	s_mov_b32 s1, 0
	.p2align	6
.LBB541_3:                              ; =>This Inner Loop Header: Depth=1
	global_load_u16 v9, v[5:6], off
	global_load_u16 v10, v[3:4], off
	v_add_co_u32 v3, vcc_lo, v3, s4
	v_add_co_ci_u32_e32 v4, vcc_lo, s5, v4, vcc_lo
	v_add_co_u32 v5, vcc_lo, v5, s6
	v_add_co_ci_u32_e32 v6, vcc_lo, s7, v6, vcc_lo
	s_waitcnt vmcnt(1)
	v_lshlrev_b32_e32 v9, 16, v9
	s_waitcnt vmcnt(0)
	v_lshlrev_b32_e32 v10, 16, v10
	s_delay_alu instid0(VALU_DEP_1) | instskip(NEXT) | instid1(VALU_DEP_1)
	v_dual_fmac_f32 v7, v10, v9 :: v_dual_add_nc_u32 v8, 64, v8
	v_cmp_le_i32_e64 s0, s16, v8
	s_delay_alu instid0(VALU_DEP_1) | instskip(NEXT) | instid1(SALU_CYCLE_1)
	s_or_b32 s1, s0, s1
	s_and_not1_b32 exec_lo, exec_lo, s1
	s_cbranch_execnz .LBB541_3
; %bb.4:
	s_or_b32 exec_lo, exec_lo, s1
.LBB541_5:
	s_delay_alu instid0(SALU_CYCLE_1)
	s_or_b32 exec_lo, exec_lo, s17
	v_mbcnt_lo_u32_b32 v3, -1, 0
	s_barrier
	buffer_gl0_inv
	v_lshlrev_b32_e32 v4, 2, v3
	v_cmp_gt_u32_e32 vcc_lo, 16, v3
	ds_bpermute_b32 v4, v4, v7
	v_cndmask_b32_e64 v5, 0, 1, vcc_lo
	v_cmp_gt_u32_e32 vcc_lo, 24, v3
	s_delay_alu instid0(VALU_DEP_2) | instskip(SKIP_2) | instid1(VALU_DEP_2)
	v_lshlrev_b32_e32 v5, 4, v5
	v_cndmask_b32_e64 v6, 0, 1, vcc_lo
	v_cmp_gt_u32_e32 vcc_lo, 28, v3
	v_lshlrev_b32_e32 v6, 3, v6
	s_delay_alu instid0(VALU_DEP_1)
	v_add_lshl_u32 v6, v6, v3, 2
	s_waitcnt lgkmcnt(0)
	v_add_f32_e32 v4, v7, v4
	v_add_lshl_u32 v5, v5, v3, 2
	ds_bpermute_b32 v5, v5, v4
	s_waitcnt lgkmcnt(0)
	v_add_f32_e32 v4, v4, v5
	ds_bpermute_b32 v5, v6, v4
	v_cndmask_b32_e64 v6, 0, 1, vcc_lo
	v_cmp_gt_u32_e32 vcc_lo, 30, v3
	s_delay_alu instid0(VALU_DEP_2) | instskip(NEXT) | instid1(VALU_DEP_1)
	v_lshlrev_b32_e32 v6, 2, v6
	v_add_lshl_u32 v6, v6, v3, 2
	s_waitcnt lgkmcnt(0)
	v_add_f32_e32 v4, v4, v5
	ds_bpermute_b32 v5, v6, v4
	v_cndmask_b32_e64 v6, 0, 1, vcc_lo
	v_cmp_ne_u32_e32 vcc_lo, 31, v3
	s_delay_alu instid0(VALU_DEP_2) | instskip(NEXT) | instid1(VALU_DEP_1)
	v_lshlrev_b32_e32 v6, 1, v6
	v_add_lshl_u32 v6, v6, v3, 2
	s_waitcnt lgkmcnt(0)
	v_add_f32_e32 v4, v4, v5
	ds_bpermute_b32 v5, v6, v4
	v_add_co_ci_u32_e32 v6, vcc_lo, 0, v3, vcc_lo
	v_cmp_eq_u32_e32 vcc_lo, 0, v0
	s_waitcnt lgkmcnt(0)
	s_delay_alu instid0(VALU_DEP_2)
	v_dual_add_f32 v3, v4, v5 :: v_dual_lshlrev_b32 v4, 2, v6
	ds_bpermute_b32 v4, v4, v3
	s_and_b32 exec_lo, exec_lo, vcc_lo
	s_cbranch_execz .LBB541_11
; %bb.6:
	s_waitcnt lgkmcnt(0)
	v_add_f32_e32 v3, v3, v4
	s_delay_alu instid0(VALU_DEP_1) | instskip(NEXT) | instid1(VALU_DEP_1)
	v_and_b32_e32 v0, 0x7f800000, v3
	v_cmp_ne_u32_e32 vcc_lo, 0x7f800000, v0
                                        ; implicit-def: $vgpr0
	s_and_saveexec_b32 s0, vcc_lo
	s_delay_alu instid0(SALU_CYCLE_1)
	s_xor_b32 s0, exec_lo, s0
; %bb.7:
	v_bfe_u32 v0, v3, 16, 1
	s_delay_alu instid0(VALU_DEP_1)
	v_add3_u32 v0, v3, v0, 0x7fff
                                        ; implicit-def: $vgpr3
; %bb.8:
	s_and_not1_saveexec_b32 s0, s0
; %bb.9:
	v_and_b32_e32 v0, 0xffff, v3
	v_or_b32_e32 v4, 0x10000, v3
	s_delay_alu instid0(VALU_DEP_2) | instskip(NEXT) | instid1(VALU_DEP_2)
	v_cmp_eq_u32_e32 vcc_lo, 0, v0
	v_cndmask_b32_e32 v0, v4, v3, vcc_lo
; %bb.10:
	s_or_b32 exec_lo, exec_lo, s0
	v_lshlrev_b64 v[1:2], 1, v[1:2]
	s_delay_alu instid0(VALU_DEP_1) | instskip(NEXT) | instid1(VALU_DEP_2)
	v_add_co_u32 v1, vcc_lo, s2, v1
	v_add_co_ci_u32_e32 v2, vcc_lo, s3, v2, vcc_lo
	global_store_d16_hi_b16 v[1:2], v0, off
.LBB541_11:
	s_nop 0
	s_sendmsg sendmsg(MSG_DEALLOC_VGPRS)
	s_endpgm
	.section	.rodata,"a",@progbits
	.p2align	6, 0x0
	.amdhsa_kernel _ZL28rocblas_dot_batched_4_kernelIlLi64ELi4ELb1Ef16rocblas_bfloat16PKS0_EviT5_lT_lS3_lS4_liPT4_
		.amdhsa_group_segment_fixed_size 0
		.amdhsa_private_segment_fixed_size 0
		.amdhsa_kernarg_size 88
		.amdhsa_user_sgpr_count 15
		.amdhsa_user_sgpr_dispatch_ptr 0
		.amdhsa_user_sgpr_queue_ptr 0
		.amdhsa_user_sgpr_kernarg_segment_ptr 1
		.amdhsa_user_sgpr_dispatch_id 0
		.amdhsa_user_sgpr_private_segment_size 0
		.amdhsa_wavefront_size32 1
		.amdhsa_uses_dynamic_stack 0
		.amdhsa_enable_private_segment 0
		.amdhsa_system_sgpr_workgroup_id_x 1
		.amdhsa_system_sgpr_workgroup_id_y 0
		.amdhsa_system_sgpr_workgroup_id_z 0
		.amdhsa_system_sgpr_workgroup_info 0
		.amdhsa_system_vgpr_workitem_id 1
		.amdhsa_next_free_vgpr 17
		.amdhsa_next_free_sgpr 20
		.amdhsa_reserve_vcc 1
		.amdhsa_float_round_mode_32 0
		.amdhsa_float_round_mode_16_64 0
		.amdhsa_float_denorm_mode_32 3
		.amdhsa_float_denorm_mode_16_64 3
		.amdhsa_dx10_clamp 1
		.amdhsa_ieee_mode 1
		.amdhsa_fp16_overflow 0
		.amdhsa_workgroup_processor_mode 1
		.amdhsa_memory_ordered 1
		.amdhsa_forward_progress 0
		.amdhsa_shared_vgpr_count 0
		.amdhsa_exception_fp_ieee_invalid_op 0
		.amdhsa_exception_fp_denorm_src 0
		.amdhsa_exception_fp_ieee_div_zero 0
		.amdhsa_exception_fp_ieee_overflow 0
		.amdhsa_exception_fp_ieee_underflow 0
		.amdhsa_exception_fp_ieee_inexact 0
		.amdhsa_exception_int_div_zero 0
	.end_amdhsa_kernel
	.section	.text._ZL28rocblas_dot_batched_4_kernelIlLi64ELi4ELb1Ef16rocblas_bfloat16PKS0_EviT5_lT_lS3_lS4_liPT4_,"axG",@progbits,_ZL28rocblas_dot_batched_4_kernelIlLi64ELi4ELb1Ef16rocblas_bfloat16PKS0_EviT5_lT_lS3_lS4_liPT4_,comdat
.Lfunc_end541:
	.size	_ZL28rocblas_dot_batched_4_kernelIlLi64ELi4ELb1Ef16rocblas_bfloat16PKS0_EviT5_lT_lS3_lS4_liPT4_, .Lfunc_end541-_ZL28rocblas_dot_batched_4_kernelIlLi64ELi4ELb1Ef16rocblas_bfloat16PKS0_EviT5_lT_lS3_lS4_liPT4_
                                        ; -- End function
	.section	.AMDGPU.csdata,"",@progbits
; Kernel info:
; codeLenInByte = 872
; NumSgprs: 22
; NumVgprs: 17
; ScratchSize: 0
; MemoryBound: 0
; FloatMode: 240
; IeeeMode: 1
; LDSByteSize: 0 bytes/workgroup (compile time only)
; SGPRBlocks: 2
; VGPRBlocks: 2
; NumSGPRsForWavesPerEU: 22
; NumVGPRsForWavesPerEU: 17
; Occupancy: 16
; WaveLimiterHint : 0
; COMPUTE_PGM_RSRC2:SCRATCH_EN: 0
; COMPUTE_PGM_RSRC2:USER_SGPR: 15
; COMPUTE_PGM_RSRC2:TRAP_HANDLER: 0
; COMPUTE_PGM_RSRC2:TGID_X_EN: 1
; COMPUTE_PGM_RSRC2:TGID_Y_EN: 0
; COMPUTE_PGM_RSRC2:TGID_Z_EN: 0
; COMPUTE_PGM_RSRC2:TIDIG_COMP_CNT: 1
	.section	.text._ZL18rocblas_dot_kernelIlLb1ELi1024ELi32ELb1E16rocblas_bfloat16PKS0_fEviT5_lT_lS3_lS4_liPT6_PT4_,"axG",@progbits,_ZL18rocblas_dot_kernelIlLb1ELi1024ELi32ELb1E16rocblas_bfloat16PKS0_fEviT5_lT_lS3_lS4_liPT6_PT4_,comdat
	.globl	_ZL18rocblas_dot_kernelIlLb1ELi1024ELi32ELb1E16rocblas_bfloat16PKS0_fEviT5_lT_lS3_lS4_liPT6_PT4_ ; -- Begin function _ZL18rocblas_dot_kernelIlLb1ELi1024ELi32ELb1E16rocblas_bfloat16PKS0_fEviT5_lT_lS3_lS4_liPT6_PT4_
	.p2align	8
	.type	_ZL18rocblas_dot_kernelIlLb1ELi1024ELi32ELb1E16rocblas_bfloat16PKS0_fEviT5_lT_lS3_lS4_liPT6_PT4_,@function
_ZL18rocblas_dot_kernelIlLb1ELi1024ELi32ELb1E16rocblas_bfloat16PKS0_fEviT5_lT_lS3_lS4_liPT6_PT4_: ; @_ZL18rocblas_dot_kernelIlLb1ELi1024ELi32ELb1E16rocblas_bfloat16PKS0_fEviT5_lT_lS3_lS4_liPT6_PT4_
; %bb.0:
	s_clause 0x1
	s_load_b32 s18, s[0:1], 0x0
	s_load_b64 s[2:3], s[0:1], 0x58
	v_mov_b32_e32 v6, 0
	s_mov_b32 s16, s15
	s_mov_b32 s17, 0
	s_mov_b32 s19, exec_lo
	s_waitcnt lgkmcnt(0)
	v_cmpx_gt_i32_e64 s18, v0
	s_cbranch_execz .LBB542_4
; %bb.1:
	s_clause 0x4
	s_load_b32 s24, s[0:1], 0x60
	s_load_b256 s[4:11], s[0:1], 0x20
	s_load_b128 s[12:15], s[0:1], 0x10
	s_load_b64 s[20:21], s[0:1], 0x40
	s_load_b64 s[22:23], s[0:1], 0x8
	s_waitcnt lgkmcnt(0)
	s_lshl_b32 s1, s24, 10
	v_mad_u64_u32 v[3:4], null, s10, v0, 0
	v_mad_u64_u32 v[1:2], null, s14, v0, 0
	v_or_b32_e32 v5, s1, v0
	s_mul_i32 s0, s5, s16
	s_mul_hi_u32 s5, s4, s16
	s_mul_i32 s4, s4, s16
	s_add_i32 s5, s5, s0
	s_lshl_b64 s[12:13], s[12:13], 1
	s_delay_alu instid0(VALU_DEP_2)
	v_mad_u64_u32 v[6:7], null, s15, v0, v[2:3]
	v_mad_u64_u32 v[7:8], null, s11, v0, v[4:5]
	s_lshl_b64 s[4:5], s[4:5], 1
	s_add_u32 s12, s22, s12
	s_addc_u32 s13, s23, s13
	s_add_u32 s22, s12, s4
	s_delay_alu instid0(VALU_DEP_2)
	v_mov_b32_e32 v2, v6
	s_addc_u32 s23, s13, s5
	s_ashr_i32 s4, s1, 31
	s_mul_hi_u32 s0, s14, s1
	s_mul_i32 s5, s14, s4
	v_mov_b32_e32 v4, v7
	s_mul_i32 s21, s21, s16
	s_mul_hi_u32 s25, s20, s16
	s_mul_i32 s26, s15, s1
	s_add_i32 s0, s0, s5
	v_lshlrev_b64 v[1:2], 1, v[1:2]
	s_mul_i32 s20, s20, s16
	s_mul_i32 s24, s14, s1
	s_add_i32 s21, s25, s21
	s_add_i32 s25, s0, s26
	s_lshl_b64 s[8:9], s[8:9], 1
	v_lshlrev_b64 v[3:4], 1, v[3:4]
	s_lshl_b64 s[12:13], s[20:21], 1
	s_mul_i32 s0, s10, s4
	s_lshl_b64 s[4:5], s[24:25], 1
	s_add_u32 s6, s6, s8
	s_addc_u32 s7, s7, s9
	v_add_co_u32 v1, vcc_lo, s22, v1
	s_add_u32 s6, s6, s12
	v_add_co_ci_u32_e32 v2, vcc_lo, s23, v2, vcc_lo
	s_mul_hi_u32 s8, s10, s1
	s_addc_u32 s7, s7, s13
	v_add_co_u32 v3, vcc_lo, s6, v3
	s_add_i32 s0, s8, s0
	s_mul_i32 s8, s11, s1
	v_add_co_ci_u32_e32 v4, vcc_lo, s7, v4, vcc_lo
	v_mov_b32_e32 v6, 0
	s_add_i32 s7, s0, s8
	s_mul_i32 s6, s10, s1
	s_mov_b32 s8, s17
	s_lshl_b64 s[6:7], s[6:7], 1
	s_mov_b32 s9, s17
	.p2align	6
.LBB542_2:                              ; =>This Inner Loop Header: Depth=1
	global_load_u16 v7, v[1:2], off
	global_load_u16 v8, v[3:4], off
	v_add_co_u32 v1, s0, v1, s4
	s_delay_alu instid0(VALU_DEP_1)
	v_add_co_ci_u32_e64 v2, s0, s5, v2, s0
	s_add_i32 s10, s9, 1
	v_cmp_le_i32_e32 vcc_lo, s18, v5
	v_add_co_u32 v3, s0, v3, s6
	s_cmp_gt_u32 s9, 30
	v_add_co_ci_u32_e64 v4, s0, s7, v4, s0
	s_cselect_b32 s0, -1, 0
	s_mov_b32 s9, s10
	s_or_b32 s0, s0, vcc_lo
	s_delay_alu instid0(SALU_CYCLE_1) | instskip(NEXT) | instid1(SALU_CYCLE_1)
	s_and_b32 s0, exec_lo, s0
	s_or_b32 s8, s0, s8
	s_waitcnt vmcnt(1)
	v_lshlrev_b32_e32 v7, 16, v7
	s_waitcnt vmcnt(0)
	v_lshlrev_b32_e32 v8, 16, v8
	s_delay_alu instid0(VALU_DEP_1)
	v_dual_fmac_f32 v6, v8, v7 :: v_dual_add_nc_u32 v5, s1, v5
	s_and_not1_b32 exec_lo, exec_lo, s8
	s_cbranch_execnz .LBB542_2
; %bb.3:
	s_or_b32 exec_lo, exec_lo, s8
.LBB542_4:
	s_delay_alu instid0(SALU_CYCLE_1) | instskip(SKIP_2) | instid1(VALU_DEP_2)
	s_or_b32 exec_lo, exec_lo, s19
	v_and_b32_e32 v5, 31, v0
	v_cmp_gt_u32_e32 vcc_lo, 32, v0
	v_lshlrev_b32_e32 v1, 2, v5
	s_and_saveexec_b32 s0, vcc_lo
	s_cbranch_execz .LBB542_6
; %bb.5:
	v_mov_b32_e32 v2, 0
	ds_store_b32 v1, v2
.LBB542_6:
	s_or_b32 exec_lo, exec_lo, s0
	v_mbcnt_lo_u32_b32 v7, -1, 0
	s_mov_b32 s1, exec_lo
	s_waitcnt lgkmcnt(0)
	s_barrier
	buffer_gl0_inv
	v_cmp_gt_u32_e64 s0, 16, v7
	s_delay_alu instid0(VALU_DEP_1) | instskip(SKIP_1) | instid1(VALU_DEP_2)
	v_cndmask_b32_e64 v2, 0, 1, s0
	v_cmp_gt_u32_e64 s0, 24, v7
	v_lshlrev_b32_e32 v2, 4, v2
	s_delay_alu instid0(VALU_DEP_2) | instskip(SKIP_1) | instid1(VALU_DEP_3)
	v_cndmask_b32_e64 v3, 0, 1, s0
	v_cmp_gt_u32_e64 s0, 28, v7
	v_add_lshl_u32 v2, v2, v7, 2
	ds_bpermute_b32 v4, v2, v6
	s_waitcnt lgkmcnt(0)
	v_dual_add_f32 v6, v6, v4 :: v_dual_lshlrev_b32 v3, 3, v3
	s_delay_alu instid0(VALU_DEP_1) | instskip(SKIP_4) | instid1(VALU_DEP_1)
	v_add_lshl_u32 v3, v3, v7, 2
	v_cndmask_b32_e64 v4, 0, 1, s0
	v_cmp_gt_u32_e64 s0, 30, v7
	ds_bpermute_b32 v8, v3, v6
	v_lshlrev_b32_e32 v4, 2, v4
	v_add_lshl_u32 v4, v4, v7, 2
	s_waitcnt lgkmcnt(0)
	v_add_f32_e32 v8, v6, v8
	v_cndmask_b32_e64 v6, 0, 1, s0
	v_cmp_ne_u32_e64 s0, 31, v7
	s_delay_alu instid0(VALU_DEP_2) | instskip(NEXT) | instid1(VALU_DEP_1)
	v_lshlrev_b32_e32 v6, 1, v6
	v_add_lshl_u32 v6, v6, v7, 2
	s_delay_alu instid0(VALU_DEP_3) | instskip(NEXT) | instid1(VALU_DEP_1)
	v_add_co_ci_u32_e64 v7, s0, 0, v7, s0
	v_lshlrev_b32_e32 v7, 2, v7
	ds_bpermute_b32 v9, v4, v8
	s_waitcnt lgkmcnt(0)
	v_add_f32_e32 v8, v8, v9
	ds_bpermute_b32 v9, v6, v8
	s_waitcnt lgkmcnt(0)
	v_add_f32_e32 v8, v8, v9
	ds_bpermute_b32 v9, v7, v8
	v_cmpx_eq_u32_e32 0, v5
	s_cbranch_execz .LBB542_8
; %bb.7:
	v_lshrrev_b32_e32 v5, 3, v0
	s_waitcnt lgkmcnt(0)
	v_add_f32_e32 v8, v8, v9
	s_delay_alu instid0(VALU_DEP_2)
	v_and_b32_e32 v5, 0x7c, v5
	ds_store_b32 v5, v8
.LBB542_8:
	s_or_b32 exec_lo, exec_lo, s1
	v_mov_b32_e32 v5, 0
	s_waitcnt lgkmcnt(0)
	s_barrier
	buffer_gl0_inv
	s_and_saveexec_b32 s0, vcc_lo
	s_cbranch_execz .LBB542_10
; %bb.9:
	ds_load_b32 v5, v1
.LBB542_10:
	s_or_b32 exec_lo, exec_lo, s0
	s_and_saveexec_b32 s0, vcc_lo
	s_cbranch_execz .LBB542_12
; %bb.11:
	s_waitcnt lgkmcnt(0)
	ds_bpermute_b32 v1, v2, v5
	s_waitcnt lgkmcnt(0)
	v_add_f32_e32 v1, v5, v1
	ds_bpermute_b32 v2, v3, v1
	s_waitcnt lgkmcnt(0)
	v_add_f32_e32 v1, v1, v2
	;; [unrolled: 3-line block ×5, first 2 shown]
.LBB542_12:
	s_or_b32 exec_lo, exec_lo, s0
	s_delay_alu instid0(SALU_CYCLE_1)
	s_mov_b32 s0, exec_lo
	v_cmpx_eq_u32_e32 0, v0
	s_cbranch_execz .LBB542_18
; %bb.13:
	s_waitcnt lgkmcnt(0)
	v_and_b32_e32 v0, 0x7f800000, v5
	s_delay_alu instid0(VALU_DEP_1) | instskip(SKIP_1) | instid1(SALU_CYCLE_1)
	v_cmp_ne_u32_e32 vcc_lo, 0x7f800000, v0
                                        ; implicit-def: $vgpr0
	s_and_saveexec_b32 s0, vcc_lo
	s_xor_b32 s0, exec_lo, s0
; %bb.14:
	v_bfe_u32 v0, v5, 16, 1
	s_delay_alu instid0(VALU_DEP_1)
	v_add3_u32 v0, v5, v0, 0x7fff
                                        ; implicit-def: $vgpr5
; %bb.15:
	s_and_not1_saveexec_b32 s0, s0
; %bb.16:
	v_and_b32_e32 v0, 0xffff, v5
	v_or_b32_e32 v1, 0x10000, v5
	s_delay_alu instid0(VALU_DEP_2) | instskip(NEXT) | instid1(VALU_DEP_2)
	v_cmp_eq_u32_e32 vcc_lo, 0, v0
	v_cndmask_b32_e32 v0, v1, v5, vcc_lo
; %bb.17:
	s_or_b32 exec_lo, exec_lo, s0
	s_lshl_b64 s[0:1], s[16:17], 1
	v_mov_b32_e32 v1, 0
	s_add_u32 s0, s2, s0
	s_addc_u32 s1, s3, s1
	global_store_d16_hi_b16 v1, v0, s[0:1]
.LBB542_18:
	s_nop 0
	s_sendmsg sendmsg(MSG_DEALLOC_VGPRS)
	s_endpgm
	.section	.rodata,"a",@progbits
	.p2align	6, 0x0
	.amdhsa_kernel _ZL18rocblas_dot_kernelIlLb1ELi1024ELi32ELb1E16rocblas_bfloat16PKS0_fEviT5_lT_lS3_lS4_liPT6_PT4_
		.amdhsa_group_segment_fixed_size 128
		.amdhsa_private_segment_fixed_size 0
		.amdhsa_kernarg_size 352
		.amdhsa_user_sgpr_count 14
		.amdhsa_user_sgpr_dispatch_ptr 0
		.amdhsa_user_sgpr_queue_ptr 0
		.amdhsa_user_sgpr_kernarg_segment_ptr 1
		.amdhsa_user_sgpr_dispatch_id 0
		.amdhsa_user_sgpr_private_segment_size 0
		.amdhsa_wavefront_size32 1
		.amdhsa_uses_dynamic_stack 0
		.amdhsa_enable_private_segment 0
		.amdhsa_system_sgpr_workgroup_id_x 1
		.amdhsa_system_sgpr_workgroup_id_y 0
		.amdhsa_system_sgpr_workgroup_id_z 1
		.amdhsa_system_sgpr_workgroup_info 0
		.amdhsa_system_vgpr_workitem_id 0
		.amdhsa_next_free_vgpr 10
		.amdhsa_next_free_sgpr 27
		.amdhsa_reserve_vcc 1
		.amdhsa_float_round_mode_32 0
		.amdhsa_float_round_mode_16_64 0
		.amdhsa_float_denorm_mode_32 3
		.amdhsa_float_denorm_mode_16_64 3
		.amdhsa_dx10_clamp 1
		.amdhsa_ieee_mode 1
		.amdhsa_fp16_overflow 0
		.amdhsa_workgroup_processor_mode 1
		.amdhsa_memory_ordered 1
		.amdhsa_forward_progress 0
		.amdhsa_shared_vgpr_count 0
		.amdhsa_exception_fp_ieee_invalid_op 0
		.amdhsa_exception_fp_denorm_src 0
		.amdhsa_exception_fp_ieee_div_zero 0
		.amdhsa_exception_fp_ieee_overflow 0
		.amdhsa_exception_fp_ieee_underflow 0
		.amdhsa_exception_fp_ieee_inexact 0
		.amdhsa_exception_int_div_zero 0
	.end_amdhsa_kernel
	.section	.text._ZL18rocblas_dot_kernelIlLb1ELi1024ELi32ELb1E16rocblas_bfloat16PKS0_fEviT5_lT_lS3_lS4_liPT6_PT4_,"axG",@progbits,_ZL18rocblas_dot_kernelIlLb1ELi1024ELi32ELb1E16rocblas_bfloat16PKS0_fEviT5_lT_lS3_lS4_liPT6_PT4_,comdat
.Lfunc_end542:
	.size	_ZL18rocblas_dot_kernelIlLb1ELi1024ELi32ELb1E16rocblas_bfloat16PKS0_fEviT5_lT_lS3_lS4_liPT6_PT4_, .Lfunc_end542-_ZL18rocblas_dot_kernelIlLb1ELi1024ELi32ELb1E16rocblas_bfloat16PKS0_fEviT5_lT_lS3_lS4_liPT6_PT4_
                                        ; -- End function
	.section	.AMDGPU.csdata,"",@progbits
; Kernel info:
; codeLenInByte = 1096
; NumSgprs: 29
; NumVgprs: 10
; ScratchSize: 0
; MemoryBound: 0
; FloatMode: 240
; IeeeMode: 1
; LDSByteSize: 128 bytes/workgroup (compile time only)
; SGPRBlocks: 3
; VGPRBlocks: 1
; NumSGPRsForWavesPerEU: 29
; NumVGPRsForWavesPerEU: 10
; Occupancy: 16
; WaveLimiterHint : 0
; COMPUTE_PGM_RSRC2:SCRATCH_EN: 0
; COMPUTE_PGM_RSRC2:USER_SGPR: 14
; COMPUTE_PGM_RSRC2:TRAP_HANDLER: 0
; COMPUTE_PGM_RSRC2:TGID_X_EN: 1
; COMPUTE_PGM_RSRC2:TGID_Y_EN: 0
; COMPUTE_PGM_RSRC2:TGID_Z_EN: 1
; COMPUTE_PGM_RSRC2:TIDIG_COMP_CNT: 0
	.section	.text._ZL24rocblas_dot_kernel_magsqIlLb1ELi1024ELi32ELb1E16rocblas_bfloat16PKS0_fEviT5_lT_liPT6_PT4_,"axG",@progbits,_ZL24rocblas_dot_kernel_magsqIlLb1ELi1024ELi32ELb1E16rocblas_bfloat16PKS0_fEviT5_lT_liPT6_PT4_,comdat
	.globl	_ZL24rocblas_dot_kernel_magsqIlLb1ELi1024ELi32ELb1E16rocblas_bfloat16PKS0_fEviT5_lT_liPT6_PT4_ ; -- Begin function _ZL24rocblas_dot_kernel_magsqIlLb1ELi1024ELi32ELb1E16rocblas_bfloat16PKS0_fEviT5_lT_liPT6_PT4_
	.p2align	8
	.type	_ZL24rocblas_dot_kernel_magsqIlLb1ELi1024ELi32ELb1E16rocblas_bfloat16PKS0_fEviT5_lT_liPT6_PT4_,@function
_ZL24rocblas_dot_kernel_magsqIlLb1ELi1024ELi32ELb1E16rocblas_bfloat16PKS0_fEviT5_lT_liPT6_PT4_: ; @_ZL24rocblas_dot_kernel_magsqIlLb1ELi1024ELi32ELb1E16rocblas_bfloat16PKS0_fEviT5_lT_liPT6_PT4_
; %bb.0:
	s_clause 0x1
	s_load_b32 s8, s[0:1], 0x0
	s_load_b64 s[2:3], s[0:1], 0x38
	v_mov_b32_e32 v3, 0
	s_mov_b32 s4, s15
	s_mov_b32 s5, 0
	s_mov_b32 s9, exec_lo
	s_waitcnt lgkmcnt(0)
	v_cmpx_gt_i32_e64 s8, v0
	s_cbranch_execz .LBB543_4
; %bb.1:
	s_clause 0x3
	s_load_b128 s[12:15], s[0:1], 0x10
	s_load_b32 s16, s[0:1], 0x40
	s_load_b64 s[6:7], s[0:1], 0x20
	s_load_b64 s[10:11], s[0:1], 0x8
	s_waitcnt lgkmcnt(0)
	v_mad_u64_u32 v[1:2], null, s14, v0, 0
	s_mul_i32 s0, s7, s4
	s_mul_hi_u32 s7, s6, s4
	s_mul_i32 s6, s6, s4
	s_add_i32 s7, s7, s0
	s_lshl_b64 s[12:13], s[12:13], 1
	s_lshl_b32 s1, s16, 10
	s_delay_alu instid0(VALU_DEP_1)
	v_mad_u64_u32 v[3:4], null, s15, v0, v[2:3]
	s_lshl_b64 s[6:7], s[6:7], 1
	s_add_u32 s0, s10, s12
	s_addc_u32 s10, s11, s13
	s_add_u32 s0, s0, s6
	s_addc_u32 s10, s10, s7
	s_ashr_i32 s6, s1, 31
	s_delay_alu instid0(VALU_DEP_1) | instskip(SKIP_3) | instid1(VALU_DEP_1)
	v_dual_mov_b32 v2, v3 :: v_dual_mov_b32 v3, 0
	s_mul_hi_u32 s7, s14, s1
	s_mul_i32 s6, s14, s6
	s_mul_i32 s11, s15, s1
	v_lshlrev_b64 v[1:2], 1, v[1:2]
	s_add_i32 s7, s7, s6
	v_or_b32_e32 v4, s1, v0
	s_mul_i32 s6, s14, s1
	s_add_i32 s7, s7, s11
	s_mov_b32 s11, s5
	v_add_co_u32 v1, vcc_lo, s0, v1
	v_add_co_ci_u32_e32 v2, vcc_lo, s10, v2, vcc_lo
	s_lshl_b64 s[6:7], s[6:7], 1
	s_mov_b32 s10, s5
	.p2align	6
.LBB543_2:                              ; =>This Inner Loop Header: Depth=1
	global_load_u16 v5, v[1:2], off
	s_add_i32 s12, s11, 1
	v_cmp_le_i32_e32 vcc_lo, s8, v4
	v_add_co_u32 v1, s0, v1, s6
	s_cmp_gt_u32 s11, 30
	v_add_co_ci_u32_e64 v2, s0, s7, v2, s0
	s_cselect_b32 s0, -1, 0
	s_mov_b32 s11, s12
	s_or_b32 s0, s0, vcc_lo
	s_delay_alu instid0(SALU_CYCLE_1) | instskip(NEXT) | instid1(SALU_CYCLE_1)
	s_and_b32 s0, exec_lo, s0
	s_or_b32 s10, s0, s10
	s_waitcnt vmcnt(0)
	v_lshlrev_b32_e32 v5, 16, v5
	s_delay_alu instid0(VALU_DEP_1)
	v_dual_fmac_f32 v3, v5, v5 :: v_dual_add_nc_u32 v4, s1, v4
	s_and_not1_b32 exec_lo, exec_lo, s10
	s_cbranch_execnz .LBB543_2
; %bb.3:
	s_or_b32 exec_lo, exec_lo, s10
.LBB543_4:
	s_delay_alu instid0(SALU_CYCLE_1) | instskip(SKIP_2) | instid1(VALU_DEP_2)
	s_or_b32 exec_lo, exec_lo, s9
	v_and_b32_e32 v5, 31, v0
	v_cmp_gt_u32_e32 vcc_lo, 32, v0
	v_lshlrev_b32_e32 v1, 2, v5
	s_and_saveexec_b32 s0, vcc_lo
	s_cbranch_execz .LBB543_6
; %bb.5:
	v_mov_b32_e32 v2, 0
	ds_store_b32 v1, v2
.LBB543_6:
	s_or_b32 exec_lo, exec_lo, s0
	v_mbcnt_lo_u32_b32 v7, -1, 0
	s_mov_b32 s1, exec_lo
	s_waitcnt lgkmcnt(0)
	s_barrier
	buffer_gl0_inv
	v_cmp_gt_u32_e64 s0, 16, v7
	s_delay_alu instid0(VALU_DEP_1) | instskip(SKIP_1) | instid1(VALU_DEP_2)
	v_cndmask_b32_e64 v2, 0, 1, s0
	v_cmp_gt_u32_e64 s0, 24, v7
	v_lshlrev_b32_e32 v2, 4, v2
	s_delay_alu instid0(VALU_DEP_2) | instskip(SKIP_1) | instid1(VALU_DEP_3)
	v_cndmask_b32_e64 v4, 0, 1, s0
	v_cmp_gt_u32_e64 s0, 28, v7
	v_add_lshl_u32 v2, v2, v7, 2
	s_delay_alu instid0(VALU_DEP_3)
	v_lshlrev_b32_e32 v4, 3, v4
	ds_bpermute_b32 v6, v2, v3
	v_add_lshl_u32 v4, v4, v7, 2
	s_waitcnt lgkmcnt(0)
	v_add_f32_e32 v6, v3, v6
	v_cndmask_b32_e64 v3, 0, 1, s0
	v_cmp_gt_u32_e64 s0, 30, v7
	s_delay_alu instid0(VALU_DEP_2)
	v_lshlrev_b32_e32 v3, 2, v3
	ds_bpermute_b32 v8, v4, v6
	v_add_lshl_u32 v3, v3, v7, 2
	s_waitcnt lgkmcnt(0)
	v_add_f32_e32 v8, v6, v8
	v_cndmask_b32_e64 v6, 0, 1, s0
	v_cmp_ne_u32_e64 s0, 31, v7
	s_delay_alu instid0(VALU_DEP_2) | instskip(NEXT) | instid1(VALU_DEP_1)
	v_lshlrev_b32_e32 v6, 1, v6
	v_add_lshl_u32 v6, v6, v7, 2
	s_delay_alu instid0(VALU_DEP_3) | instskip(NEXT) | instid1(VALU_DEP_1)
	v_add_co_ci_u32_e64 v7, s0, 0, v7, s0
	v_lshlrev_b32_e32 v7, 2, v7
	ds_bpermute_b32 v9, v3, v8
	s_waitcnt lgkmcnt(0)
	v_add_f32_e32 v8, v8, v9
	ds_bpermute_b32 v9, v6, v8
	s_waitcnt lgkmcnt(0)
	v_add_f32_e32 v8, v8, v9
	ds_bpermute_b32 v9, v7, v8
	v_cmpx_eq_u32_e32 0, v5
	s_cbranch_execz .LBB543_8
; %bb.7:
	v_lshrrev_b32_e32 v5, 3, v0
	s_waitcnt lgkmcnt(0)
	v_add_f32_e32 v8, v8, v9
	s_delay_alu instid0(VALU_DEP_2)
	v_and_b32_e32 v5, 0x7c, v5
	ds_store_b32 v5, v8
.LBB543_8:
	s_or_b32 exec_lo, exec_lo, s1
	v_mov_b32_e32 v5, 0
	s_waitcnt lgkmcnt(0)
	s_barrier
	buffer_gl0_inv
	s_and_saveexec_b32 s0, vcc_lo
	s_cbranch_execz .LBB543_10
; %bb.9:
	ds_load_b32 v5, v1
.LBB543_10:
	s_or_b32 exec_lo, exec_lo, s0
	s_and_saveexec_b32 s0, vcc_lo
	s_cbranch_execz .LBB543_12
; %bb.11:
	s_waitcnt lgkmcnt(0)
	ds_bpermute_b32 v1, v2, v5
	s_waitcnt lgkmcnt(0)
	v_add_f32_e32 v1, v5, v1
	ds_bpermute_b32 v2, v4, v1
	s_waitcnt lgkmcnt(0)
	v_add_f32_e32 v1, v1, v2
	;; [unrolled: 3-line block ×5, first 2 shown]
.LBB543_12:
	s_or_b32 exec_lo, exec_lo, s0
	s_delay_alu instid0(SALU_CYCLE_1)
	s_mov_b32 s0, exec_lo
	v_cmpx_eq_u32_e32 0, v0
	s_cbranch_execz .LBB543_18
; %bb.13:
	s_waitcnt lgkmcnt(0)
	v_and_b32_e32 v0, 0x7f800000, v5
	s_delay_alu instid0(VALU_DEP_1) | instskip(SKIP_1) | instid1(SALU_CYCLE_1)
	v_cmp_ne_u32_e32 vcc_lo, 0x7f800000, v0
                                        ; implicit-def: $vgpr0
	s_and_saveexec_b32 s0, vcc_lo
	s_xor_b32 s0, exec_lo, s0
; %bb.14:
	v_bfe_u32 v0, v5, 16, 1
	s_delay_alu instid0(VALU_DEP_1)
	v_add3_u32 v0, v5, v0, 0x7fff
                                        ; implicit-def: $vgpr5
; %bb.15:
	s_and_not1_saveexec_b32 s0, s0
; %bb.16:
	v_and_b32_e32 v0, 0xffff, v5
	v_or_b32_e32 v1, 0x10000, v5
	s_delay_alu instid0(VALU_DEP_2) | instskip(NEXT) | instid1(VALU_DEP_2)
	v_cmp_eq_u32_e32 vcc_lo, 0, v0
	v_cndmask_b32_e32 v0, v1, v5, vcc_lo
; %bb.17:
	s_or_b32 exec_lo, exec_lo, s0
	s_lshl_b64 s[0:1], s[4:5], 1
	v_mov_b32_e32 v1, 0
	s_add_u32 s0, s2, s0
	s_addc_u32 s1, s3, s1
	global_store_d16_hi_b16 v1, v0, s[0:1]
.LBB543_18:
	s_nop 0
	s_sendmsg sendmsg(MSG_DEALLOC_VGPRS)
	s_endpgm
	.section	.rodata,"a",@progbits
	.p2align	6, 0x0
	.amdhsa_kernel _ZL24rocblas_dot_kernel_magsqIlLb1ELi1024ELi32ELb1E16rocblas_bfloat16PKS0_fEviT5_lT_liPT6_PT4_
		.amdhsa_group_segment_fixed_size 128
		.amdhsa_private_segment_fixed_size 0
		.amdhsa_kernarg_size 320
		.amdhsa_user_sgpr_count 14
		.amdhsa_user_sgpr_dispatch_ptr 0
		.amdhsa_user_sgpr_queue_ptr 0
		.amdhsa_user_sgpr_kernarg_segment_ptr 1
		.amdhsa_user_sgpr_dispatch_id 0
		.amdhsa_user_sgpr_private_segment_size 0
		.amdhsa_wavefront_size32 1
		.amdhsa_uses_dynamic_stack 0
		.amdhsa_enable_private_segment 0
		.amdhsa_system_sgpr_workgroup_id_x 1
		.amdhsa_system_sgpr_workgroup_id_y 0
		.amdhsa_system_sgpr_workgroup_id_z 1
		.amdhsa_system_sgpr_workgroup_info 0
		.amdhsa_system_vgpr_workitem_id 0
		.amdhsa_next_free_vgpr 10
		.amdhsa_next_free_sgpr 17
		.amdhsa_reserve_vcc 1
		.amdhsa_float_round_mode_32 0
		.amdhsa_float_round_mode_16_64 0
		.amdhsa_float_denorm_mode_32 3
		.amdhsa_float_denorm_mode_16_64 3
		.amdhsa_dx10_clamp 1
		.amdhsa_ieee_mode 1
		.amdhsa_fp16_overflow 0
		.amdhsa_workgroup_processor_mode 1
		.amdhsa_memory_ordered 1
		.amdhsa_forward_progress 0
		.amdhsa_shared_vgpr_count 0
		.amdhsa_exception_fp_ieee_invalid_op 0
		.amdhsa_exception_fp_denorm_src 0
		.amdhsa_exception_fp_ieee_div_zero 0
		.amdhsa_exception_fp_ieee_overflow 0
		.amdhsa_exception_fp_ieee_underflow 0
		.amdhsa_exception_fp_ieee_inexact 0
		.amdhsa_exception_int_div_zero 0
	.end_amdhsa_kernel
	.section	.text._ZL24rocblas_dot_kernel_magsqIlLb1ELi1024ELi32ELb1E16rocblas_bfloat16PKS0_fEviT5_lT_liPT6_PT4_,"axG",@progbits,_ZL24rocblas_dot_kernel_magsqIlLb1ELi1024ELi32ELb1E16rocblas_bfloat16PKS0_fEviT5_lT_liPT6_PT4_,comdat
.Lfunc_end543:
	.size	_ZL24rocblas_dot_kernel_magsqIlLb1ELi1024ELi32ELb1E16rocblas_bfloat16PKS0_fEviT5_lT_liPT6_PT4_, .Lfunc_end543-_ZL24rocblas_dot_kernel_magsqIlLb1ELi1024ELi32ELb1E16rocblas_bfloat16PKS0_fEviT5_lT_liPT6_PT4_
                                        ; -- End function
	.section	.AMDGPU.csdata,"",@progbits
; Kernel info:
; codeLenInByte = 948
; NumSgprs: 19
; NumVgprs: 10
; ScratchSize: 0
; MemoryBound: 0
; FloatMode: 240
; IeeeMode: 1
; LDSByteSize: 128 bytes/workgroup (compile time only)
; SGPRBlocks: 2
; VGPRBlocks: 1
; NumSGPRsForWavesPerEU: 19
; NumVGPRsForWavesPerEU: 10
; Occupancy: 16
; WaveLimiterHint : 0
; COMPUTE_PGM_RSRC2:SCRATCH_EN: 0
; COMPUTE_PGM_RSRC2:USER_SGPR: 14
; COMPUTE_PGM_RSRC2:TRAP_HANDLER: 0
; COMPUTE_PGM_RSRC2:TGID_X_EN: 1
; COMPUTE_PGM_RSRC2:TGID_Y_EN: 0
; COMPUTE_PGM_RSRC2:TGID_Z_EN: 1
; COMPUTE_PGM_RSRC2:TIDIG_COMP_CNT: 0
	.section	.text._ZL18rocblas_dot_kernelIlLb0ELi512ELi8ELb1E16rocblas_bfloat16PKS0_fEviT5_lT_lS3_lS4_liPT6_PT4_,"axG",@progbits,_ZL18rocblas_dot_kernelIlLb0ELi512ELi8ELb1E16rocblas_bfloat16PKS0_fEviT5_lT_lS3_lS4_liPT6_PT4_,comdat
	.globl	_ZL18rocblas_dot_kernelIlLb0ELi512ELi8ELb1E16rocblas_bfloat16PKS0_fEviT5_lT_lS3_lS4_liPT6_PT4_ ; -- Begin function _ZL18rocblas_dot_kernelIlLb0ELi512ELi8ELb1E16rocblas_bfloat16PKS0_fEviT5_lT_lS3_lS4_liPT6_PT4_
	.p2align	8
	.type	_ZL18rocblas_dot_kernelIlLb0ELi512ELi8ELb1E16rocblas_bfloat16PKS0_fEviT5_lT_lS3_lS4_liPT6_PT4_,@function
_ZL18rocblas_dot_kernelIlLb0ELi512ELi8ELb1E16rocblas_bfloat16PKS0_fEviT5_lT_lS3_lS4_liPT6_PT4_: ; @_ZL18rocblas_dot_kernelIlLb0ELi512ELi8ELb1E16rocblas_bfloat16PKS0_fEviT5_lT_lS3_lS4_liPT6_PT4_
; %bb.0:
	s_clause 0x2
	s_load_b32 s12, s[0:1], 0x60
	s_load_b32 s13, s[0:1], 0x0
	s_load_b128 s[16:19], s[0:1], 0x50
	v_lshl_or_b32 v1, s14, 9, v0
	v_mov_b32_e32 v6, 0
	s_mov_b32 s2, s15
	s_mov_b32 s3, 0
	s_mov_b32 s15, exec_lo
	s_waitcnt lgkmcnt(0)
	v_cmpx_gt_i32_e64 s13, v1
	s_cbranch_execz .LBB544_4
; %bb.1:
	s_clause 0x2
	s_load_b128 s[20:23], s[0:1], 0x10
	s_load_b256 s[4:11], s[0:1], 0x20
	s_load_b64 s[26:27], s[0:1], 0x8
	v_ashrrev_i32_e32 v4, 31, v1
	s_load_b64 s[0:1], s[0:1], 0x40
	s_lshl_b32 s24, s12, 9
	s_delay_alu instid0(SALU_CYCLE_1)
	v_add_nc_u32_e32 v5, s24, v1
	s_waitcnt lgkmcnt(0)
	v_mul_lo_u32 v8, s23, v1
	v_mul_lo_u32 v9, s22, v4
	v_mad_u64_u32 v[2:3], null, s22, v1, 0
	s_mul_i32 s5, s5, s2
	s_mul_hi_u32 s25, s4, s2
	s_mul_i32 s4, s4, s2
	v_mul_lo_u32 v10, s11, v1
	v_mul_lo_u32 v4, s10, v4
	s_add_i32 s5, s25, s5
	s_delay_alu instid0(VALU_DEP_3)
	v_add3_u32 v3, v3, v9, v8
	v_mad_u64_u32 v[6:7], null, s10, v1, 0
	s_lshl_b64 s[20:21], s[20:21], 1
	s_lshl_b64 s[4:5], s[4:5], 1
	s_add_u32 s20, s26, s20
	s_addc_u32 s21, s27, s21
	v_lshlrev_b64 v[1:2], 1, v[2:3]
	s_add_u32 s20, s20, s4
	s_addc_u32 s21, s21, s5
	s_ashr_i32 s25, s24, 31
	s_mul_hi_u32 s4, s22, s24
	s_mul_i32 s5, s22, s25
	v_add3_u32 v7, v7, v4, v10
	s_mul_i32 s23, s23, s24
	s_add_i32 s5, s4, s5
	v_add_co_u32 v1, vcc_lo, s20, v1
	s_mul_i32 s1, s1, s2
	s_mul_hi_u32 s20, s0, s2
	s_mul_i32 s4, s22, s24
	s_add_i32 s5, s5, s23
	s_add_i32 s1, s20, s1
	s_mul_i32 s0, s0, s2
	v_lshlrev_b64 v[3:4], 1, v[6:7]
	v_mov_b32_e32 v6, 0
	s_lshl_b64 s[8:9], s[8:9], 1
	s_lshl_b64 s[4:5], s[4:5], 1
	;; [unrolled: 1-line block ×3, first 2 shown]
	s_add_u32 s6, s6, s8
	s_addc_u32 s7, s7, s9
	s_add_u32 s0, s6, s0
	v_add_co_ci_u32_e32 v2, vcc_lo, s21, v2, vcc_lo
	s_mul_i32 s6, s10, s25
	s_mul_hi_u32 s8, s10, s24
	s_addc_u32 s1, s7, s1
	v_add_co_u32 v3, vcc_lo, s0, v3
	s_add_i32 s6, s8, s6
	s_mul_i32 s7, s11, s24
	v_add_co_ci_u32_e32 v4, vcc_lo, s1, v4, vcc_lo
	s_add_i32 s1, s6, s7
	s_mul_i32 s0, s10, s24
	s_mov_b32 s8, s3
	s_lshl_b64 s[6:7], s[0:1], 1
	s_mov_b32 s1, s3
	.p2align	6
.LBB544_2:                              ; =>This Inner Loop Header: Depth=1
	global_load_u16 v7, v[1:2], off
	global_load_u16 v8, v[3:4], off
	v_add_co_u32 v1, s0, v1, s4
	s_delay_alu instid0(VALU_DEP_1)
	v_add_co_ci_u32_e64 v2, s0, s5, v2, s0
	s_add_i32 s9, s8, 1
	v_cmp_le_i32_e32 vcc_lo, s13, v5
	v_add_co_u32 v3, s0, v3, s6
	s_cmp_gt_u32 s8, 6
	v_add_co_ci_u32_e64 v4, s0, s7, v4, s0
	s_cselect_b32 s0, -1, 0
	s_mov_b32 s8, s9
	s_or_b32 s0, s0, vcc_lo
	s_delay_alu instid0(SALU_CYCLE_1) | instskip(NEXT) | instid1(SALU_CYCLE_1)
	s_and_b32 s0, exec_lo, s0
	s_or_b32 s1, s0, s1
	s_waitcnt vmcnt(1)
	v_lshlrev_b32_e32 v7, 16, v7
	s_waitcnt vmcnt(0)
	v_lshlrev_b32_e32 v8, 16, v8
	s_delay_alu instid0(VALU_DEP_1)
	v_dual_fmac_f32 v6, v8, v7 :: v_dual_add_nc_u32 v5, s24, v5
	s_and_not1_b32 exec_lo, exec_lo, s1
	s_cbranch_execnz .LBB544_2
; %bb.3:
	s_or_b32 exec_lo, exec_lo, s1
.LBB544_4:
	s_delay_alu instid0(SALU_CYCLE_1) | instskip(SKIP_2) | instid1(VALU_DEP_2)
	s_or_b32 exec_lo, exec_lo, s15
	v_and_b32_e32 v1, 31, v0
	v_cmp_gt_u32_e32 vcc_lo, 32, v0
	v_lshlrev_b32_e32 v2, 2, v1
	s_and_saveexec_b32 s0, vcc_lo
	s_cbranch_execz .LBB544_6
; %bb.5:
	v_mov_b32_e32 v3, 0
	ds_store_b32 v2, v3
.LBB544_6:
	s_or_b32 exec_lo, exec_lo, s0
	v_mbcnt_lo_u32_b32 v7, -1, 0
	s_mov_b32 s1, exec_lo
	s_waitcnt lgkmcnt(0)
	s_barrier
	buffer_gl0_inv
	v_cmp_gt_u32_e64 s0, 16, v7
	s_delay_alu instid0(VALU_DEP_1) | instskip(SKIP_1) | instid1(VALU_DEP_2)
	v_cndmask_b32_e64 v3, 0, 1, s0
	v_cmp_gt_u32_e64 s0, 24, v7
	v_lshlrev_b32_e32 v3, 4, v3
	s_delay_alu instid0(VALU_DEP_1) | instskip(SKIP_3) | instid1(VALU_DEP_2)
	v_add_lshl_u32 v3, v3, v7, 2
	ds_bpermute_b32 v4, v3, v6
	v_cndmask_b32_e64 v3, 0, 1, s0
	v_cmp_gt_u32_e64 s0, 28, v7
	v_lshlrev_b32_e32 v3, 3, v3
	s_delay_alu instid0(VALU_DEP_1)
	v_add_lshl_u32 v3, v3, v7, 2
	s_waitcnt lgkmcnt(0)
	v_add_f32_e32 v5, v6, v4
	v_cndmask_b32_e64 v4, 0, 1, s0
	v_cmp_gt_u32_e64 s0, 30, v7
	ds_bpermute_b32 v6, v3, v5
	v_lshlrev_b32_e32 v4, 2, v4
	s_delay_alu instid0(VALU_DEP_1)
	v_add_lshl_u32 v4, v4, v7, 2
	s_waitcnt lgkmcnt(0)
	v_add_f32_e32 v6, v5, v6
	v_cndmask_b32_e64 v5, 0, 1, s0
	v_cmp_ne_u32_e64 s0, 31, v7
	ds_bpermute_b32 v8, v4, v6
	v_lshlrev_b32_e32 v5, 1, v5
	v_add_co_ci_u32_e64 v9, s0, 0, v7, s0
	s_delay_alu instid0(VALU_DEP_2)
	v_add_lshl_u32 v5, v5, v7, 2
	s_waitcnt lgkmcnt(0)
	v_add_f32_e32 v6, v6, v8
	ds_bpermute_b32 v8, v5, v6
	s_waitcnt lgkmcnt(0)
	v_dual_add_f32 v7, v6, v8 :: v_dual_lshlrev_b32 v6, 2, v9
	ds_bpermute_b32 v8, v6, v7
	v_cmpx_eq_u32_e32 0, v1
	s_cbranch_execz .LBB544_8
; %bb.7:
	v_lshrrev_b32_e32 v1, 3, v0
	s_waitcnt lgkmcnt(0)
	v_add_f32_e32 v7, v7, v8
	s_delay_alu instid0(VALU_DEP_2)
	v_and_b32_e32 v1, 60, v1
	ds_store_b32 v1, v7
.LBB544_8:
	s_or_b32 exec_lo, exec_lo, s1
	v_mov_b32_e32 v1, 0
	s_mov_b32 s1, exec_lo
	s_waitcnt lgkmcnt(0)
	s_barrier
	buffer_gl0_inv
	v_cmpx_gt_u32_e32 16, v0
	s_cbranch_execz .LBB544_10
; %bb.9:
	ds_load_b32 v1, v2
.LBB544_10:
	s_or_b32 exec_lo, exec_lo, s1
	s_and_saveexec_b32 s0, vcc_lo
	s_cbranch_execz .LBB544_12
; %bb.11:
	s_waitcnt lgkmcnt(0)
	ds_bpermute_b32 v2, v3, v1
	s_waitcnt lgkmcnt(0)
	v_add_f32_e32 v1, v1, v2
	ds_bpermute_b32 v2, v4, v1
	s_waitcnt lgkmcnt(0)
	v_add_f32_e32 v1, v1, v2
	;; [unrolled: 3-line block ×4, first 2 shown]
.LBB544_12:
	s_or_b32 exec_lo, exec_lo, s0
	s_delay_alu instid0(SALU_CYCLE_1)
	s_mov_b32 s0, exec_lo
	v_cmpx_eq_u32_e32 0, v0
	s_cbranch_execz .LBB544_21
; %bb.13:
	s_cmp_lg_u32 s12, 1
	s_mov_b32 s15, -1
	s_cbranch_scc0 .LBB544_15
; %bb.14:
	s_mul_hi_u32 s1, s12, s2
	s_mul_i32 s0, s12, s2
	s_mov_b32 s15, 0
	s_lshl_b64 s[0:1], s[0:1], 2
	v_mov_b32_e32 v0, 0
	s_add_u32 s4, s16, s0
	s_addc_u32 s5, s17, s1
	s_lshl_b64 s[0:1], s[14:15], 2
	s_delay_alu instid0(SALU_CYCLE_1)
	s_add_u32 s0, s4, s0
	s_addc_u32 s1, s5, s1
	s_waitcnt lgkmcnt(0)
	global_store_b32 v0, v1, s[0:1]
.LBB544_15:
	s_and_not1_b32 vcc_lo, exec_lo, s15
	s_cbranch_vccnz .LBB544_21
; %bb.16:
	s_waitcnt lgkmcnt(0)
	v_and_b32_e32 v0, 0x7f800000, v1
	s_delay_alu instid0(VALU_DEP_1) | instskip(SKIP_1) | instid1(SALU_CYCLE_1)
	v_cmp_ne_u32_e32 vcc_lo, 0x7f800000, v0
                                        ; implicit-def: $vgpr0
	s_and_saveexec_b32 s0, vcc_lo
	s_xor_b32 s0, exec_lo, s0
; %bb.17:
	v_bfe_u32 v0, v1, 16, 1
	s_delay_alu instid0(VALU_DEP_1)
	v_add3_u32 v0, v1, v0, 0x7fff
                                        ; implicit-def: $vgpr1
; %bb.18:
	s_and_not1_saveexec_b32 s0, s0
; %bb.19:
	v_and_b32_e32 v0, 0xffff, v1
	v_or_b32_e32 v2, 0x10000, v1
	s_delay_alu instid0(VALU_DEP_2) | instskip(NEXT) | instid1(VALU_DEP_2)
	v_cmp_eq_u32_e32 vcc_lo, 0, v0
	v_cndmask_b32_e32 v0, v2, v1, vcc_lo
; %bb.20:
	s_or_b32 exec_lo, exec_lo, s0
	s_lshl_b64 s[0:1], s[2:3], 1
	v_mov_b32_e32 v1, 0
	s_add_u32 s0, s18, s0
	s_addc_u32 s1, s19, s1
	global_store_d16_hi_b16 v1, v0, s[0:1]
.LBB544_21:
	s_nop 0
	s_sendmsg sendmsg(MSG_DEALLOC_VGPRS)
	s_endpgm
	.section	.rodata,"a",@progbits
	.p2align	6, 0x0
	.amdhsa_kernel _ZL18rocblas_dot_kernelIlLb0ELi512ELi8ELb1E16rocblas_bfloat16PKS0_fEviT5_lT_lS3_lS4_liPT6_PT4_
		.amdhsa_group_segment_fixed_size 128
		.amdhsa_private_segment_fixed_size 0
		.amdhsa_kernarg_size 352
		.amdhsa_user_sgpr_count 14
		.amdhsa_user_sgpr_dispatch_ptr 0
		.amdhsa_user_sgpr_queue_ptr 0
		.amdhsa_user_sgpr_kernarg_segment_ptr 1
		.amdhsa_user_sgpr_dispatch_id 0
		.amdhsa_user_sgpr_private_segment_size 0
		.amdhsa_wavefront_size32 1
		.amdhsa_uses_dynamic_stack 0
		.amdhsa_enable_private_segment 0
		.amdhsa_system_sgpr_workgroup_id_x 1
		.amdhsa_system_sgpr_workgroup_id_y 0
		.amdhsa_system_sgpr_workgroup_id_z 1
		.amdhsa_system_sgpr_workgroup_info 0
		.amdhsa_system_vgpr_workitem_id 0
		.amdhsa_next_free_vgpr 11
		.amdhsa_next_free_sgpr 28
		.amdhsa_reserve_vcc 1
		.amdhsa_float_round_mode_32 0
		.amdhsa_float_round_mode_16_64 0
		.amdhsa_float_denorm_mode_32 3
		.amdhsa_float_denorm_mode_16_64 3
		.amdhsa_dx10_clamp 1
		.amdhsa_ieee_mode 1
		.amdhsa_fp16_overflow 0
		.amdhsa_workgroup_processor_mode 1
		.amdhsa_memory_ordered 1
		.amdhsa_forward_progress 0
		.amdhsa_shared_vgpr_count 0
		.amdhsa_exception_fp_ieee_invalid_op 0
		.amdhsa_exception_fp_denorm_src 0
		.amdhsa_exception_fp_ieee_div_zero 0
		.amdhsa_exception_fp_ieee_overflow 0
		.amdhsa_exception_fp_ieee_underflow 0
		.amdhsa_exception_fp_ieee_inexact 0
		.amdhsa_exception_int_div_zero 0
	.end_amdhsa_kernel
	.section	.text._ZL18rocblas_dot_kernelIlLb0ELi512ELi8ELb1E16rocblas_bfloat16PKS0_fEviT5_lT_lS3_lS4_liPT6_PT4_,"axG",@progbits,_ZL18rocblas_dot_kernelIlLb0ELi512ELi8ELb1E16rocblas_bfloat16PKS0_fEviT5_lT_lS3_lS4_liPT6_PT4_,comdat
.Lfunc_end544:
	.size	_ZL18rocblas_dot_kernelIlLb0ELi512ELi8ELb1E16rocblas_bfloat16PKS0_fEviT5_lT_lS3_lS4_liPT6_PT4_, .Lfunc_end544-_ZL18rocblas_dot_kernelIlLb0ELi512ELi8ELb1E16rocblas_bfloat16PKS0_fEviT5_lT_lS3_lS4_liPT6_PT4_
                                        ; -- End function
	.section	.AMDGPU.csdata,"",@progbits
; Kernel info:
; codeLenInByte = 1192
; NumSgprs: 30
; NumVgprs: 11
; ScratchSize: 0
; MemoryBound: 0
; FloatMode: 240
; IeeeMode: 1
; LDSByteSize: 128 bytes/workgroup (compile time only)
; SGPRBlocks: 3
; VGPRBlocks: 1
; NumSGPRsForWavesPerEU: 30
; NumVGPRsForWavesPerEU: 11
; Occupancy: 16
; WaveLimiterHint : 0
; COMPUTE_PGM_RSRC2:SCRATCH_EN: 0
; COMPUTE_PGM_RSRC2:USER_SGPR: 14
; COMPUTE_PGM_RSRC2:TRAP_HANDLER: 0
; COMPUTE_PGM_RSRC2:TGID_X_EN: 1
; COMPUTE_PGM_RSRC2:TGID_Y_EN: 0
; COMPUTE_PGM_RSRC2:TGID_Z_EN: 1
; COMPUTE_PGM_RSRC2:TIDIG_COMP_CNT: 0
	.section	.text._ZL24rocblas_dot_kernel_magsqIlLb0ELi512ELi8ELb1E16rocblas_bfloat16PKS0_fEviT5_lT_liPT6_PT4_,"axG",@progbits,_ZL24rocblas_dot_kernel_magsqIlLb0ELi512ELi8ELb1E16rocblas_bfloat16PKS0_fEviT5_lT_liPT6_PT4_,comdat
	.globl	_ZL24rocblas_dot_kernel_magsqIlLb0ELi512ELi8ELb1E16rocblas_bfloat16PKS0_fEviT5_lT_liPT6_PT4_ ; -- Begin function _ZL24rocblas_dot_kernel_magsqIlLb0ELi512ELi8ELb1E16rocblas_bfloat16PKS0_fEviT5_lT_liPT6_PT4_
	.p2align	8
	.type	_ZL24rocblas_dot_kernel_magsqIlLb0ELi512ELi8ELb1E16rocblas_bfloat16PKS0_fEviT5_lT_liPT6_PT4_,@function
_ZL24rocblas_dot_kernel_magsqIlLb0ELi512ELi8ELb1E16rocblas_bfloat16PKS0_fEviT5_lT_liPT6_PT4_: ; @_ZL24rocblas_dot_kernel_magsqIlLb0ELi512ELi8ELb1E16rocblas_bfloat16PKS0_fEviT5_lT_liPT6_PT4_
; %bb.0:
	s_clause 0x2
	s_load_b32 s11, s[0:1], 0x0
	s_load_b128 s[4:7], s[0:1], 0x30
	s_load_b32 s10, s[0:1], 0x40
	v_lshl_or_b32 v1, s14, 9, v0
	v_mov_b32_e32 v3, 0
	s_mov_b32 s2, s15
	s_mov_b32 s3, 0
	s_mov_b32 s12, exec_lo
	s_waitcnt lgkmcnt(0)
	v_cmpx_gt_i32_e64 s11, v1
	s_cbranch_execz .LBB545_4
; %bb.1:
	s_clause 0x2
	s_load_b128 s[16:19], s[0:1], 0x10
	s_load_b64 s[8:9], s[0:1], 0x20
	s_load_b64 s[20:21], s[0:1], 0x8
	v_ashrrev_i32_e32 v2, 31, v1
	s_lshl_b32 s1, s10, 9
	s_delay_alu instid0(SALU_CYCLE_1)
	v_add_nc_u32_e32 v4, s1, v1
	s_waitcnt lgkmcnt(0)
	v_mul_lo_u32 v5, s19, v1
	v_mul_lo_u32 v6, s18, v2
	v_mad_u64_u32 v[2:3], null, s18, v1, 0
	s_mul_i32 s0, s9, s2
	s_mul_hi_u32 s9, s8, s2
	s_mul_i32 s8, s8, s2
	s_add_i32 s9, s9, s0
	s_lshl_b64 s[16:17], s[16:17], 1
	s_lshl_b64 s[8:9], s[8:9], 1
	s_delay_alu instid0(VALU_DEP_1)
	v_add3_u32 v3, v3, v6, v5
	s_add_u32 s0, s20, s16
	s_addc_u32 s13, s21, s17
	s_add_u32 s0, s0, s8
	s_addc_u32 s13, s13, s9
	v_lshlrev_b64 v[1:2], 1, v[2:3]
	v_mov_b32_e32 v3, 0
	s_ashr_i32 s8, s1, 31
	s_mul_hi_u32 s9, s18, s1
	s_mul_i32 s8, s18, s8
	s_mul_i32 s15, s19, s1
	v_add_co_u32 v1, vcc_lo, s0, v1
	s_add_i32 s9, s9, s8
	v_add_co_ci_u32_e32 v2, vcc_lo, s13, v2, vcc_lo
	s_mul_i32 s8, s18, s1
	s_add_i32 s9, s9, s15
	s_mov_b32 s13, s3
	s_lshl_b64 s[8:9], s[8:9], 1
	s_mov_b32 s15, s3
	.p2align	6
.LBB545_2:                              ; =>This Inner Loop Header: Depth=1
	global_load_u16 v5, v[1:2], off
	s_add_i32 s16, s15, 1
	v_cmp_le_i32_e32 vcc_lo, s11, v4
	v_add_co_u32 v1, s0, v1, s8
	s_cmp_gt_u32 s15, 6
	v_add_co_ci_u32_e64 v2, s0, s9, v2, s0
	s_cselect_b32 s0, -1, 0
	s_mov_b32 s15, s16
	s_or_b32 s0, s0, vcc_lo
	s_delay_alu instid0(SALU_CYCLE_1) | instskip(NEXT) | instid1(SALU_CYCLE_1)
	s_and_b32 s0, exec_lo, s0
	s_or_b32 s13, s0, s13
	s_waitcnt vmcnt(0)
	v_lshlrev_b32_e32 v5, 16, v5
	s_delay_alu instid0(VALU_DEP_1)
	v_dual_fmac_f32 v3, v5, v5 :: v_dual_add_nc_u32 v4, s1, v4
	s_and_not1_b32 exec_lo, exec_lo, s13
	s_cbranch_execnz .LBB545_2
; %bb.3:
	s_or_b32 exec_lo, exec_lo, s13
.LBB545_4:
	s_delay_alu instid0(SALU_CYCLE_1) | instskip(SKIP_2) | instid1(VALU_DEP_2)
	s_or_b32 exec_lo, exec_lo, s12
	v_and_b32_e32 v1, 31, v0
	v_cmp_gt_u32_e32 vcc_lo, 32, v0
	v_lshlrev_b32_e32 v2, 2, v1
	s_and_saveexec_b32 s0, vcc_lo
	s_cbranch_execz .LBB545_6
; %bb.5:
	v_mov_b32_e32 v4, 0
	ds_store_b32 v2, v4
.LBB545_6:
	s_or_b32 exec_lo, exec_lo, s0
	v_mbcnt_lo_u32_b32 v6, -1, 0
	s_mov_b32 s1, exec_lo
	s_waitcnt lgkmcnt(0)
	s_barrier
	buffer_gl0_inv
	v_cmp_gt_u32_e64 s0, 16, v6
	s_delay_alu instid0(VALU_DEP_1) | instskip(SKIP_1) | instid1(VALU_DEP_2)
	v_cndmask_b32_e64 v4, 0, 1, s0
	v_cmp_gt_u32_e64 s0, 24, v6
	v_lshlrev_b32_e32 v4, 4, v4
	s_delay_alu instid0(VALU_DEP_1) | instskip(SKIP_4) | instid1(VALU_DEP_2)
	v_add_lshl_u32 v4, v4, v6, 2
	ds_bpermute_b32 v5, v4, v3
	v_cndmask_b32_e64 v4, 0, 1, s0
	v_cmp_gt_u32_e64 s0, 28, v6
	s_waitcnt lgkmcnt(0)
	v_dual_add_f32 v5, v3, v5 :: v_dual_lshlrev_b32 v4, 3, v4
	s_delay_alu instid0(VALU_DEP_2) | instskip(SKIP_1) | instid1(VALU_DEP_3)
	v_cndmask_b32_e64 v3, 0, 1, s0
	v_cmp_gt_u32_e64 s0, 30, v6
	v_add_lshl_u32 v4, v4, v6, 2
	s_delay_alu instid0(VALU_DEP_3)
	v_lshlrev_b32_e32 v3, 2, v3
	ds_bpermute_b32 v7, v4, v5
	v_add_lshl_u32 v3, v3, v6, 2
	s_waitcnt lgkmcnt(0)
	v_add_f32_e32 v7, v5, v7
	v_cndmask_b32_e64 v5, 0, 1, s0
	v_cmp_ne_u32_e64 s0, 31, v6
	ds_bpermute_b32 v8, v3, v7
	v_lshlrev_b32_e32 v5, 1, v5
	s_delay_alu instid0(VALU_DEP_1) | instskip(SKIP_2) | instid1(VALU_DEP_1)
	v_add_lshl_u32 v5, v5, v6, 2
	v_add_co_ci_u32_e64 v6, s0, 0, v6, s0
	s_waitcnt lgkmcnt(0)
	v_dual_add_f32 v7, v7, v8 :: v_dual_lshlrev_b32 v6, 2, v6
	ds_bpermute_b32 v8, v5, v7
	s_waitcnt lgkmcnt(0)
	v_add_f32_e32 v7, v7, v8
	ds_bpermute_b32 v8, v6, v7
	v_cmpx_eq_u32_e32 0, v1
	s_cbranch_execz .LBB545_8
; %bb.7:
	v_lshrrev_b32_e32 v1, 3, v0
	s_waitcnt lgkmcnt(0)
	v_add_f32_e32 v7, v7, v8
	s_delay_alu instid0(VALU_DEP_2)
	v_and_b32_e32 v1, 60, v1
	ds_store_b32 v1, v7
.LBB545_8:
	s_or_b32 exec_lo, exec_lo, s1
	v_mov_b32_e32 v1, 0
	s_mov_b32 s1, exec_lo
	s_waitcnt lgkmcnt(0)
	s_barrier
	buffer_gl0_inv
	v_cmpx_gt_u32_e32 16, v0
	s_cbranch_execz .LBB545_10
; %bb.9:
	ds_load_b32 v1, v2
.LBB545_10:
	s_or_b32 exec_lo, exec_lo, s1
	s_and_saveexec_b32 s0, vcc_lo
	s_cbranch_execz .LBB545_12
; %bb.11:
	s_waitcnt lgkmcnt(0)
	ds_bpermute_b32 v2, v4, v1
	s_waitcnt lgkmcnt(0)
	v_add_f32_e32 v1, v1, v2
	ds_bpermute_b32 v2, v3, v1
	s_waitcnt lgkmcnt(0)
	v_add_f32_e32 v1, v1, v2
	;; [unrolled: 3-line block ×4, first 2 shown]
.LBB545_12:
	s_or_b32 exec_lo, exec_lo, s0
	s_delay_alu instid0(SALU_CYCLE_1)
	s_mov_b32 s0, exec_lo
	v_cmpx_eq_u32_e32 0, v0
	s_cbranch_execz .LBB545_21
; %bb.13:
	s_cmp_lg_u32 s10, 1
	s_mov_b32 s15, -1
	s_cbranch_scc0 .LBB545_15
; %bb.14:
	s_mul_hi_u32 s1, s10, s2
	s_mul_i32 s0, s10, s2
	s_mov_b32 s15, 0
	s_lshl_b64 s[0:1], s[0:1], 2
	v_mov_b32_e32 v0, 0
	s_add_u32 s4, s4, s0
	s_addc_u32 s5, s5, s1
	s_lshl_b64 s[0:1], s[14:15], 2
	s_delay_alu instid0(SALU_CYCLE_1)
	s_add_u32 s0, s4, s0
	s_addc_u32 s1, s5, s1
	s_waitcnt lgkmcnt(0)
	global_store_b32 v0, v1, s[0:1]
.LBB545_15:
	s_and_not1_b32 vcc_lo, exec_lo, s15
	s_cbranch_vccnz .LBB545_21
; %bb.16:
	s_waitcnt lgkmcnt(0)
	v_and_b32_e32 v0, 0x7f800000, v1
	s_delay_alu instid0(VALU_DEP_1) | instskip(SKIP_1) | instid1(SALU_CYCLE_1)
	v_cmp_ne_u32_e32 vcc_lo, 0x7f800000, v0
                                        ; implicit-def: $vgpr0
	s_and_saveexec_b32 s0, vcc_lo
	s_xor_b32 s0, exec_lo, s0
; %bb.17:
	v_bfe_u32 v0, v1, 16, 1
	s_delay_alu instid0(VALU_DEP_1)
	v_add3_u32 v0, v1, v0, 0x7fff
                                        ; implicit-def: $vgpr1
; %bb.18:
	s_and_not1_saveexec_b32 s0, s0
; %bb.19:
	v_and_b32_e32 v0, 0xffff, v1
	v_or_b32_e32 v2, 0x10000, v1
	s_delay_alu instid0(VALU_DEP_2) | instskip(NEXT) | instid1(VALU_DEP_2)
	v_cmp_eq_u32_e32 vcc_lo, 0, v0
	v_cndmask_b32_e32 v0, v2, v1, vcc_lo
; %bb.20:
	s_or_b32 exec_lo, exec_lo, s0
	s_lshl_b64 s[0:1], s[2:3], 1
	v_mov_b32_e32 v1, 0
	s_add_u32 s0, s6, s0
	s_addc_u32 s1, s7, s1
	global_store_d16_hi_b16 v1, v0, s[0:1]
.LBB545_21:
	s_nop 0
	s_sendmsg sendmsg(MSG_DEALLOC_VGPRS)
	s_endpgm
	.section	.rodata,"a",@progbits
	.p2align	6, 0x0
	.amdhsa_kernel _ZL24rocblas_dot_kernel_magsqIlLb0ELi512ELi8ELb1E16rocblas_bfloat16PKS0_fEviT5_lT_liPT6_PT4_
		.amdhsa_group_segment_fixed_size 128
		.amdhsa_private_segment_fixed_size 0
		.amdhsa_kernarg_size 320
		.amdhsa_user_sgpr_count 14
		.amdhsa_user_sgpr_dispatch_ptr 0
		.amdhsa_user_sgpr_queue_ptr 0
		.amdhsa_user_sgpr_kernarg_segment_ptr 1
		.amdhsa_user_sgpr_dispatch_id 0
		.amdhsa_user_sgpr_private_segment_size 0
		.amdhsa_wavefront_size32 1
		.amdhsa_uses_dynamic_stack 0
		.amdhsa_enable_private_segment 0
		.amdhsa_system_sgpr_workgroup_id_x 1
		.amdhsa_system_sgpr_workgroup_id_y 0
		.amdhsa_system_sgpr_workgroup_id_z 1
		.amdhsa_system_sgpr_workgroup_info 0
		.amdhsa_system_vgpr_workitem_id 0
		.amdhsa_next_free_vgpr 9
		.amdhsa_next_free_sgpr 22
		.amdhsa_reserve_vcc 1
		.amdhsa_float_round_mode_32 0
		.amdhsa_float_round_mode_16_64 0
		.amdhsa_float_denorm_mode_32 3
		.amdhsa_float_denorm_mode_16_64 3
		.amdhsa_dx10_clamp 1
		.amdhsa_ieee_mode 1
		.amdhsa_fp16_overflow 0
		.amdhsa_workgroup_processor_mode 1
		.amdhsa_memory_ordered 1
		.amdhsa_forward_progress 0
		.amdhsa_shared_vgpr_count 0
		.amdhsa_exception_fp_ieee_invalid_op 0
		.amdhsa_exception_fp_denorm_src 0
		.amdhsa_exception_fp_ieee_div_zero 0
		.amdhsa_exception_fp_ieee_overflow 0
		.amdhsa_exception_fp_ieee_underflow 0
		.amdhsa_exception_fp_ieee_inexact 0
		.amdhsa_exception_int_div_zero 0
	.end_amdhsa_kernel
	.section	.text._ZL24rocblas_dot_kernel_magsqIlLb0ELi512ELi8ELb1E16rocblas_bfloat16PKS0_fEviT5_lT_liPT6_PT4_,"axG",@progbits,_ZL24rocblas_dot_kernel_magsqIlLb0ELi512ELi8ELb1E16rocblas_bfloat16PKS0_fEviT5_lT_liPT6_PT4_,comdat
.Lfunc_end545:
	.size	_ZL24rocblas_dot_kernel_magsqIlLb0ELi512ELi8ELb1E16rocblas_bfloat16PKS0_fEviT5_lT_liPT6_PT4_, .Lfunc_end545-_ZL24rocblas_dot_kernel_magsqIlLb0ELi512ELi8ELb1E16rocblas_bfloat16PKS0_fEviT5_lT_liPT6_PT4_
                                        ; -- End function
	.section	.AMDGPU.csdata,"",@progbits
; Kernel info:
; codeLenInByte = 1028
; NumSgprs: 24
; NumVgprs: 9
; ScratchSize: 0
; MemoryBound: 0
; FloatMode: 240
; IeeeMode: 1
; LDSByteSize: 128 bytes/workgroup (compile time only)
; SGPRBlocks: 2
; VGPRBlocks: 1
; NumSGPRsForWavesPerEU: 24
; NumVGPRsForWavesPerEU: 9
; Occupancy: 16
; WaveLimiterHint : 0
; COMPUTE_PGM_RSRC2:SCRATCH_EN: 0
; COMPUTE_PGM_RSRC2:USER_SGPR: 14
; COMPUTE_PGM_RSRC2:TRAP_HANDLER: 0
; COMPUTE_PGM_RSRC2:TGID_X_EN: 1
; COMPUTE_PGM_RSRC2:TGID_Y_EN: 0
; COMPUTE_PGM_RSRC2:TGID_Z_EN: 1
; COMPUTE_PGM_RSRC2:TIDIG_COMP_CNT: 0
	.section	.text._ZL28rocblas_dot_batched_4_kernelIiLi32ELi4ELb1Ef16rocblas_bfloat16PKPKS0_EviT5_lT_lS5_lS6_liPT4_,"axG",@progbits,_ZL28rocblas_dot_batched_4_kernelIiLi32ELi4ELb1Ef16rocblas_bfloat16PKPKS0_EviT5_lT_lS5_lS6_liPT4_,comdat
	.globl	_ZL28rocblas_dot_batched_4_kernelIiLi32ELi4ELb1Ef16rocblas_bfloat16PKPKS0_EviT5_lT_lS5_lS6_liPT4_ ; -- Begin function _ZL28rocblas_dot_batched_4_kernelIiLi32ELi4ELb1Ef16rocblas_bfloat16PKPKS0_EviT5_lT_lS5_lS6_liPT4_
	.p2align	8
	.type	_ZL28rocblas_dot_batched_4_kernelIiLi32ELi4ELb1Ef16rocblas_bfloat16PKPKS0_EviT5_lT_lS5_lS6_liPT4_,@function
_ZL28rocblas_dot_batched_4_kernelIiLi32ELi4ELb1Ef16rocblas_bfloat16PKPKS0_EviT5_lT_lS5_lS6_liPT4_: ; @_ZL28rocblas_dot_batched_4_kernelIiLi32ELi4ELb1Ef16rocblas_bfloat16PKPKS0_EviT5_lT_lS5_lS6_liPT4_
; %bb.0:
	s_load_b32 s2, s[0:1], 0x48
	v_bfe_u32 v1, v0, 10, 10
	s_delay_alu instid0(VALU_DEP_1) | instskip(SKIP_1) | instid1(VALU_DEP_1)
	v_lshl_add_u32 v1, s15, 2, v1
	s_waitcnt lgkmcnt(0)
	v_cmp_gt_u32_e32 vcc_lo, s2, v1
	s_and_saveexec_b32 s2, vcc_lo
	s_cbranch_execz .LBB546_11
; %bb.1:
	s_clause 0x1
	s_load_b32 s12, s[0:1], 0x0
	s_load_b64 s[2:3], s[0:1], 0x50
	v_mov_b32_e32 v2, 0
	v_and_b32_e32 v0, 0x3ff, v0
	s_mov_b32 s13, exec_lo
	s_delay_alu instid0(VALU_DEP_2) | instskip(SKIP_1) | instid1(VALU_DEP_2)
	v_mov_b32_e32 v7, v2
	s_waitcnt lgkmcnt(0)
	v_cmpx_gt_i32_e64 s12, v0
	s_cbranch_execz .LBB546_5
; %bb.2:
	s_clause 0x1
	s_load_b128 s[4:7], s[0:1], 0x8
	s_load_b128 s[8:11], s[0:1], 0x28
	v_lshlrev_b64 v[3:4], 3, v[1:2]
	s_clause 0x1
	s_load_b32 s14, s[0:1], 0x18
	s_load_b32 s0, s[0:1], 0x38
	v_mov_b32_e32 v7, 0
	s_waitcnt lgkmcnt(0)
	v_add_co_u32 v5, vcc_lo, s4, v3
	v_add_co_ci_u32_e32 v6, vcc_lo, s5, v4, vcc_lo
	v_add_co_u32 v3, vcc_lo, s8, v3
	v_add_co_ci_u32_e32 v4, vcc_lo, s9, v4, vcc_lo
	v_mad_i64_i32 v[10:11], null, s0, v0, 0
	global_load_b64 v[5:6], v[5:6], off
	global_load_b64 v[8:9], v[3:4], off
	v_mad_i64_i32 v[3:4], null, s14, v0, 0
	s_lshl_b64 s[4:5], s[6:7], 1
	s_lshl_b64 s[6:7], s[10:11], 1
	s_ashr_i32 s15, s14, 31
	v_lshlrev_b64 v[10:11], 1, v[10:11]
	s_ashr_i32 s1, s0, 31
	s_delay_alu instid0(VALU_DEP_2) | instskip(NEXT) | instid1(VALU_DEP_1)
	v_lshlrev_b64 v[3:4], 1, v[3:4]
	v_add_co_u32 v3, vcc_lo, v3, s4
	s_delay_alu instid0(VALU_DEP_2) | instskip(NEXT) | instid1(VALU_DEP_4)
	v_add_co_ci_u32_e32 v4, vcc_lo, s5, v4, vcc_lo
	v_add_co_u32 v10, vcc_lo, v10, s6
	v_add_co_ci_u32_e32 v11, vcc_lo, s7, v11, vcc_lo
	s_lshl_b64 s[4:5], s[14:15], 6
	s_lshl_b64 s[6:7], s[0:1], 6
	s_mov_b32 s1, 0
	s_waitcnt vmcnt(1)
	v_add_co_u32 v3, vcc_lo, v5, v3
	v_add_co_ci_u32_e32 v4, vcc_lo, v6, v4, vcc_lo
	s_waitcnt vmcnt(0)
	v_add_co_u32 v5, vcc_lo, v8, v10
	v_mov_b32_e32 v8, v0
	v_add_co_ci_u32_e32 v6, vcc_lo, v9, v11, vcc_lo
	.p2align	6
.LBB546_3:                              ; =>This Inner Loop Header: Depth=1
	global_load_u16 v9, v[5:6], off
	global_load_u16 v10, v[3:4], off
	v_add_co_u32 v3, vcc_lo, v3, s4
	v_add_co_ci_u32_e32 v4, vcc_lo, s5, v4, vcc_lo
	v_add_co_u32 v5, vcc_lo, v5, s6
	v_add_co_ci_u32_e32 v6, vcc_lo, s7, v6, vcc_lo
	s_waitcnt vmcnt(1)
	v_lshlrev_b32_e32 v9, 16, v9
	s_waitcnt vmcnt(0)
	v_lshlrev_b32_e32 v10, 16, v10
	s_delay_alu instid0(VALU_DEP_1) | instskip(NEXT) | instid1(VALU_DEP_1)
	v_dual_fmac_f32 v7, v10, v9 :: v_dual_add_nc_u32 v8, 32, v8
	v_cmp_le_i32_e64 s0, s12, v8
	s_delay_alu instid0(VALU_DEP_1) | instskip(NEXT) | instid1(SALU_CYCLE_1)
	s_or_b32 s1, s0, s1
	s_and_not1_b32 exec_lo, exec_lo, s1
	s_cbranch_execnz .LBB546_3
; %bb.4:
	s_or_b32 exec_lo, exec_lo, s1
.LBB546_5:
	s_delay_alu instid0(SALU_CYCLE_1)
	s_or_b32 exec_lo, exec_lo, s13
	v_mbcnt_lo_u32_b32 v3, -1, 0
	s_barrier
	buffer_gl0_inv
	v_cmp_gt_u32_e32 vcc_lo, 16, v3
	v_cndmask_b32_e64 v4, 0, 1, vcc_lo
	v_cmp_gt_u32_e32 vcc_lo, 24, v3
	s_delay_alu instid0(VALU_DEP_2) | instskip(SKIP_2) | instid1(VALU_DEP_3)
	v_lshlrev_b32_e32 v4, 4, v4
	v_cndmask_b32_e64 v5, 0, 1, vcc_lo
	v_cmp_gt_u32_e32 vcc_lo, 28, v3
	v_add_lshl_u32 v4, v4, v3, 2
	v_cndmask_b32_e64 v6, 0, 1, vcc_lo
	v_cmp_gt_u32_e32 vcc_lo, 30, v3
	ds_bpermute_b32 v4, v4, v7
	v_lshlrev_b32_e32 v5, 3, v5
	v_lshlrev_b32_e32 v6, 2, v6
	s_delay_alu instid0(VALU_DEP_1)
	v_add_lshl_u32 v6, v6, v3, 2
	s_waitcnt lgkmcnt(0)
	v_add_f32_e32 v4, v7, v4
	v_add_lshl_u32 v5, v5, v3, 2
	ds_bpermute_b32 v5, v5, v4
	s_waitcnt lgkmcnt(0)
	v_add_f32_e32 v4, v4, v5
	ds_bpermute_b32 v5, v6, v4
	v_cndmask_b32_e64 v6, 0, 1, vcc_lo
	v_cmp_ne_u32_e32 vcc_lo, 31, v3
	s_delay_alu instid0(VALU_DEP_2) | instskip(NEXT) | instid1(VALU_DEP_1)
	v_lshlrev_b32_e32 v6, 1, v6
	v_add_lshl_u32 v6, v6, v3, 2
	s_waitcnt lgkmcnt(0)
	v_add_f32_e32 v4, v4, v5
	ds_bpermute_b32 v5, v6, v4
	v_add_co_ci_u32_e32 v6, vcc_lo, 0, v3, vcc_lo
	v_cmp_eq_u32_e32 vcc_lo, 0, v0
	s_waitcnt lgkmcnt(0)
	s_delay_alu instid0(VALU_DEP_2)
	v_dual_add_f32 v3, v4, v5 :: v_dual_lshlrev_b32 v4, 2, v6
	ds_bpermute_b32 v4, v4, v3
	s_and_b32 exec_lo, exec_lo, vcc_lo
	s_cbranch_execz .LBB546_11
; %bb.6:
	s_waitcnt lgkmcnt(0)
	v_add_f32_e32 v3, v3, v4
	s_delay_alu instid0(VALU_DEP_1) | instskip(NEXT) | instid1(VALU_DEP_1)
	v_and_b32_e32 v0, 0x7f800000, v3
	v_cmp_ne_u32_e32 vcc_lo, 0x7f800000, v0
                                        ; implicit-def: $vgpr0
	s_and_saveexec_b32 s0, vcc_lo
	s_delay_alu instid0(SALU_CYCLE_1)
	s_xor_b32 s0, exec_lo, s0
; %bb.7:
	v_bfe_u32 v0, v3, 16, 1
	s_delay_alu instid0(VALU_DEP_1)
	v_add3_u32 v0, v3, v0, 0x7fff
                                        ; implicit-def: $vgpr3
; %bb.8:
	s_and_not1_saveexec_b32 s0, s0
; %bb.9:
	v_and_b32_e32 v0, 0xffff, v3
	v_or_b32_e32 v4, 0x10000, v3
	s_delay_alu instid0(VALU_DEP_2) | instskip(NEXT) | instid1(VALU_DEP_2)
	v_cmp_eq_u32_e32 vcc_lo, 0, v0
	v_cndmask_b32_e32 v0, v4, v3, vcc_lo
; %bb.10:
	s_or_b32 exec_lo, exec_lo, s0
	v_lshlrev_b64 v[1:2], 1, v[1:2]
	s_delay_alu instid0(VALU_DEP_1) | instskip(NEXT) | instid1(VALU_DEP_2)
	v_add_co_u32 v1, vcc_lo, s2, v1
	v_add_co_ci_u32_e32 v2, vcc_lo, s3, v2, vcc_lo
	global_store_d16_hi_b16 v[1:2], v0, off
.LBB546_11:
	s_nop 0
	s_sendmsg sendmsg(MSG_DEALLOC_VGPRS)
	s_endpgm
	.section	.rodata,"a",@progbits
	.p2align	6, 0x0
	.amdhsa_kernel _ZL28rocblas_dot_batched_4_kernelIiLi32ELi4ELb1Ef16rocblas_bfloat16PKPKS0_EviT5_lT_lS5_lS6_liPT4_
		.amdhsa_group_segment_fixed_size 0
		.amdhsa_private_segment_fixed_size 0
		.amdhsa_kernarg_size 88
		.amdhsa_user_sgpr_count 15
		.amdhsa_user_sgpr_dispatch_ptr 0
		.amdhsa_user_sgpr_queue_ptr 0
		.amdhsa_user_sgpr_kernarg_segment_ptr 1
		.amdhsa_user_sgpr_dispatch_id 0
		.amdhsa_user_sgpr_private_segment_size 0
		.amdhsa_wavefront_size32 1
		.amdhsa_uses_dynamic_stack 0
		.amdhsa_enable_private_segment 0
		.amdhsa_system_sgpr_workgroup_id_x 1
		.amdhsa_system_sgpr_workgroup_id_y 0
		.amdhsa_system_sgpr_workgroup_id_z 0
		.amdhsa_system_sgpr_workgroup_info 0
		.amdhsa_system_vgpr_workitem_id 1
		.amdhsa_next_free_vgpr 12
		.amdhsa_next_free_sgpr 16
		.amdhsa_reserve_vcc 1
		.amdhsa_float_round_mode_32 0
		.amdhsa_float_round_mode_16_64 0
		.amdhsa_float_denorm_mode_32 3
		.amdhsa_float_denorm_mode_16_64 3
		.amdhsa_dx10_clamp 1
		.amdhsa_ieee_mode 1
		.amdhsa_fp16_overflow 0
		.amdhsa_workgroup_processor_mode 1
		.amdhsa_memory_ordered 1
		.amdhsa_forward_progress 0
		.amdhsa_shared_vgpr_count 0
		.amdhsa_exception_fp_ieee_invalid_op 0
		.amdhsa_exception_fp_denorm_src 0
		.amdhsa_exception_fp_ieee_div_zero 0
		.amdhsa_exception_fp_ieee_overflow 0
		.amdhsa_exception_fp_ieee_underflow 0
		.amdhsa_exception_fp_ieee_inexact 0
		.amdhsa_exception_int_div_zero 0
	.end_amdhsa_kernel
	.section	.text._ZL28rocblas_dot_batched_4_kernelIiLi32ELi4ELb1Ef16rocblas_bfloat16PKPKS0_EviT5_lT_lS5_lS6_liPT4_,"axG",@progbits,_ZL28rocblas_dot_batched_4_kernelIiLi32ELi4ELb1Ef16rocblas_bfloat16PKPKS0_EviT5_lT_lS5_lS6_liPT4_,comdat
.Lfunc_end546:
	.size	_ZL28rocblas_dot_batched_4_kernelIiLi32ELi4ELb1Ef16rocblas_bfloat16PKPKS0_EviT5_lT_lS5_lS6_liPT4_, .Lfunc_end546-_ZL28rocblas_dot_batched_4_kernelIiLi32ELi4ELb1Ef16rocblas_bfloat16PKPKS0_EviT5_lT_lS5_lS6_liPT4_
                                        ; -- End function
	.section	.AMDGPU.csdata,"",@progbits
; Kernel info:
; codeLenInByte = 804
; NumSgprs: 18
; NumVgprs: 12
; ScratchSize: 0
; MemoryBound: 0
; FloatMode: 240
; IeeeMode: 1
; LDSByteSize: 0 bytes/workgroup (compile time only)
; SGPRBlocks: 2
; VGPRBlocks: 1
; NumSGPRsForWavesPerEU: 18
; NumVGPRsForWavesPerEU: 12
; Occupancy: 16
; WaveLimiterHint : 0
; COMPUTE_PGM_RSRC2:SCRATCH_EN: 0
; COMPUTE_PGM_RSRC2:USER_SGPR: 15
; COMPUTE_PGM_RSRC2:TRAP_HANDLER: 0
; COMPUTE_PGM_RSRC2:TGID_X_EN: 1
; COMPUTE_PGM_RSRC2:TGID_Y_EN: 0
; COMPUTE_PGM_RSRC2:TGID_Z_EN: 0
; COMPUTE_PGM_RSRC2:TIDIG_COMP_CNT: 1
	.section	.text._ZL28rocblas_dot_batched_4_kernelIiLi64ELi4ELb1Ef16rocblas_bfloat16PKPKS0_EviT5_lT_lS5_lS6_liPT4_,"axG",@progbits,_ZL28rocblas_dot_batched_4_kernelIiLi64ELi4ELb1Ef16rocblas_bfloat16PKPKS0_EviT5_lT_lS5_lS6_liPT4_,comdat
	.globl	_ZL28rocblas_dot_batched_4_kernelIiLi64ELi4ELb1Ef16rocblas_bfloat16PKPKS0_EviT5_lT_lS5_lS6_liPT4_ ; -- Begin function _ZL28rocblas_dot_batched_4_kernelIiLi64ELi4ELb1Ef16rocblas_bfloat16PKPKS0_EviT5_lT_lS5_lS6_liPT4_
	.p2align	8
	.type	_ZL28rocblas_dot_batched_4_kernelIiLi64ELi4ELb1Ef16rocblas_bfloat16PKPKS0_EviT5_lT_lS5_lS6_liPT4_,@function
_ZL28rocblas_dot_batched_4_kernelIiLi64ELi4ELb1Ef16rocblas_bfloat16PKPKS0_EviT5_lT_lS5_lS6_liPT4_: ; @_ZL28rocblas_dot_batched_4_kernelIiLi64ELi4ELb1Ef16rocblas_bfloat16PKPKS0_EviT5_lT_lS5_lS6_liPT4_
; %bb.0:
	s_load_b32 s2, s[0:1], 0x48
	v_bfe_u32 v1, v0, 10, 10
	s_delay_alu instid0(VALU_DEP_1) | instskip(SKIP_1) | instid1(VALU_DEP_1)
	v_lshl_add_u32 v1, s15, 2, v1
	s_waitcnt lgkmcnt(0)
	v_cmp_gt_u32_e32 vcc_lo, s2, v1
	s_and_saveexec_b32 s2, vcc_lo
	s_cbranch_execz .LBB547_11
; %bb.1:
	s_clause 0x1
	s_load_b32 s12, s[0:1], 0x0
	s_load_b64 s[2:3], s[0:1], 0x50
	v_mov_b32_e32 v2, 0
	v_and_b32_e32 v0, 0x3ff, v0
	s_mov_b32 s13, exec_lo
	s_delay_alu instid0(VALU_DEP_2) | instskip(SKIP_1) | instid1(VALU_DEP_2)
	v_mov_b32_e32 v7, v2
	s_waitcnt lgkmcnt(0)
	v_cmpx_gt_i32_e64 s12, v0
	s_cbranch_execz .LBB547_5
; %bb.2:
	s_clause 0x1
	s_load_b128 s[4:7], s[0:1], 0x8
	s_load_b128 s[8:11], s[0:1], 0x28
	v_lshlrev_b64 v[3:4], 3, v[1:2]
	s_clause 0x1
	s_load_b32 s14, s[0:1], 0x18
	s_load_b32 s0, s[0:1], 0x38
	v_mov_b32_e32 v7, 0
	s_waitcnt lgkmcnt(0)
	v_add_co_u32 v5, vcc_lo, s4, v3
	v_add_co_ci_u32_e32 v6, vcc_lo, s5, v4, vcc_lo
	v_add_co_u32 v3, vcc_lo, s8, v3
	v_add_co_ci_u32_e32 v4, vcc_lo, s9, v4, vcc_lo
	v_mad_i64_i32 v[10:11], null, s0, v0, 0
	global_load_b64 v[5:6], v[5:6], off
	global_load_b64 v[8:9], v[3:4], off
	v_mad_i64_i32 v[3:4], null, s14, v0, 0
	s_lshl_b64 s[4:5], s[6:7], 1
	s_lshl_b64 s[6:7], s[10:11], 1
	s_ashr_i32 s15, s14, 31
	v_lshlrev_b64 v[10:11], 1, v[10:11]
	s_ashr_i32 s1, s0, 31
	s_delay_alu instid0(VALU_DEP_2) | instskip(NEXT) | instid1(VALU_DEP_1)
	v_lshlrev_b64 v[3:4], 1, v[3:4]
	v_add_co_u32 v3, vcc_lo, v3, s4
	s_delay_alu instid0(VALU_DEP_2) | instskip(NEXT) | instid1(VALU_DEP_4)
	v_add_co_ci_u32_e32 v4, vcc_lo, s5, v4, vcc_lo
	v_add_co_u32 v10, vcc_lo, v10, s6
	v_add_co_ci_u32_e32 v11, vcc_lo, s7, v11, vcc_lo
	s_lshl_b64 s[4:5], s[14:15], 7
	s_lshl_b64 s[6:7], s[0:1], 7
	s_mov_b32 s1, 0
	s_waitcnt vmcnt(1)
	v_add_co_u32 v3, vcc_lo, v5, v3
	v_add_co_ci_u32_e32 v4, vcc_lo, v6, v4, vcc_lo
	s_waitcnt vmcnt(0)
	v_add_co_u32 v5, vcc_lo, v8, v10
	v_mov_b32_e32 v8, v0
	v_add_co_ci_u32_e32 v6, vcc_lo, v9, v11, vcc_lo
	.p2align	6
.LBB547_3:                              ; =>This Inner Loop Header: Depth=1
	global_load_u16 v9, v[5:6], off
	global_load_u16 v10, v[3:4], off
	v_add_co_u32 v3, vcc_lo, v3, s4
	v_add_co_ci_u32_e32 v4, vcc_lo, s5, v4, vcc_lo
	v_add_co_u32 v5, vcc_lo, v5, s6
	v_add_co_ci_u32_e32 v6, vcc_lo, s7, v6, vcc_lo
	s_waitcnt vmcnt(1)
	v_lshlrev_b32_e32 v9, 16, v9
	s_waitcnt vmcnt(0)
	v_lshlrev_b32_e32 v10, 16, v10
	s_delay_alu instid0(VALU_DEP_1) | instskip(NEXT) | instid1(VALU_DEP_1)
	v_dual_fmac_f32 v7, v10, v9 :: v_dual_add_nc_u32 v8, 64, v8
	v_cmp_le_i32_e64 s0, s12, v8
	s_delay_alu instid0(VALU_DEP_1) | instskip(NEXT) | instid1(SALU_CYCLE_1)
	s_or_b32 s1, s0, s1
	s_and_not1_b32 exec_lo, exec_lo, s1
	s_cbranch_execnz .LBB547_3
; %bb.4:
	s_or_b32 exec_lo, exec_lo, s1
.LBB547_5:
	s_delay_alu instid0(SALU_CYCLE_1)
	s_or_b32 exec_lo, exec_lo, s13
	v_mbcnt_lo_u32_b32 v3, -1, 0
	s_barrier
	buffer_gl0_inv
	v_lshlrev_b32_e32 v4, 2, v3
	v_cmp_gt_u32_e32 vcc_lo, 16, v3
	ds_bpermute_b32 v4, v4, v7
	v_cndmask_b32_e64 v5, 0, 1, vcc_lo
	v_cmp_gt_u32_e32 vcc_lo, 24, v3
	s_delay_alu instid0(VALU_DEP_2) | instskip(SKIP_2) | instid1(VALU_DEP_2)
	v_lshlrev_b32_e32 v5, 4, v5
	v_cndmask_b32_e64 v6, 0, 1, vcc_lo
	v_cmp_gt_u32_e32 vcc_lo, 28, v3
	v_lshlrev_b32_e32 v6, 3, v6
	s_delay_alu instid0(VALU_DEP_1)
	v_add_lshl_u32 v6, v6, v3, 2
	s_waitcnt lgkmcnt(0)
	v_add_f32_e32 v4, v7, v4
	v_add_lshl_u32 v5, v5, v3, 2
	ds_bpermute_b32 v5, v5, v4
	s_waitcnt lgkmcnt(0)
	v_add_f32_e32 v4, v4, v5
	ds_bpermute_b32 v5, v6, v4
	v_cndmask_b32_e64 v6, 0, 1, vcc_lo
	v_cmp_gt_u32_e32 vcc_lo, 30, v3
	s_delay_alu instid0(VALU_DEP_2) | instskip(NEXT) | instid1(VALU_DEP_1)
	v_lshlrev_b32_e32 v6, 2, v6
	v_add_lshl_u32 v6, v6, v3, 2
	s_waitcnt lgkmcnt(0)
	v_add_f32_e32 v4, v4, v5
	ds_bpermute_b32 v5, v6, v4
	v_cndmask_b32_e64 v6, 0, 1, vcc_lo
	v_cmp_ne_u32_e32 vcc_lo, 31, v3
	s_delay_alu instid0(VALU_DEP_2) | instskip(NEXT) | instid1(VALU_DEP_1)
	v_lshlrev_b32_e32 v6, 1, v6
	v_add_lshl_u32 v6, v6, v3, 2
	s_waitcnt lgkmcnt(0)
	v_add_f32_e32 v4, v4, v5
	ds_bpermute_b32 v5, v6, v4
	v_add_co_ci_u32_e32 v6, vcc_lo, 0, v3, vcc_lo
	v_cmp_eq_u32_e32 vcc_lo, 0, v0
	s_waitcnt lgkmcnt(0)
	s_delay_alu instid0(VALU_DEP_2)
	v_dual_add_f32 v3, v4, v5 :: v_dual_lshlrev_b32 v4, 2, v6
	ds_bpermute_b32 v4, v4, v3
	s_and_b32 exec_lo, exec_lo, vcc_lo
	s_cbranch_execz .LBB547_11
; %bb.6:
	s_waitcnt lgkmcnt(0)
	v_add_f32_e32 v3, v3, v4
	s_delay_alu instid0(VALU_DEP_1) | instskip(NEXT) | instid1(VALU_DEP_1)
	v_and_b32_e32 v0, 0x7f800000, v3
	v_cmp_ne_u32_e32 vcc_lo, 0x7f800000, v0
                                        ; implicit-def: $vgpr0
	s_and_saveexec_b32 s0, vcc_lo
	s_delay_alu instid0(SALU_CYCLE_1)
	s_xor_b32 s0, exec_lo, s0
; %bb.7:
	v_bfe_u32 v0, v3, 16, 1
	s_delay_alu instid0(VALU_DEP_1)
	v_add3_u32 v0, v3, v0, 0x7fff
                                        ; implicit-def: $vgpr3
; %bb.8:
	s_and_not1_saveexec_b32 s0, s0
; %bb.9:
	v_and_b32_e32 v0, 0xffff, v3
	v_or_b32_e32 v4, 0x10000, v3
	s_delay_alu instid0(VALU_DEP_2) | instskip(NEXT) | instid1(VALU_DEP_2)
	v_cmp_eq_u32_e32 vcc_lo, 0, v0
	v_cndmask_b32_e32 v0, v4, v3, vcc_lo
; %bb.10:
	s_or_b32 exec_lo, exec_lo, s0
	v_lshlrev_b64 v[1:2], 1, v[1:2]
	s_delay_alu instid0(VALU_DEP_1) | instskip(NEXT) | instid1(VALU_DEP_2)
	v_add_co_u32 v1, vcc_lo, s2, v1
	v_add_co_ci_u32_e32 v2, vcc_lo, s3, v2, vcc_lo
	global_store_d16_hi_b16 v[1:2], v0, off
.LBB547_11:
	s_nop 0
	s_sendmsg sendmsg(MSG_DEALLOC_VGPRS)
	s_endpgm
	.section	.rodata,"a",@progbits
	.p2align	6, 0x0
	.amdhsa_kernel _ZL28rocblas_dot_batched_4_kernelIiLi64ELi4ELb1Ef16rocblas_bfloat16PKPKS0_EviT5_lT_lS5_lS6_liPT4_
		.amdhsa_group_segment_fixed_size 0
		.amdhsa_private_segment_fixed_size 0
		.amdhsa_kernarg_size 88
		.amdhsa_user_sgpr_count 15
		.amdhsa_user_sgpr_dispatch_ptr 0
		.amdhsa_user_sgpr_queue_ptr 0
		.amdhsa_user_sgpr_kernarg_segment_ptr 1
		.amdhsa_user_sgpr_dispatch_id 0
		.amdhsa_user_sgpr_private_segment_size 0
		.amdhsa_wavefront_size32 1
		.amdhsa_uses_dynamic_stack 0
		.amdhsa_enable_private_segment 0
		.amdhsa_system_sgpr_workgroup_id_x 1
		.amdhsa_system_sgpr_workgroup_id_y 0
		.amdhsa_system_sgpr_workgroup_id_z 0
		.amdhsa_system_sgpr_workgroup_info 0
		.amdhsa_system_vgpr_workitem_id 1
		.amdhsa_next_free_vgpr 12
		.amdhsa_next_free_sgpr 16
		.amdhsa_reserve_vcc 1
		.amdhsa_float_round_mode_32 0
		.amdhsa_float_round_mode_16_64 0
		.amdhsa_float_denorm_mode_32 3
		.amdhsa_float_denorm_mode_16_64 3
		.amdhsa_dx10_clamp 1
		.amdhsa_ieee_mode 1
		.amdhsa_fp16_overflow 0
		.amdhsa_workgroup_processor_mode 1
		.amdhsa_memory_ordered 1
		.amdhsa_forward_progress 0
		.amdhsa_shared_vgpr_count 0
		.amdhsa_exception_fp_ieee_invalid_op 0
		.amdhsa_exception_fp_denorm_src 0
		.amdhsa_exception_fp_ieee_div_zero 0
		.amdhsa_exception_fp_ieee_overflow 0
		.amdhsa_exception_fp_ieee_underflow 0
		.amdhsa_exception_fp_ieee_inexact 0
		.amdhsa_exception_int_div_zero 0
	.end_amdhsa_kernel
	.section	.text._ZL28rocblas_dot_batched_4_kernelIiLi64ELi4ELb1Ef16rocblas_bfloat16PKPKS0_EviT5_lT_lS5_lS6_liPT4_,"axG",@progbits,_ZL28rocblas_dot_batched_4_kernelIiLi64ELi4ELb1Ef16rocblas_bfloat16PKPKS0_EviT5_lT_lS5_lS6_liPT4_,comdat
.Lfunc_end547:
	.size	_ZL28rocblas_dot_batched_4_kernelIiLi64ELi4ELb1Ef16rocblas_bfloat16PKPKS0_EviT5_lT_lS5_lS6_liPT4_, .Lfunc_end547-_ZL28rocblas_dot_batched_4_kernelIiLi64ELi4ELb1Ef16rocblas_bfloat16PKPKS0_EviT5_lT_lS5_lS6_liPT4_
                                        ; -- End function
	.section	.AMDGPU.csdata,"",@progbits
; Kernel info:
; codeLenInByte = 828
; NumSgprs: 18
; NumVgprs: 12
; ScratchSize: 0
; MemoryBound: 0
; FloatMode: 240
; IeeeMode: 1
; LDSByteSize: 0 bytes/workgroup (compile time only)
; SGPRBlocks: 2
; VGPRBlocks: 1
; NumSGPRsForWavesPerEU: 18
; NumVGPRsForWavesPerEU: 12
; Occupancy: 16
; WaveLimiterHint : 0
; COMPUTE_PGM_RSRC2:SCRATCH_EN: 0
; COMPUTE_PGM_RSRC2:USER_SGPR: 15
; COMPUTE_PGM_RSRC2:TRAP_HANDLER: 0
; COMPUTE_PGM_RSRC2:TGID_X_EN: 1
; COMPUTE_PGM_RSRC2:TGID_Y_EN: 0
; COMPUTE_PGM_RSRC2:TGID_Z_EN: 0
; COMPUTE_PGM_RSRC2:TIDIG_COMP_CNT: 1
	.section	.text._ZL26rocblas_dot_kernel_inc1by2ILb1ELi1024ELi32ELb1E16rocblas_bfloat16PKPKS0_fEviT4_llS5_lliPT5_PT3_,"axG",@progbits,_ZL26rocblas_dot_kernel_inc1by2ILb1ELi1024ELi32ELb1E16rocblas_bfloat16PKPKS0_fEviT4_llS5_lliPT5_PT3_,comdat
	.globl	_ZL26rocblas_dot_kernel_inc1by2ILb1ELi1024ELi32ELb1E16rocblas_bfloat16PKPKS0_fEviT4_llS5_lliPT5_PT3_ ; -- Begin function _ZL26rocblas_dot_kernel_inc1by2ILb1ELi1024ELi32ELb1E16rocblas_bfloat16PKPKS0_fEviT4_llS5_lliPT5_PT3_
	.p2align	8
	.type	_ZL26rocblas_dot_kernel_inc1by2ILb1ELi1024ELi32ELb1E16rocblas_bfloat16PKPKS0_fEviT4_llS5_lliPT5_PT3_,@function
_ZL26rocblas_dot_kernel_inc1by2ILb1ELi1024ELi32ELb1E16rocblas_bfloat16PKPKS0_fEviT4_llS5_lliPT5_PT3_: ; @_ZL26rocblas_dot_kernel_inc1by2ILb1ELi1024ELi32ELb1E16rocblas_bfloat16PKPKS0_fEviT4_llS5_lliPT5_PT3_
; %bb.0:
	s_clause 0x1
	s_load_b128 s[8:11], s[0:1], 0x8
	s_load_b128 s[4:7], s[0:1], 0x20
	s_mov_b32 s2, s15
	s_mov_b32 s3, 0
	s_clause 0x1
	s_load_b32 s14, s[0:1], 0x0
	s_load_b64 s[12:13], s[0:1], 0x48
	s_lshl_b64 s[16:17], s[2:3], 3
	v_dual_mov_b32 v5, 0 :: v_dual_lshlrev_b32 v6, 1, v0
	s_waitcnt lgkmcnt(0)
	s_add_u32 s0, s8, s16
	s_addc_u32 s1, s9, s17
	s_add_u32 s4, s4, s16
	s_addc_u32 s5, s5, s17
	s_load_b64 s[8:9], s[0:1], 0x0
	s_load_b64 s[4:5], s[4:5], 0x0
	s_add_i32 s0, s14, -1
	s_mov_b32 s1, exec_lo
	v_cmpx_gt_i32_e64 s0, v6
	s_cbranch_execz .LBB548_4
; %bb.1:
	v_lshlrev_b32_e32 v3, 2, v0
	s_lshl_b64 s[16:17], s[6:7], 1
	v_mov_b32_e32 v5, 0
	s_waitcnt lgkmcnt(0)
	s_add_u32 s15, s4, s16
	s_addc_u32 s18, s5, s17
	s_lshl_b64 s[16:17], s[10:11], 1
	v_add_co_u32 v1, s15, s15, v3
	s_delay_alu instid0(VALU_DEP_1) | instskip(SKIP_3) | instid1(VALU_DEP_1)
	v_add_co_ci_u32_e64 v2, null, s18, 0, s15
	s_add_u32 s15, s8, s16
	s_addc_u32 s16, s9, s17
	v_add_co_u32 v3, s15, s15, v3
	v_add_co_ci_u32_e64 v4, null, s16, 0, s15
	s_mov_b32 s15, s3
	s_mov_b32 s16, s3
	.p2align	6
.LBB548_2:                              ; =>This Inner Loop Header: Depth=1
	global_load_b32 v7, v[1:2], off
	global_load_b32 v8, v[3:4], off
	v_add_co_u32 v1, vcc_lo, 0x1000, v1
	v_add_co_ci_u32_e32 v2, vcc_lo, 0, v2, vcc_lo
	v_add_co_u32 v3, vcc_lo, 0x1000, v3
	v_add_co_ci_u32_e32 v4, vcc_lo, 0, v4, vcc_lo
	s_add_i32 s17, s16, 1
	s_cmp_gt_u32 s16, 30
	s_cselect_b32 s16, -1, 0
	s_waitcnt vmcnt(1)
	v_lshlrev_b32_e32 v9, 16, v7
	s_waitcnt vmcnt(0)
	v_lshlrev_b32_e32 v10, 16, v8
	v_and_b32_e32 v7, 0xffff0000, v7
	s_delay_alu instid0(VALU_DEP_2) | instskip(NEXT) | instid1(VALU_DEP_1)
	v_dual_fmac_f32 v5, v9, v10 :: v_dual_and_b32 v8, 0xffff0000, v8
	v_dual_fmac_f32 v5, v7, v8 :: v_dual_add_nc_u32 v6, 0x800, v6
	s_delay_alu instid0(VALU_DEP_1) | instskip(SKIP_1) | instid1(SALU_CYCLE_1)
	v_cmp_le_i32_e32 vcc_lo, s0, v6
	s_or_b32 s16, s16, vcc_lo
	s_and_b32 s16, exec_lo, s16
	s_delay_alu instid0(SALU_CYCLE_1)
	s_or_b32 s15, s16, s15
	s_mov_b32 s16, s17
	s_and_not1_b32 exec_lo, exec_lo, s15
	s_cbranch_execnz .LBB548_2
; %bb.3:
	s_or_b32 exec_lo, exec_lo, s15
.LBB548_4:
	s_delay_alu instid0(SALU_CYCLE_1) | instskip(SKIP_3) | instid1(SALU_CYCLE_1)
	s_or_b32 exec_lo, exec_lo, s1
	v_cmp_eq_u32_e32 vcc_lo, s0, v6
	s_bitcmp1_b32 s14, 0
	s_cselect_b32 s1, -1, 0
	s_and_b32 s1, s1, vcc_lo
	s_delay_alu instid0(SALU_CYCLE_1)
	s_and_saveexec_b32 s14, s1
	s_cbranch_execz .LBB548_6
; %bb.5:
	s_lshl_b64 s[10:11], s[10:11], 1
	s_mov_b32 s1, 0
	s_waitcnt lgkmcnt(0)
	s_add_u32 s8, s8, s10
	s_addc_u32 s9, s9, s11
	s_lshl_b64 s[6:7], s[6:7], 1
	v_mov_b32_e32 v1, 0
	s_add_u32 s4, s4, s6
	s_addc_u32 s5, s5, s7
	s_lshl_b64 s[0:1], s[0:1], 1
	s_delay_alu instid0(SALU_CYCLE_1)
	s_add_u32 s4, s4, s0
	s_addc_u32 s5, s5, s1
	s_add_u32 s0, s8, s0
	s_addc_u32 s1, s9, s1
	s_clause 0x1
	global_load_u16 v2, v1, s[0:1]
	global_load_u16 v1, v1, s[4:5]
	s_waitcnt vmcnt(1)
	v_lshlrev_b32_e32 v2, 16, v2
	s_waitcnt vmcnt(0)
	v_lshlrev_b32_e32 v1, 16, v1
	s_delay_alu instid0(VALU_DEP_1)
	v_fmac_f32_e32 v5, v1, v2
.LBB548_6:
	s_or_b32 exec_lo, exec_lo, s14
	v_and_b32_e32 v8, 31, v0
	v_cmp_gt_u32_e32 vcc_lo, 32, v0
	s_delay_alu instid0(VALU_DEP_2)
	v_lshlrev_b32_e32 v1, 2, v8
	s_and_saveexec_b32 s0, vcc_lo
	s_cbranch_execz .LBB548_8
; %bb.7:
	v_mov_b32_e32 v2, 0
	ds_store_b32 v1, v2
.LBB548_8:
	s_or_b32 exec_lo, exec_lo, s0
	v_mbcnt_lo_u32_b32 v7, -1, 0
	s_mov_b32 s1, exec_lo
	s_waitcnt lgkmcnt(0)
	s_barrier
	buffer_gl0_inv
	v_cmp_gt_u32_e64 s0, 16, v7
	s_delay_alu instid0(VALU_DEP_1) | instskip(SKIP_1) | instid1(VALU_DEP_2)
	v_cndmask_b32_e64 v2, 0, 1, s0
	v_cmp_gt_u32_e64 s0, 24, v7
	v_lshlrev_b32_e32 v2, 4, v2
	s_delay_alu instid0(VALU_DEP_2) | instskip(SKIP_1) | instid1(VALU_DEP_3)
	v_cndmask_b32_e64 v3, 0, 1, s0
	v_cmp_gt_u32_e64 s0, 28, v7
	v_add_lshl_u32 v2, v2, v7, 2
	s_delay_alu instid0(VALU_DEP_3)
	v_lshlrev_b32_e32 v3, 3, v3
	ds_bpermute_b32 v4, v2, v5
	v_add_lshl_u32 v3, v3, v7, 2
	s_waitcnt lgkmcnt(0)
	v_add_f32_e32 v5, v5, v4
	v_cndmask_b32_e64 v4, 0, 1, s0
	v_cmp_gt_u32_e64 s0, 30, v7
	ds_bpermute_b32 v6, v3, v5
	s_waitcnt lgkmcnt(0)
	v_dual_add_f32 v5, v5, v6 :: v_dual_lshlrev_b32 v4, 2, v4
	s_delay_alu instid0(VALU_DEP_1)
	v_add_lshl_u32 v4, v4, v7, 2
	v_cndmask_b32_e64 v6, 0, 1, s0
	v_cmp_ne_u32_e64 s0, 31, v7
	ds_bpermute_b32 v9, v4, v5
	s_waitcnt lgkmcnt(0)
	v_dual_add_f32 v5, v5, v9 :: v_dual_lshlrev_b32 v6, 1, v6
	s_delay_alu instid0(VALU_DEP_1)
	v_add_lshl_u32 v6, v6, v7, 2
	v_add_co_ci_u32_e64 v7, s0, 0, v7, s0
	ds_bpermute_b32 v9, v6, v5
	v_lshlrev_b32_e32 v7, 2, v7
	s_waitcnt lgkmcnt(0)
	v_add_f32_e32 v5, v5, v9
	ds_bpermute_b32 v9, v7, v5
	v_cmpx_eq_u32_e32 0, v8
	s_cbranch_execz .LBB548_10
; %bb.9:
	v_lshrrev_b32_e32 v8, 3, v0
	s_waitcnt lgkmcnt(0)
	s_delay_alu instid0(VALU_DEP_1)
	v_dual_add_f32 v5, v5, v9 :: v_dual_and_b32 v8, 0x7c, v8
	ds_store_b32 v8, v5
.LBB548_10:
	s_or_b32 exec_lo, exec_lo, s1
	v_mov_b32_e32 v5, 0
	s_waitcnt lgkmcnt(0)
	s_barrier
	buffer_gl0_inv
	s_and_saveexec_b32 s0, vcc_lo
	s_cbranch_execz .LBB548_12
; %bb.11:
	ds_load_b32 v5, v1
.LBB548_12:
	s_or_b32 exec_lo, exec_lo, s0
	s_and_saveexec_b32 s0, vcc_lo
	s_cbranch_execz .LBB548_14
; %bb.13:
	s_waitcnt lgkmcnt(0)
	ds_bpermute_b32 v1, v2, v5
	s_waitcnt lgkmcnt(0)
	v_add_f32_e32 v1, v5, v1
	ds_bpermute_b32 v2, v3, v1
	s_waitcnt lgkmcnt(0)
	v_add_f32_e32 v1, v1, v2
	;; [unrolled: 3-line block ×5, first 2 shown]
.LBB548_14:
	s_or_b32 exec_lo, exec_lo, s0
	s_delay_alu instid0(SALU_CYCLE_1)
	s_mov_b32 s0, exec_lo
	v_cmpx_eq_u32_e32 0, v0
	s_cbranch_execz .LBB548_20
; %bb.15:
	s_waitcnt lgkmcnt(0)
	v_and_b32_e32 v0, 0x7f800000, v5
	s_delay_alu instid0(VALU_DEP_1) | instskip(SKIP_1) | instid1(SALU_CYCLE_1)
	v_cmp_ne_u32_e32 vcc_lo, 0x7f800000, v0
                                        ; implicit-def: $vgpr0
	s_and_saveexec_b32 s0, vcc_lo
	s_xor_b32 s0, exec_lo, s0
; %bb.16:
	v_bfe_u32 v0, v5, 16, 1
	s_delay_alu instid0(VALU_DEP_1)
	v_add3_u32 v0, v5, v0, 0x7fff
                                        ; implicit-def: $vgpr5
; %bb.17:
	s_and_not1_saveexec_b32 s0, s0
; %bb.18:
	v_and_b32_e32 v0, 0xffff, v5
	v_or_b32_e32 v1, 0x10000, v5
	s_delay_alu instid0(VALU_DEP_2) | instskip(NEXT) | instid1(VALU_DEP_2)
	v_cmp_eq_u32_e32 vcc_lo, 0, v0
	v_cndmask_b32_e32 v0, v1, v5, vcc_lo
; %bb.19:
	s_or_b32 exec_lo, exec_lo, s0
	s_lshl_b64 s[0:1], s[2:3], 1
	v_mov_b32_e32 v1, 0
	s_add_u32 s0, s12, s0
	s_addc_u32 s1, s13, s1
	global_store_d16_hi_b16 v1, v0, s[0:1]
.LBB548_20:
	s_nop 0
	s_sendmsg sendmsg(MSG_DEALLOC_VGPRS)
	s_endpgm
	.section	.rodata,"a",@progbits
	.p2align	6, 0x0
	.amdhsa_kernel _ZL26rocblas_dot_kernel_inc1by2ILb1ELi1024ELi32ELb1E16rocblas_bfloat16PKPKS0_fEviT4_llS5_lliPT5_PT3_
		.amdhsa_group_segment_fixed_size 128
		.amdhsa_private_segment_fixed_size 0
		.amdhsa_kernarg_size 80
		.amdhsa_user_sgpr_count 14
		.amdhsa_user_sgpr_dispatch_ptr 0
		.amdhsa_user_sgpr_queue_ptr 0
		.amdhsa_user_sgpr_kernarg_segment_ptr 1
		.amdhsa_user_sgpr_dispatch_id 0
		.amdhsa_user_sgpr_private_segment_size 0
		.amdhsa_wavefront_size32 1
		.amdhsa_uses_dynamic_stack 0
		.amdhsa_enable_private_segment 0
		.amdhsa_system_sgpr_workgroup_id_x 1
		.amdhsa_system_sgpr_workgroup_id_y 0
		.amdhsa_system_sgpr_workgroup_id_z 1
		.amdhsa_system_sgpr_workgroup_info 0
		.amdhsa_system_vgpr_workitem_id 0
		.amdhsa_next_free_vgpr 11
		.amdhsa_next_free_sgpr 19
		.amdhsa_reserve_vcc 1
		.amdhsa_float_round_mode_32 0
		.amdhsa_float_round_mode_16_64 0
		.amdhsa_float_denorm_mode_32 3
		.amdhsa_float_denorm_mode_16_64 3
		.amdhsa_dx10_clamp 1
		.amdhsa_ieee_mode 1
		.amdhsa_fp16_overflow 0
		.amdhsa_workgroup_processor_mode 1
		.amdhsa_memory_ordered 1
		.amdhsa_forward_progress 0
		.amdhsa_shared_vgpr_count 0
		.amdhsa_exception_fp_ieee_invalid_op 0
		.amdhsa_exception_fp_denorm_src 0
		.amdhsa_exception_fp_ieee_div_zero 0
		.amdhsa_exception_fp_ieee_overflow 0
		.amdhsa_exception_fp_ieee_underflow 0
		.amdhsa_exception_fp_ieee_inexact 0
		.amdhsa_exception_int_div_zero 0
	.end_amdhsa_kernel
	.section	.text._ZL26rocblas_dot_kernel_inc1by2ILb1ELi1024ELi32ELb1E16rocblas_bfloat16PKPKS0_fEviT4_llS5_lliPT5_PT3_,"axG",@progbits,_ZL26rocblas_dot_kernel_inc1by2ILb1ELi1024ELi32ELb1E16rocblas_bfloat16PKPKS0_fEviT4_llS5_lliPT5_PT3_,comdat
.Lfunc_end548:
	.size	_ZL26rocblas_dot_kernel_inc1by2ILb1ELi1024ELi32ELb1E16rocblas_bfloat16PKPKS0_fEviT4_llS5_lliPT5_PT3_, .Lfunc_end548-_ZL26rocblas_dot_kernel_inc1by2ILb1ELi1024ELi32ELb1E16rocblas_bfloat16PKPKS0_fEviT4_llS5_lliPT5_PT3_
                                        ; -- End function
	.section	.AMDGPU.csdata,"",@progbits
; Kernel info:
; codeLenInByte = 1108
; NumSgprs: 21
; NumVgprs: 11
; ScratchSize: 0
; MemoryBound: 0
; FloatMode: 240
; IeeeMode: 1
; LDSByteSize: 128 bytes/workgroup (compile time only)
; SGPRBlocks: 2
; VGPRBlocks: 1
; NumSGPRsForWavesPerEU: 21
; NumVGPRsForWavesPerEU: 11
; Occupancy: 16
; WaveLimiterHint : 1
; COMPUTE_PGM_RSRC2:SCRATCH_EN: 0
; COMPUTE_PGM_RSRC2:USER_SGPR: 14
; COMPUTE_PGM_RSRC2:TRAP_HANDLER: 0
; COMPUTE_PGM_RSRC2:TGID_X_EN: 1
; COMPUTE_PGM_RSRC2:TGID_Y_EN: 0
; COMPUTE_PGM_RSRC2:TGID_Z_EN: 1
; COMPUTE_PGM_RSRC2:TIDIG_COMP_CNT: 0
	.section	.text._ZL18rocblas_dot_kernelIiLb1ELi1024ELi32ELb1E16rocblas_bfloat16PKPKS0_fEviT5_lT_lS5_lS6_liPT6_PT4_,"axG",@progbits,_ZL18rocblas_dot_kernelIiLb1ELi1024ELi32ELb1E16rocblas_bfloat16PKPKS0_fEviT5_lT_lS5_lS6_liPT6_PT4_,comdat
	.globl	_ZL18rocblas_dot_kernelIiLb1ELi1024ELi32ELb1E16rocblas_bfloat16PKPKS0_fEviT5_lT_lS5_lS6_liPT6_PT4_ ; -- Begin function _ZL18rocblas_dot_kernelIiLb1ELi1024ELi32ELb1E16rocblas_bfloat16PKPKS0_fEviT5_lT_lS5_lS6_liPT6_PT4_
	.p2align	8
	.type	_ZL18rocblas_dot_kernelIiLb1ELi1024ELi32ELb1E16rocblas_bfloat16PKPKS0_fEviT5_lT_lS5_lS6_liPT6_PT4_,@function
_ZL18rocblas_dot_kernelIiLb1ELi1024ELi32ELb1E16rocblas_bfloat16PKPKS0_fEviT5_lT_lS5_lS6_liPT6_PT4_: ; @_ZL18rocblas_dot_kernelIiLb1ELi1024ELi32ELb1E16rocblas_bfloat16PKPKS0_fEviT5_lT_lS5_lS6_liPT6_PT4_
; %bb.0:
	s_clause 0x1
	s_load_b32 s10, s[0:1], 0x0
	s_load_b64 s[2:3], s[0:1], 0x58
	v_mov_b32_e32 v5, 0
	s_mov_b32 s8, s15
	s_mov_b32 s9, 0
	s_mov_b32 s11, exec_lo
	s_waitcnt lgkmcnt(0)
	v_cmpx_gt_i32_e64 s10, v0
	s_cbranch_execz .LBB549_4
; %bb.1:
	s_clause 0x4
	s_load_b128 s[12:15], s[0:1], 0x8
	s_load_b128 s[4:7], s[0:1], 0x28
	s_load_b32 s18, s[0:1], 0x18
	s_load_b32 s20, s[0:1], 0x38
	;; [unrolled: 1-line block ×3, first 2 shown]
	s_lshl_b64 s[0:1], s[8:9], 3
	v_mov_b32_e32 v5, 0
	s_waitcnt lgkmcnt(0)
	s_add_u32 s12, s12, s0
	s_addc_u32 s13, s13, s1
	s_add_u32 s0, s4, s0
	s_load_b64 s[12:13], s[12:13], 0x0
	s_addc_u32 s1, s5, s1
	v_mad_i64_i32 v[1:2], null, s18, v0, 0
	s_load_b64 s[16:17], s[0:1], 0x0
	v_mad_i64_i32 v[3:4], null, s20, v0, 0
	s_lshl_b32 s1, s19, 10
	s_lshl_b64 s[4:5], s[14:15], 1
	s_mul_hi_i32 s15, s18, s1
	s_delay_alu instid0(VALU_DEP_2) | instskip(SKIP_2) | instid1(VALU_DEP_3)
	v_lshlrev_b64 v[1:2], 1, v[1:2]
	s_mul_i32 s14, s18, s1
	v_or_b32_e32 v6, s1, v0
	v_lshlrev_b64 v[3:4], 1, v[3:4]
	s_mul_hi_i32 s19, s20, s1
	s_mul_i32 s18, s20, s1
	s_waitcnt lgkmcnt(0)
	s_add_u32 s0, s12, s4
	s_addc_u32 s12, s13, s5
	s_lshl_b64 s[6:7], s[6:7], 1
	s_lshl_b64 s[4:5], s[14:15], 1
	v_add_co_u32 v1, vcc_lo, s0, v1
	s_add_u32 s0, s16, s6
	v_add_co_ci_u32_e32 v2, vcc_lo, s12, v2, vcc_lo
	s_addc_u32 s6, s17, s7
	v_add_co_u32 v3, vcc_lo, s0, v3
	v_add_co_ci_u32_e32 v4, vcc_lo, s6, v4, vcc_lo
	s_lshl_b64 s[6:7], s[18:19], 1
	s_mov_b32 s12, s9
	s_mov_b32 s13, s9
	.p2align	6
.LBB549_2:                              ; =>This Inner Loop Header: Depth=1
	global_load_u16 v7, v[1:2], off
	global_load_u16 v8, v[3:4], off
	v_add_co_u32 v1, s0, v1, s4
	s_delay_alu instid0(VALU_DEP_1)
	v_add_co_ci_u32_e64 v2, s0, s5, v2, s0
	s_add_i32 s14, s13, 1
	v_cmp_le_i32_e32 vcc_lo, s10, v6
	v_add_co_u32 v3, s0, v3, s6
	s_cmp_gt_u32 s13, 30
	v_add_co_ci_u32_e64 v4, s0, s7, v4, s0
	s_cselect_b32 s0, -1, 0
	s_mov_b32 s13, s14
	s_or_b32 s0, s0, vcc_lo
	s_delay_alu instid0(SALU_CYCLE_1) | instskip(NEXT) | instid1(SALU_CYCLE_1)
	s_and_b32 s0, exec_lo, s0
	s_or_b32 s12, s0, s12
	s_waitcnt vmcnt(1)
	v_lshlrev_b32_e32 v7, 16, v7
	s_waitcnt vmcnt(0)
	v_lshlrev_b32_e32 v8, 16, v8
	s_delay_alu instid0(VALU_DEP_1)
	v_dual_fmac_f32 v5, v8, v7 :: v_dual_add_nc_u32 v6, s1, v6
	s_and_not1_b32 exec_lo, exec_lo, s12
	s_cbranch_execnz .LBB549_2
; %bb.3:
	s_or_b32 exec_lo, exec_lo, s12
.LBB549_4:
	s_delay_alu instid0(SALU_CYCLE_1) | instskip(SKIP_2) | instid1(VALU_DEP_2)
	s_or_b32 exec_lo, exec_lo, s11
	v_and_b32_e32 v8, 31, v0
	v_cmp_gt_u32_e32 vcc_lo, 32, v0
	v_lshlrev_b32_e32 v1, 2, v8
	s_and_saveexec_b32 s0, vcc_lo
	s_cbranch_execz .LBB549_6
; %bb.5:
	v_mov_b32_e32 v2, 0
	ds_store_b32 v1, v2
.LBB549_6:
	s_or_b32 exec_lo, exec_lo, s0
	v_mbcnt_lo_u32_b32 v7, -1, 0
	s_mov_b32 s1, exec_lo
	s_waitcnt lgkmcnt(0)
	s_barrier
	buffer_gl0_inv
	v_cmp_gt_u32_e64 s0, 16, v7
	s_delay_alu instid0(VALU_DEP_1) | instskip(SKIP_1) | instid1(VALU_DEP_2)
	v_cndmask_b32_e64 v2, 0, 1, s0
	v_cmp_gt_u32_e64 s0, 24, v7
	v_lshlrev_b32_e32 v2, 4, v2
	s_delay_alu instid0(VALU_DEP_2) | instskip(SKIP_1) | instid1(VALU_DEP_3)
	v_cndmask_b32_e64 v3, 0, 1, s0
	v_cmp_gt_u32_e64 s0, 28, v7
	v_add_lshl_u32 v2, v2, v7, 2
	s_delay_alu instid0(VALU_DEP_3)
	v_lshlrev_b32_e32 v3, 3, v3
	ds_bpermute_b32 v4, v2, v5
	v_add_lshl_u32 v3, v3, v7, 2
	s_waitcnt lgkmcnt(0)
	v_add_f32_e32 v5, v5, v4
	v_cndmask_b32_e64 v4, 0, 1, s0
	v_cmp_gt_u32_e64 s0, 30, v7
	ds_bpermute_b32 v6, v3, v5
	s_waitcnt lgkmcnt(0)
	v_dual_add_f32 v5, v5, v6 :: v_dual_lshlrev_b32 v4, 2, v4
	s_delay_alu instid0(VALU_DEP_1)
	v_add_lshl_u32 v4, v4, v7, 2
	v_cndmask_b32_e64 v6, 0, 1, s0
	v_cmp_ne_u32_e64 s0, 31, v7
	ds_bpermute_b32 v9, v4, v5
	s_waitcnt lgkmcnt(0)
	v_dual_add_f32 v5, v5, v9 :: v_dual_lshlrev_b32 v6, 1, v6
	s_delay_alu instid0(VALU_DEP_1)
	v_add_lshl_u32 v6, v6, v7, 2
	v_add_co_ci_u32_e64 v7, s0, 0, v7, s0
	ds_bpermute_b32 v9, v6, v5
	v_lshlrev_b32_e32 v7, 2, v7
	s_waitcnt lgkmcnt(0)
	v_add_f32_e32 v5, v5, v9
	ds_bpermute_b32 v9, v7, v5
	v_cmpx_eq_u32_e32 0, v8
	s_cbranch_execz .LBB549_8
; %bb.7:
	v_lshrrev_b32_e32 v8, 3, v0
	s_waitcnt lgkmcnt(0)
	s_delay_alu instid0(VALU_DEP_1)
	v_dual_add_f32 v5, v5, v9 :: v_dual_and_b32 v8, 0x7c, v8
	ds_store_b32 v8, v5
.LBB549_8:
	s_or_b32 exec_lo, exec_lo, s1
	v_mov_b32_e32 v5, 0
	s_waitcnt lgkmcnt(0)
	s_barrier
	buffer_gl0_inv
	s_and_saveexec_b32 s0, vcc_lo
	s_cbranch_execz .LBB549_10
; %bb.9:
	ds_load_b32 v5, v1
.LBB549_10:
	s_or_b32 exec_lo, exec_lo, s0
	s_and_saveexec_b32 s0, vcc_lo
	s_cbranch_execz .LBB549_12
; %bb.11:
	s_waitcnt lgkmcnt(0)
	ds_bpermute_b32 v1, v2, v5
	s_waitcnt lgkmcnt(0)
	v_add_f32_e32 v1, v5, v1
	ds_bpermute_b32 v2, v3, v1
	s_waitcnt lgkmcnt(0)
	v_add_f32_e32 v1, v1, v2
	;; [unrolled: 3-line block ×5, first 2 shown]
.LBB549_12:
	s_or_b32 exec_lo, exec_lo, s0
	s_delay_alu instid0(SALU_CYCLE_1)
	s_mov_b32 s0, exec_lo
	v_cmpx_eq_u32_e32 0, v0
	s_cbranch_execz .LBB549_18
; %bb.13:
	s_waitcnt lgkmcnt(0)
	v_and_b32_e32 v0, 0x7f800000, v5
	s_delay_alu instid0(VALU_DEP_1) | instskip(SKIP_1) | instid1(SALU_CYCLE_1)
	v_cmp_ne_u32_e32 vcc_lo, 0x7f800000, v0
                                        ; implicit-def: $vgpr0
	s_and_saveexec_b32 s0, vcc_lo
	s_xor_b32 s0, exec_lo, s0
; %bb.14:
	v_bfe_u32 v0, v5, 16, 1
	s_delay_alu instid0(VALU_DEP_1)
	v_add3_u32 v0, v5, v0, 0x7fff
                                        ; implicit-def: $vgpr5
; %bb.15:
	s_and_not1_saveexec_b32 s0, s0
; %bb.16:
	v_and_b32_e32 v0, 0xffff, v5
	v_or_b32_e32 v1, 0x10000, v5
	s_delay_alu instid0(VALU_DEP_2) | instskip(NEXT) | instid1(VALU_DEP_2)
	v_cmp_eq_u32_e32 vcc_lo, 0, v0
	v_cndmask_b32_e32 v0, v1, v5, vcc_lo
; %bb.17:
	s_or_b32 exec_lo, exec_lo, s0
	s_lshl_b64 s[0:1], s[8:9], 1
	v_mov_b32_e32 v1, 0
	s_add_u32 s0, s2, s0
	s_addc_u32 s1, s3, s1
	global_store_d16_hi_b16 v1, v0, s[0:1]
.LBB549_18:
	s_nop 0
	s_sendmsg sendmsg(MSG_DEALLOC_VGPRS)
	s_endpgm
	.section	.rodata,"a",@progbits
	.p2align	6, 0x0
	.amdhsa_kernel _ZL18rocblas_dot_kernelIiLb1ELi1024ELi32ELb1E16rocblas_bfloat16PKPKS0_fEviT5_lT_lS5_lS6_liPT6_PT4_
		.amdhsa_group_segment_fixed_size 128
		.amdhsa_private_segment_fixed_size 0
		.amdhsa_kernarg_size 352
		.amdhsa_user_sgpr_count 14
		.amdhsa_user_sgpr_dispatch_ptr 0
		.amdhsa_user_sgpr_queue_ptr 0
		.amdhsa_user_sgpr_kernarg_segment_ptr 1
		.amdhsa_user_sgpr_dispatch_id 0
		.amdhsa_user_sgpr_private_segment_size 0
		.amdhsa_wavefront_size32 1
		.amdhsa_uses_dynamic_stack 0
		.amdhsa_enable_private_segment 0
		.amdhsa_system_sgpr_workgroup_id_x 1
		.amdhsa_system_sgpr_workgroup_id_y 0
		.amdhsa_system_sgpr_workgroup_id_z 1
		.amdhsa_system_sgpr_workgroup_info 0
		.amdhsa_system_vgpr_workitem_id 0
		.amdhsa_next_free_vgpr 10
		.amdhsa_next_free_sgpr 21
		.amdhsa_reserve_vcc 1
		.amdhsa_float_round_mode_32 0
		.amdhsa_float_round_mode_16_64 0
		.amdhsa_float_denorm_mode_32 3
		.amdhsa_float_denorm_mode_16_64 3
		.amdhsa_dx10_clamp 1
		.amdhsa_ieee_mode 1
		.amdhsa_fp16_overflow 0
		.amdhsa_workgroup_processor_mode 1
		.amdhsa_memory_ordered 1
		.amdhsa_forward_progress 0
		.amdhsa_shared_vgpr_count 0
		.amdhsa_exception_fp_ieee_invalid_op 0
		.amdhsa_exception_fp_denorm_src 0
		.amdhsa_exception_fp_ieee_div_zero 0
		.amdhsa_exception_fp_ieee_overflow 0
		.amdhsa_exception_fp_ieee_underflow 0
		.amdhsa_exception_fp_ieee_inexact 0
		.amdhsa_exception_int_div_zero 0
	.end_amdhsa_kernel
	.section	.text._ZL18rocblas_dot_kernelIiLb1ELi1024ELi32ELb1E16rocblas_bfloat16PKPKS0_fEviT5_lT_lS5_lS6_liPT6_PT4_,"axG",@progbits,_ZL18rocblas_dot_kernelIiLb1ELi1024ELi32ELb1E16rocblas_bfloat16PKPKS0_fEviT5_lT_lS5_lS6_liPT6_PT4_,comdat
.Lfunc_end549:
	.size	_ZL18rocblas_dot_kernelIiLb1ELi1024ELi32ELb1E16rocblas_bfloat16PKPKS0_fEviT5_lT_lS5_lS6_liPT6_PT4_, .Lfunc_end549-_ZL18rocblas_dot_kernelIiLb1ELi1024ELi32ELb1E16rocblas_bfloat16PKPKS0_fEviT5_lT_lS5_lS6_liPT6_PT4_
                                        ; -- End function
	.section	.AMDGPU.csdata,"",@progbits
; Kernel info:
; codeLenInByte = 1016
; NumSgprs: 23
; NumVgprs: 10
; ScratchSize: 0
; MemoryBound: 0
; FloatMode: 240
; IeeeMode: 1
; LDSByteSize: 128 bytes/workgroup (compile time only)
; SGPRBlocks: 2
; VGPRBlocks: 1
; NumSGPRsForWavesPerEU: 23
; NumVGPRsForWavesPerEU: 10
; Occupancy: 16
; WaveLimiterHint : 0
; COMPUTE_PGM_RSRC2:SCRATCH_EN: 0
; COMPUTE_PGM_RSRC2:USER_SGPR: 14
; COMPUTE_PGM_RSRC2:TRAP_HANDLER: 0
; COMPUTE_PGM_RSRC2:TGID_X_EN: 1
; COMPUTE_PGM_RSRC2:TGID_Y_EN: 0
; COMPUTE_PGM_RSRC2:TGID_Z_EN: 1
; COMPUTE_PGM_RSRC2:TIDIG_COMP_CNT: 0
	.section	.text._ZL24rocblas_dot_kernel_magsqIiLb1ELi1024ELi32ELb1E16rocblas_bfloat16PKPKS0_fEviT5_lT_liPT6_PT4_,"axG",@progbits,_ZL24rocblas_dot_kernel_magsqIiLb1ELi1024ELi32ELb1E16rocblas_bfloat16PKPKS0_fEviT5_lT_liPT6_PT4_,comdat
	.globl	_ZL24rocblas_dot_kernel_magsqIiLb1ELi1024ELi32ELb1E16rocblas_bfloat16PKPKS0_fEviT5_lT_liPT6_PT4_ ; -- Begin function _ZL24rocblas_dot_kernel_magsqIiLb1ELi1024ELi32ELb1E16rocblas_bfloat16PKPKS0_fEviT5_lT_liPT6_PT4_
	.p2align	8
	.type	_ZL24rocblas_dot_kernel_magsqIiLb1ELi1024ELi32ELb1E16rocblas_bfloat16PKPKS0_fEviT5_lT_liPT6_PT4_,@function
_ZL24rocblas_dot_kernel_magsqIiLb1ELi1024ELi32ELb1E16rocblas_bfloat16PKPKS0_fEviT5_lT_liPT6_PT4_: ; @_ZL24rocblas_dot_kernel_magsqIiLb1ELi1024ELi32ELb1E16rocblas_bfloat16PKPKS0_fEviT5_lT_liPT6_PT4_
; %bb.0:
	s_clause 0x1
	s_load_b32 s8, s[0:1], 0x0
	s_load_b64 s[2:3], s[0:1], 0x38
	v_mov_b32_e32 v3, 0
	s_mov_b32 s4, s15
	s_mov_b32 s5, 0
	s_mov_b32 s9, exec_lo
	s_waitcnt lgkmcnt(0)
	v_cmpx_gt_i32_e64 s8, v0
	s_cbranch_execz .LBB550_4
; %bb.1:
	s_clause 0x2
	s_load_b128 s[12:15], s[0:1], 0x8
	s_load_b32 s16, s[0:1], 0x18
	s_load_b32 s10, s[0:1], 0x40
	s_lshl_b64 s[0:1], s[4:5], 3
	v_mov_b32_e32 v3, 0
	s_waitcnt lgkmcnt(0)
	s_add_u32 s0, s12, s0
	s_addc_u32 s1, s13, s1
	v_mad_i64_i32 v[1:2], null, s16, v0, 0
	s_load_b64 s[6:7], s[0:1], 0x0
	s_lshl_b32 s1, s10, 10
	s_lshl_b64 s[10:11], s[14:15], 1
	v_or_b32_e32 v4, s1, v0
	s_mul_hi_i32 s13, s16, s1
	s_mul_i32 s12, s16, s1
	s_delay_alu instid0(VALU_DEP_2) | instskip(SKIP_3) | instid1(VALU_DEP_1)
	v_lshlrev_b64 v[1:2], 1, v[1:2]
	s_waitcnt lgkmcnt(0)
	s_add_u32 s0, s6, s10
	s_addc_u32 s6, s7, s11
	v_add_co_u32 v1, vcc_lo, s0, v1
	s_delay_alu instid0(VALU_DEP_2)
	v_add_co_ci_u32_e32 v2, vcc_lo, s6, v2, vcc_lo
	s_lshl_b64 s[6:7], s[12:13], 1
	s_mov_b32 s10, s5
	s_mov_b32 s11, s5
	.p2align	6
.LBB550_2:                              ; =>This Inner Loop Header: Depth=1
	global_load_u16 v5, v[1:2], off
	s_add_i32 s12, s11, 1
	v_cmp_le_i32_e32 vcc_lo, s8, v4
	v_add_co_u32 v1, s0, v1, s6
	s_cmp_gt_u32 s11, 30
	v_add_co_ci_u32_e64 v2, s0, s7, v2, s0
	s_cselect_b32 s0, -1, 0
	s_mov_b32 s11, s12
	s_or_b32 s0, s0, vcc_lo
	s_delay_alu instid0(SALU_CYCLE_1) | instskip(NEXT) | instid1(SALU_CYCLE_1)
	s_and_b32 s0, exec_lo, s0
	s_or_b32 s10, s0, s10
	s_waitcnt vmcnt(0)
	v_lshlrev_b32_e32 v5, 16, v5
	s_delay_alu instid0(VALU_DEP_1)
	v_dual_fmac_f32 v3, v5, v5 :: v_dual_add_nc_u32 v4, s1, v4
	s_and_not1_b32 exec_lo, exec_lo, s10
	s_cbranch_execnz .LBB550_2
; %bb.3:
	s_or_b32 exec_lo, exec_lo, s10
.LBB550_4:
	s_delay_alu instid0(SALU_CYCLE_1) | instskip(SKIP_2) | instid1(VALU_DEP_2)
	s_or_b32 exec_lo, exec_lo, s9
	v_and_b32_e32 v5, 31, v0
	v_cmp_gt_u32_e32 vcc_lo, 32, v0
	v_lshlrev_b32_e32 v1, 2, v5
	s_and_saveexec_b32 s0, vcc_lo
	s_cbranch_execz .LBB550_6
; %bb.5:
	v_mov_b32_e32 v2, 0
	ds_store_b32 v1, v2
.LBB550_6:
	s_or_b32 exec_lo, exec_lo, s0
	v_mbcnt_lo_u32_b32 v7, -1, 0
	s_mov_b32 s1, exec_lo
	s_waitcnt lgkmcnt(0)
	s_barrier
	buffer_gl0_inv
	v_cmp_gt_u32_e64 s0, 16, v7
	s_delay_alu instid0(VALU_DEP_1) | instskip(SKIP_1) | instid1(VALU_DEP_2)
	v_cndmask_b32_e64 v2, 0, 1, s0
	v_cmp_gt_u32_e64 s0, 24, v7
	v_lshlrev_b32_e32 v2, 4, v2
	s_delay_alu instid0(VALU_DEP_2) | instskip(SKIP_1) | instid1(VALU_DEP_3)
	v_cndmask_b32_e64 v4, 0, 1, s0
	v_cmp_gt_u32_e64 s0, 28, v7
	v_add_lshl_u32 v2, v2, v7, 2
	s_delay_alu instid0(VALU_DEP_3)
	v_lshlrev_b32_e32 v4, 3, v4
	ds_bpermute_b32 v6, v2, v3
	v_add_lshl_u32 v4, v4, v7, 2
	s_waitcnt lgkmcnt(0)
	v_add_f32_e32 v6, v3, v6
	v_cndmask_b32_e64 v3, 0, 1, s0
	v_cmp_gt_u32_e64 s0, 30, v7
	s_delay_alu instid0(VALU_DEP_2)
	v_lshlrev_b32_e32 v3, 2, v3
	ds_bpermute_b32 v8, v4, v6
	v_add_lshl_u32 v3, v3, v7, 2
	s_waitcnt lgkmcnt(0)
	v_add_f32_e32 v8, v6, v8
	v_cndmask_b32_e64 v6, 0, 1, s0
	v_cmp_ne_u32_e64 s0, 31, v7
	s_delay_alu instid0(VALU_DEP_2) | instskip(NEXT) | instid1(VALU_DEP_1)
	v_lshlrev_b32_e32 v6, 1, v6
	v_add_lshl_u32 v6, v6, v7, 2
	s_delay_alu instid0(VALU_DEP_3) | instskip(NEXT) | instid1(VALU_DEP_1)
	v_add_co_ci_u32_e64 v7, s0, 0, v7, s0
	v_lshlrev_b32_e32 v7, 2, v7
	ds_bpermute_b32 v9, v3, v8
	s_waitcnt lgkmcnt(0)
	v_add_f32_e32 v8, v8, v9
	ds_bpermute_b32 v9, v6, v8
	s_waitcnt lgkmcnt(0)
	v_add_f32_e32 v8, v8, v9
	ds_bpermute_b32 v9, v7, v8
	v_cmpx_eq_u32_e32 0, v5
	s_cbranch_execz .LBB550_8
; %bb.7:
	v_lshrrev_b32_e32 v5, 3, v0
	s_waitcnt lgkmcnt(0)
	v_add_f32_e32 v8, v8, v9
	s_delay_alu instid0(VALU_DEP_2)
	v_and_b32_e32 v5, 0x7c, v5
	ds_store_b32 v5, v8
.LBB550_8:
	s_or_b32 exec_lo, exec_lo, s1
	v_mov_b32_e32 v5, 0
	s_waitcnt lgkmcnt(0)
	s_barrier
	buffer_gl0_inv
	s_and_saveexec_b32 s0, vcc_lo
	s_cbranch_execz .LBB550_10
; %bb.9:
	ds_load_b32 v5, v1
.LBB550_10:
	s_or_b32 exec_lo, exec_lo, s0
	s_and_saveexec_b32 s0, vcc_lo
	s_cbranch_execz .LBB550_12
; %bb.11:
	s_waitcnt lgkmcnt(0)
	ds_bpermute_b32 v1, v2, v5
	s_waitcnt lgkmcnt(0)
	v_add_f32_e32 v1, v5, v1
	ds_bpermute_b32 v2, v4, v1
	s_waitcnt lgkmcnt(0)
	v_add_f32_e32 v1, v1, v2
	;; [unrolled: 3-line block ×5, first 2 shown]
.LBB550_12:
	s_or_b32 exec_lo, exec_lo, s0
	s_delay_alu instid0(SALU_CYCLE_1)
	s_mov_b32 s0, exec_lo
	v_cmpx_eq_u32_e32 0, v0
	s_cbranch_execz .LBB550_18
; %bb.13:
	s_waitcnt lgkmcnt(0)
	v_and_b32_e32 v0, 0x7f800000, v5
	s_delay_alu instid0(VALU_DEP_1) | instskip(SKIP_1) | instid1(SALU_CYCLE_1)
	v_cmp_ne_u32_e32 vcc_lo, 0x7f800000, v0
                                        ; implicit-def: $vgpr0
	s_and_saveexec_b32 s0, vcc_lo
	s_xor_b32 s0, exec_lo, s0
; %bb.14:
	v_bfe_u32 v0, v5, 16, 1
	s_delay_alu instid0(VALU_DEP_1)
	v_add3_u32 v0, v5, v0, 0x7fff
                                        ; implicit-def: $vgpr5
; %bb.15:
	s_and_not1_saveexec_b32 s0, s0
; %bb.16:
	v_and_b32_e32 v0, 0xffff, v5
	v_or_b32_e32 v1, 0x10000, v5
	s_delay_alu instid0(VALU_DEP_2) | instskip(NEXT) | instid1(VALU_DEP_2)
	v_cmp_eq_u32_e32 vcc_lo, 0, v0
	v_cndmask_b32_e32 v0, v1, v5, vcc_lo
; %bb.17:
	s_or_b32 exec_lo, exec_lo, s0
	s_lshl_b64 s[0:1], s[4:5], 1
	v_mov_b32_e32 v1, 0
	s_add_u32 s0, s2, s0
	s_addc_u32 s1, s3, s1
	global_store_d16_hi_b16 v1, v0, s[0:1]
.LBB550_18:
	s_nop 0
	s_sendmsg sendmsg(MSG_DEALLOC_VGPRS)
	s_endpgm
	.section	.rodata,"a",@progbits
	.p2align	6, 0x0
	.amdhsa_kernel _ZL24rocblas_dot_kernel_magsqIiLb1ELi1024ELi32ELb1E16rocblas_bfloat16PKPKS0_fEviT5_lT_liPT6_PT4_
		.amdhsa_group_segment_fixed_size 128
		.amdhsa_private_segment_fixed_size 0
		.amdhsa_kernarg_size 320
		.amdhsa_user_sgpr_count 14
		.amdhsa_user_sgpr_dispatch_ptr 0
		.amdhsa_user_sgpr_queue_ptr 0
		.amdhsa_user_sgpr_kernarg_segment_ptr 1
		.amdhsa_user_sgpr_dispatch_id 0
		.amdhsa_user_sgpr_private_segment_size 0
		.amdhsa_wavefront_size32 1
		.amdhsa_uses_dynamic_stack 0
		.amdhsa_enable_private_segment 0
		.amdhsa_system_sgpr_workgroup_id_x 1
		.amdhsa_system_sgpr_workgroup_id_y 0
		.amdhsa_system_sgpr_workgroup_id_z 1
		.amdhsa_system_sgpr_workgroup_info 0
		.amdhsa_system_vgpr_workitem_id 0
		.amdhsa_next_free_vgpr 10
		.amdhsa_next_free_sgpr 17
		.amdhsa_reserve_vcc 1
		.amdhsa_float_round_mode_32 0
		.amdhsa_float_round_mode_16_64 0
		.amdhsa_float_denorm_mode_32 3
		.amdhsa_float_denorm_mode_16_64 3
		.amdhsa_dx10_clamp 1
		.amdhsa_ieee_mode 1
		.amdhsa_fp16_overflow 0
		.amdhsa_workgroup_processor_mode 1
		.amdhsa_memory_ordered 1
		.amdhsa_forward_progress 0
		.amdhsa_shared_vgpr_count 0
		.amdhsa_exception_fp_ieee_invalid_op 0
		.amdhsa_exception_fp_denorm_src 0
		.amdhsa_exception_fp_ieee_div_zero 0
		.amdhsa_exception_fp_ieee_overflow 0
		.amdhsa_exception_fp_ieee_underflow 0
		.amdhsa_exception_fp_ieee_inexact 0
		.amdhsa_exception_int_div_zero 0
	.end_amdhsa_kernel
	.section	.text._ZL24rocblas_dot_kernel_magsqIiLb1ELi1024ELi32ELb1E16rocblas_bfloat16PKPKS0_fEviT5_lT_liPT6_PT4_,"axG",@progbits,_ZL24rocblas_dot_kernel_magsqIiLb1ELi1024ELi32ELb1E16rocblas_bfloat16PKPKS0_fEviT5_lT_liPT6_PT4_,comdat
.Lfunc_end550:
	.size	_ZL24rocblas_dot_kernel_magsqIiLb1ELi1024ELi32ELb1E16rocblas_bfloat16PKPKS0_fEviT5_lT_liPT6_PT4_, .Lfunc_end550-_ZL24rocblas_dot_kernel_magsqIiLb1ELi1024ELi32ELb1E16rocblas_bfloat16PKPKS0_fEviT5_lT_liPT6_PT4_
                                        ; -- End function
	.section	.AMDGPU.csdata,"",@progbits
; Kernel info:
; codeLenInByte = 904
; NumSgprs: 19
; NumVgprs: 10
; ScratchSize: 0
; MemoryBound: 0
; FloatMode: 240
; IeeeMode: 1
; LDSByteSize: 128 bytes/workgroup (compile time only)
; SGPRBlocks: 2
; VGPRBlocks: 1
; NumSGPRsForWavesPerEU: 19
; NumVGPRsForWavesPerEU: 10
; Occupancy: 16
; WaveLimiterHint : 0
; COMPUTE_PGM_RSRC2:SCRATCH_EN: 0
; COMPUTE_PGM_RSRC2:USER_SGPR: 14
; COMPUTE_PGM_RSRC2:TRAP_HANDLER: 0
; COMPUTE_PGM_RSRC2:TGID_X_EN: 1
; COMPUTE_PGM_RSRC2:TGID_Y_EN: 0
; COMPUTE_PGM_RSRC2:TGID_Z_EN: 1
; COMPUTE_PGM_RSRC2:TIDIG_COMP_CNT: 0
	.section	.text._ZL23rocblas_dot_kernel_inc1ILb0ELi512ELi8ELb1E16rocblas_bfloat16PKPKS0_fEviT4_llS5_lliPT5_PT3_,"axG",@progbits,_ZL23rocblas_dot_kernel_inc1ILb0ELi512ELi8ELb1E16rocblas_bfloat16PKPKS0_fEviT4_llS5_lliPT5_PT3_,comdat
	.globl	_ZL23rocblas_dot_kernel_inc1ILb0ELi512ELi8ELb1E16rocblas_bfloat16PKPKS0_fEviT4_llS5_lliPT5_PT3_ ; -- Begin function _ZL23rocblas_dot_kernel_inc1ILb0ELi512ELi8ELb1E16rocblas_bfloat16PKPKS0_fEviT4_llS5_lliPT5_PT3_
	.p2align	8
	.type	_ZL23rocblas_dot_kernel_inc1ILb0ELi512ELi8ELb1E16rocblas_bfloat16PKPKS0_fEviT4_llS5_lliPT5_PT3_,@function
_ZL23rocblas_dot_kernel_inc1ILb0ELi512ELi8ELb1E16rocblas_bfloat16PKPKS0_fEviT4_llS5_lliPT5_PT3_: ; @_ZL23rocblas_dot_kernel_inc1ILb0ELi512ELi8ELb1E16rocblas_bfloat16PKPKS0_fEviT4_llS5_lliPT5_PT3_
; %bb.0:
	s_clause 0x2
	s_load_b32 s12, s[0:1], 0x50
	s_load_b32 s13, s[0:1], 0x0
	s_load_b128 s[4:7], s[0:1], 0x40
	v_lshl_or_b32 v3, s14, 9, v0
	v_mov_b32_e32 v5, 0
	s_mov_b32 s2, s15
	s_mov_b32 s3, 0
	s_mov_b32 s15, exec_lo
	s_waitcnt lgkmcnt(0)
	v_cmpx_gt_i32_e64 s13, v3
	s_cbranch_execz .LBB551_4
; %bb.1:
	s_clause 0x1
	s_load_b128 s[8:11], s[0:1], 0x8
	s_load_b128 s[20:23], s[0:1], 0x20
	s_lshl_b64 s[18:19], s[2:3], 3
	v_ashrrev_i32_e32 v4, 31, v3
	v_mov_b32_e32 v5, 0
	s_delay_alu instid0(VALU_DEP_2)
	v_lshlrev_b64 v[1:2], 1, v[3:4]
	s_waitcnt lgkmcnt(0)
	s_add_u32 s0, s8, s18
	s_addc_u32 s1, s9, s19
	s_lshl_b64 s[10:11], s[10:11], 1
	s_load_b64 s[8:9], s[0:1], 0x0
	s_waitcnt lgkmcnt(0)
	s_add_u32 s1, s8, s10
	s_addc_u32 s16, s9, s11
	s_add_u32 s8, s20, s18
	s_addc_u32 s9, s21, s19
	s_lshl_b64 s[10:11], s[22:23], 1
	s_load_b64 s[8:9], s[8:9], 0x0
	s_mov_b32 s19, s3
	s_waitcnt lgkmcnt(0)
	s_add_u32 s17, s8, s10
	s_addc_u32 s18, s9, s11
	s_lshl_b32 s8, s12, 9
	s_delay_alu instid0(SALU_CYCLE_1) | instskip(SKIP_1) | instid1(SALU_CYCLE_1)
	v_add_nc_u32_e32 v3, s8, v3
	s_ashr_i32 s9, s8, 31
	s_lshl_b64 s[10:11], s[8:9], 1
	s_mov_b32 s9, s3
	.p2align	6
.LBB551_2:                              ; =>This Inner Loop Header: Depth=1
	v_add_co_u32 v6, vcc_lo, s1, v1
	v_add_co_ci_u32_e32 v7, vcc_lo, s16, v2, vcc_lo
	v_add_co_u32 v8, vcc_lo, s17, v1
	v_add_co_ci_u32_e32 v9, vcc_lo, s18, v2, vcc_lo
	s_add_i32 s20, s19, 1
	global_load_u16 v4, v[6:7], off
	global_load_u16 v6, v[8:9], off
	v_cmp_le_i32_e32 vcc_lo, s13, v3
	v_add_co_u32 v1, s0, v1, s10
	s_cmp_gt_u32 s19, 6
	v_add_co_ci_u32_e64 v2, s0, s11, v2, s0
	s_cselect_b32 s0, -1, 0
	v_add_nc_u32_e32 v3, s8, v3
	s_or_b32 s0, s0, vcc_lo
	s_mov_b32 s19, s20
	s_and_b32 s0, exec_lo, s0
	s_delay_alu instid0(SALU_CYCLE_1) | instskip(SKIP_4) | instid1(VALU_DEP_1)
	s_or_b32 s9, s0, s9
	s_waitcnt vmcnt(1)
	v_lshlrev_b32_e32 v4, 16, v4
	s_waitcnt vmcnt(0)
	v_lshlrev_b32_e32 v6, 16, v6
	v_fmac_f32_e32 v5, v6, v4
	s_and_not1_b32 exec_lo, exec_lo, s9
	s_cbranch_execnz .LBB551_2
; %bb.3:
	s_or_b32 exec_lo, exec_lo, s9
.LBB551_4:
	s_delay_alu instid0(SALU_CYCLE_1) | instskip(SKIP_2) | instid1(VALU_DEP_2)
	s_or_b32 exec_lo, exec_lo, s15
	v_and_b32_e32 v1, 31, v0
	v_cmp_gt_u32_e32 vcc_lo, 32, v0
	v_lshlrev_b32_e32 v2, 2, v1
	s_and_saveexec_b32 s0, vcc_lo
	s_cbranch_execz .LBB551_6
; %bb.5:
	v_mov_b32_e32 v3, 0
	ds_store_b32 v2, v3
.LBB551_6:
	s_or_b32 exec_lo, exec_lo, s0
	v_mbcnt_lo_u32_b32 v6, -1, 0
	s_mov_b32 s1, exec_lo
	s_waitcnt lgkmcnt(0)
	s_barrier
	buffer_gl0_inv
	v_cmp_gt_u32_e64 s0, 16, v6
	s_delay_alu instid0(VALU_DEP_1) | instskip(SKIP_1) | instid1(VALU_DEP_2)
	v_cndmask_b32_e64 v3, 0, 1, s0
	v_cmp_gt_u32_e64 s0, 24, v6
	v_lshlrev_b32_e32 v3, 4, v3
	s_delay_alu instid0(VALU_DEP_1) | instskip(SKIP_3) | instid1(VALU_DEP_2)
	v_add_lshl_u32 v3, v3, v6, 2
	ds_bpermute_b32 v4, v3, v5
	v_cndmask_b32_e64 v3, 0, 1, s0
	v_cmp_gt_u32_e64 s0, 28, v6
	v_lshlrev_b32_e32 v3, 3, v3
	s_delay_alu instid0(VALU_DEP_1)
	v_add_lshl_u32 v3, v3, v6, 2
	s_waitcnt lgkmcnt(0)
	v_add_f32_e32 v5, v5, v4
	v_cndmask_b32_e64 v4, 0, 1, s0
	v_cmp_gt_u32_e64 s0, 30, v6
	ds_bpermute_b32 v7, v3, v5
	s_waitcnt lgkmcnt(0)
	v_dual_add_f32 v7, v5, v7 :: v_dual_lshlrev_b32 v4, 2, v4
	s_delay_alu instid0(VALU_DEP_1) | instskip(SKIP_4) | instid1(VALU_DEP_1)
	v_add_lshl_u32 v4, v4, v6, 2
	v_cndmask_b32_e64 v5, 0, 1, s0
	v_cmp_ne_u32_e64 s0, 31, v6
	ds_bpermute_b32 v8, v4, v7
	v_lshlrev_b32_e32 v5, 1, v5
	v_add_lshl_u32 v5, v5, v6, 2
	v_add_co_ci_u32_e64 v6, s0, 0, v6, s0
	s_waitcnt lgkmcnt(0)
	s_delay_alu instid0(VALU_DEP_1)
	v_dual_add_f32 v7, v7, v8 :: v_dual_lshlrev_b32 v6, 2, v6
	ds_bpermute_b32 v8, v5, v7
	s_waitcnt lgkmcnt(0)
	v_add_f32_e32 v7, v7, v8
	ds_bpermute_b32 v8, v6, v7
	v_cmpx_eq_u32_e32 0, v1
	s_cbranch_execz .LBB551_8
; %bb.7:
	v_lshrrev_b32_e32 v1, 3, v0
	s_waitcnt lgkmcnt(0)
	v_add_f32_e32 v7, v7, v8
	s_delay_alu instid0(VALU_DEP_2)
	v_and_b32_e32 v1, 60, v1
	ds_store_b32 v1, v7
.LBB551_8:
	s_or_b32 exec_lo, exec_lo, s1
	v_mov_b32_e32 v1, 0
	s_mov_b32 s1, exec_lo
	s_waitcnt lgkmcnt(0)
	s_barrier
	buffer_gl0_inv
	v_cmpx_gt_u32_e32 16, v0
	s_cbranch_execz .LBB551_10
; %bb.9:
	ds_load_b32 v1, v2
.LBB551_10:
	s_or_b32 exec_lo, exec_lo, s1
	s_and_saveexec_b32 s0, vcc_lo
	s_cbranch_execz .LBB551_12
; %bb.11:
	s_waitcnt lgkmcnt(0)
	ds_bpermute_b32 v2, v3, v1
	s_waitcnt lgkmcnt(0)
	v_add_f32_e32 v1, v1, v2
	ds_bpermute_b32 v2, v4, v1
	s_waitcnt lgkmcnt(0)
	v_add_f32_e32 v1, v1, v2
	;; [unrolled: 3-line block ×4, first 2 shown]
.LBB551_12:
	s_or_b32 exec_lo, exec_lo, s0
	s_delay_alu instid0(SALU_CYCLE_1)
	s_mov_b32 s0, exec_lo
	v_cmpx_eq_u32_e32 0, v0
	s_cbranch_execz .LBB551_21
; %bb.13:
	s_cmp_lg_u32 s12, 1
	s_mov_b32 s15, -1
	s_cbranch_scc0 .LBB551_15
; %bb.14:
	s_mul_hi_u32 s1, s12, s2
	s_mul_i32 s0, s12, s2
	s_mov_b32 s15, 0
	s_lshl_b64 s[0:1], s[0:1], 2
	v_mov_b32_e32 v0, 0
	s_add_u32 s4, s4, s0
	s_addc_u32 s5, s5, s1
	s_lshl_b64 s[0:1], s[14:15], 2
	s_delay_alu instid0(SALU_CYCLE_1)
	s_add_u32 s0, s4, s0
	s_addc_u32 s1, s5, s1
	s_waitcnt lgkmcnt(0)
	global_store_b32 v0, v1, s[0:1]
.LBB551_15:
	s_and_not1_b32 vcc_lo, exec_lo, s15
	s_cbranch_vccnz .LBB551_21
; %bb.16:
	s_waitcnt lgkmcnt(0)
	v_and_b32_e32 v0, 0x7f800000, v1
	s_delay_alu instid0(VALU_DEP_1) | instskip(SKIP_1) | instid1(SALU_CYCLE_1)
	v_cmp_ne_u32_e32 vcc_lo, 0x7f800000, v0
                                        ; implicit-def: $vgpr0
	s_and_saveexec_b32 s0, vcc_lo
	s_xor_b32 s0, exec_lo, s0
; %bb.17:
	v_bfe_u32 v0, v1, 16, 1
	s_delay_alu instid0(VALU_DEP_1)
	v_add3_u32 v0, v1, v0, 0x7fff
                                        ; implicit-def: $vgpr1
; %bb.18:
	s_and_not1_saveexec_b32 s0, s0
; %bb.19:
	v_and_b32_e32 v0, 0xffff, v1
	v_or_b32_e32 v2, 0x10000, v1
	s_delay_alu instid0(VALU_DEP_2) | instskip(NEXT) | instid1(VALU_DEP_2)
	v_cmp_eq_u32_e32 vcc_lo, 0, v0
	v_cndmask_b32_e32 v0, v2, v1, vcc_lo
; %bb.20:
	s_or_b32 exec_lo, exec_lo, s0
	s_lshl_b64 s[0:1], s[2:3], 1
	v_mov_b32_e32 v1, 0
	s_add_u32 s0, s6, s0
	s_addc_u32 s1, s7, s1
	global_store_d16_hi_b16 v1, v0, s[0:1]
.LBB551_21:
	s_nop 0
	s_sendmsg sendmsg(MSG_DEALLOC_VGPRS)
	s_endpgm
	.section	.rodata,"a",@progbits
	.p2align	6, 0x0
	.amdhsa_kernel _ZL23rocblas_dot_kernel_inc1ILb0ELi512ELi8ELb1E16rocblas_bfloat16PKPKS0_fEviT4_llS5_lliPT5_PT3_
		.amdhsa_group_segment_fixed_size 128
		.amdhsa_private_segment_fixed_size 0
		.amdhsa_kernarg_size 336
		.amdhsa_user_sgpr_count 14
		.amdhsa_user_sgpr_dispatch_ptr 0
		.amdhsa_user_sgpr_queue_ptr 0
		.amdhsa_user_sgpr_kernarg_segment_ptr 1
		.amdhsa_user_sgpr_dispatch_id 0
		.amdhsa_user_sgpr_private_segment_size 0
		.amdhsa_wavefront_size32 1
		.amdhsa_uses_dynamic_stack 0
		.amdhsa_enable_private_segment 0
		.amdhsa_system_sgpr_workgroup_id_x 1
		.amdhsa_system_sgpr_workgroup_id_y 0
		.amdhsa_system_sgpr_workgroup_id_z 1
		.amdhsa_system_sgpr_workgroup_info 0
		.amdhsa_system_vgpr_workitem_id 0
		.amdhsa_next_free_vgpr 10
		.amdhsa_next_free_sgpr 24
		.amdhsa_reserve_vcc 1
		.amdhsa_float_round_mode_32 0
		.amdhsa_float_round_mode_16_64 0
		.amdhsa_float_denorm_mode_32 3
		.amdhsa_float_denorm_mode_16_64 3
		.amdhsa_dx10_clamp 1
		.amdhsa_ieee_mode 1
		.amdhsa_fp16_overflow 0
		.amdhsa_workgroup_processor_mode 1
		.amdhsa_memory_ordered 1
		.amdhsa_forward_progress 0
		.amdhsa_shared_vgpr_count 0
		.amdhsa_exception_fp_ieee_invalid_op 0
		.amdhsa_exception_fp_denorm_src 0
		.amdhsa_exception_fp_ieee_div_zero 0
		.amdhsa_exception_fp_ieee_overflow 0
		.amdhsa_exception_fp_ieee_underflow 0
		.amdhsa_exception_fp_ieee_inexact 0
		.amdhsa_exception_int_div_zero 0
	.end_amdhsa_kernel
	.section	.text._ZL23rocblas_dot_kernel_inc1ILb0ELi512ELi8ELb1E16rocblas_bfloat16PKPKS0_fEviT4_llS5_lliPT5_PT3_,"axG",@progbits,_ZL23rocblas_dot_kernel_inc1ILb0ELi512ELi8ELb1E16rocblas_bfloat16PKPKS0_fEviT4_llS5_lliPT5_PT3_,comdat
.Lfunc_end551:
	.size	_ZL23rocblas_dot_kernel_inc1ILb0ELi512ELi8ELb1E16rocblas_bfloat16PKPKS0_fEviT4_llS5_lliPT5_PT3_, .Lfunc_end551-_ZL23rocblas_dot_kernel_inc1ILb0ELi512ELi8ELb1E16rocblas_bfloat16PKPKS0_fEviT4_llS5_lliPT5_PT3_
                                        ; -- End function
	.section	.AMDGPU.csdata,"",@progbits
; Kernel info:
; codeLenInByte = 1016
; NumSgprs: 26
; NumVgprs: 10
; ScratchSize: 0
; MemoryBound: 0
; FloatMode: 240
; IeeeMode: 1
; LDSByteSize: 128 bytes/workgroup (compile time only)
; SGPRBlocks: 3
; VGPRBlocks: 1
; NumSGPRsForWavesPerEU: 26
; NumVGPRsForWavesPerEU: 10
; Occupancy: 16
; WaveLimiterHint : 1
; COMPUTE_PGM_RSRC2:SCRATCH_EN: 0
; COMPUTE_PGM_RSRC2:USER_SGPR: 14
; COMPUTE_PGM_RSRC2:TRAP_HANDLER: 0
; COMPUTE_PGM_RSRC2:TGID_X_EN: 1
; COMPUTE_PGM_RSRC2:TGID_Y_EN: 0
; COMPUTE_PGM_RSRC2:TGID_Z_EN: 1
; COMPUTE_PGM_RSRC2:TIDIG_COMP_CNT: 0
	.section	.text._ZL18rocblas_dot_kernelIiLb0ELi512ELi8ELb1E16rocblas_bfloat16PKPKS0_fEviT5_lT_lS5_lS6_liPT6_PT4_,"axG",@progbits,_ZL18rocblas_dot_kernelIiLb0ELi512ELi8ELb1E16rocblas_bfloat16PKPKS0_fEviT5_lT_lS5_lS6_liPT6_PT4_,comdat
	.globl	_ZL18rocblas_dot_kernelIiLb0ELi512ELi8ELb1E16rocblas_bfloat16PKPKS0_fEviT5_lT_lS5_lS6_liPT6_PT4_ ; -- Begin function _ZL18rocblas_dot_kernelIiLb0ELi512ELi8ELb1E16rocblas_bfloat16PKPKS0_fEviT5_lT_lS5_lS6_liPT6_PT4_
	.p2align	8
	.type	_ZL18rocblas_dot_kernelIiLb0ELi512ELi8ELb1E16rocblas_bfloat16PKPKS0_fEviT5_lT_lS5_lS6_liPT6_PT4_,@function
_ZL18rocblas_dot_kernelIiLb0ELi512ELi8ELb1E16rocblas_bfloat16PKPKS0_fEviT5_lT_lS5_lS6_liPT6_PT4_: ; @_ZL18rocblas_dot_kernelIiLb0ELi512ELi8ELb1E16rocblas_bfloat16PKPKS0_fEviT5_lT_lS5_lS6_liPT6_PT4_
; %bb.0:
	s_clause 0x2
	s_load_b32 s12, s[0:1], 0x60
	s_load_b32 s13, s[0:1], 0x0
	s_load_b128 s[4:7], s[0:1], 0x50
	v_lshl_or_b32 v1, s14, 9, v0
	v_mov_b32_e32 v5, 0
	s_mov_b32 s2, s15
	s_mov_b32 s3, 0
	s_mov_b32 s15, exec_lo
	s_waitcnt lgkmcnt(0)
	v_cmpx_gt_i32_e64 s13, v1
	s_cbranch_execz .LBB552_4
; %bb.1:
	s_clause 0x3
	s_load_b128 s[16:19], s[0:1], 0x8
	s_load_b128 s[8:11], s[0:1], 0x28
	s_load_b32 s22, s[0:1], 0x18
	s_load_b32 s24, s[0:1], 0x38
	s_lshl_b64 s[0:1], s[2:3], 3
	s_waitcnt lgkmcnt(0)
	s_add_u32 s16, s16, s0
	s_addc_u32 s17, s17, s1
	s_add_u32 s0, s8, s0
	s_load_b64 s[16:17], s[16:17], 0x0
	s_addc_u32 s1, s9, s1
	v_mad_i64_i32 v[2:3], null, s22, v1, 0
	s_load_b64 s[20:21], s[0:1], 0x0
	v_mad_i64_i32 v[4:5], null, s24, v1, 0
	s_lshl_b32 s1, s12, 9
	s_lshl_b64 s[8:9], s[18:19], 1
	v_add_nc_u32_e32 v6, s1, v1
	s_delay_alu instid0(VALU_DEP_3) | instskip(SKIP_2) | instid1(VALU_DEP_3)
	v_lshlrev_b64 v[1:2], 1, v[2:3]
	s_mul_hi_i32 s19, s22, s1
	s_mul_i32 s18, s22, s1
	v_lshlrev_b64 v[3:4], 1, v[4:5]
	v_mov_b32_e32 v5, 0
	s_mul_hi_i32 s23, s24, s1
	s_mul_i32 s22, s24, s1
	s_waitcnt lgkmcnt(0)
	s_add_u32 s0, s16, s8
	s_addc_u32 s16, s17, s9
	s_lshl_b64 s[10:11], s[10:11], 1
	s_lshl_b64 s[8:9], s[18:19], 1
	v_add_co_u32 v1, vcc_lo, s0, v1
	s_add_u32 s0, s20, s10
	v_add_co_ci_u32_e32 v2, vcc_lo, s16, v2, vcc_lo
	s_addc_u32 s10, s21, s11
	v_add_co_u32 v3, vcc_lo, s0, v3
	v_add_co_ci_u32_e32 v4, vcc_lo, s10, v4, vcc_lo
	s_lshl_b64 s[10:11], s[22:23], 1
	s_mov_b32 s16, s3
	s_mov_b32 s17, s3
	.p2align	6
.LBB552_2:                              ; =>This Inner Loop Header: Depth=1
	global_load_u16 v7, v[1:2], off
	global_load_u16 v8, v[3:4], off
	v_add_co_u32 v1, s0, v1, s8
	s_delay_alu instid0(VALU_DEP_1)
	v_add_co_ci_u32_e64 v2, s0, s9, v2, s0
	s_add_i32 s18, s17, 1
	v_cmp_le_i32_e32 vcc_lo, s13, v6
	v_add_co_u32 v3, s0, v3, s10
	s_cmp_gt_u32 s17, 6
	v_add_co_ci_u32_e64 v4, s0, s11, v4, s0
	s_cselect_b32 s0, -1, 0
	s_mov_b32 s17, s18
	s_or_b32 s0, s0, vcc_lo
	s_delay_alu instid0(SALU_CYCLE_1) | instskip(NEXT) | instid1(SALU_CYCLE_1)
	s_and_b32 s0, exec_lo, s0
	s_or_b32 s16, s0, s16
	s_waitcnt vmcnt(1)
	v_lshlrev_b32_e32 v7, 16, v7
	s_waitcnt vmcnt(0)
	v_lshlrev_b32_e32 v8, 16, v8
	s_delay_alu instid0(VALU_DEP_1)
	v_dual_fmac_f32 v5, v8, v7 :: v_dual_add_nc_u32 v6, s1, v6
	s_and_not1_b32 exec_lo, exec_lo, s16
	s_cbranch_execnz .LBB552_2
; %bb.3:
	s_or_b32 exec_lo, exec_lo, s16
.LBB552_4:
	s_delay_alu instid0(SALU_CYCLE_1) | instskip(SKIP_2) | instid1(VALU_DEP_2)
	s_or_b32 exec_lo, exec_lo, s15
	v_and_b32_e32 v1, 31, v0
	v_cmp_gt_u32_e32 vcc_lo, 32, v0
	v_lshlrev_b32_e32 v2, 2, v1
	s_and_saveexec_b32 s0, vcc_lo
	s_cbranch_execz .LBB552_6
; %bb.5:
	v_mov_b32_e32 v3, 0
	ds_store_b32 v2, v3
.LBB552_6:
	s_or_b32 exec_lo, exec_lo, s0
	v_mbcnt_lo_u32_b32 v6, -1, 0
	s_mov_b32 s1, exec_lo
	s_waitcnt lgkmcnt(0)
	s_barrier
	buffer_gl0_inv
	v_cmp_gt_u32_e64 s0, 16, v6
	s_delay_alu instid0(VALU_DEP_1) | instskip(SKIP_1) | instid1(VALU_DEP_2)
	v_cndmask_b32_e64 v3, 0, 1, s0
	v_cmp_gt_u32_e64 s0, 24, v6
	v_lshlrev_b32_e32 v3, 4, v3
	s_delay_alu instid0(VALU_DEP_1) | instskip(SKIP_3) | instid1(VALU_DEP_2)
	v_add_lshl_u32 v3, v3, v6, 2
	ds_bpermute_b32 v4, v3, v5
	v_cndmask_b32_e64 v3, 0, 1, s0
	v_cmp_gt_u32_e64 s0, 28, v6
	v_lshlrev_b32_e32 v3, 3, v3
	s_delay_alu instid0(VALU_DEP_1)
	v_add_lshl_u32 v3, v3, v6, 2
	s_waitcnt lgkmcnt(0)
	v_add_f32_e32 v5, v5, v4
	v_cndmask_b32_e64 v4, 0, 1, s0
	v_cmp_gt_u32_e64 s0, 30, v6
	ds_bpermute_b32 v7, v3, v5
	s_waitcnt lgkmcnt(0)
	v_dual_add_f32 v7, v5, v7 :: v_dual_lshlrev_b32 v4, 2, v4
	s_delay_alu instid0(VALU_DEP_1) | instskip(SKIP_4) | instid1(VALU_DEP_1)
	v_add_lshl_u32 v4, v4, v6, 2
	v_cndmask_b32_e64 v5, 0, 1, s0
	v_cmp_ne_u32_e64 s0, 31, v6
	ds_bpermute_b32 v8, v4, v7
	v_lshlrev_b32_e32 v5, 1, v5
	v_add_lshl_u32 v5, v5, v6, 2
	v_add_co_ci_u32_e64 v6, s0, 0, v6, s0
	s_waitcnt lgkmcnt(0)
	s_delay_alu instid0(VALU_DEP_1)
	v_dual_add_f32 v7, v7, v8 :: v_dual_lshlrev_b32 v6, 2, v6
	ds_bpermute_b32 v8, v5, v7
	s_waitcnt lgkmcnt(0)
	v_add_f32_e32 v7, v7, v8
	ds_bpermute_b32 v8, v6, v7
	v_cmpx_eq_u32_e32 0, v1
	s_cbranch_execz .LBB552_8
; %bb.7:
	v_lshrrev_b32_e32 v1, 3, v0
	s_waitcnt lgkmcnt(0)
	v_add_f32_e32 v7, v7, v8
	s_delay_alu instid0(VALU_DEP_2)
	v_and_b32_e32 v1, 60, v1
	ds_store_b32 v1, v7
.LBB552_8:
	s_or_b32 exec_lo, exec_lo, s1
	v_mov_b32_e32 v1, 0
	s_mov_b32 s1, exec_lo
	s_waitcnt lgkmcnt(0)
	s_barrier
	buffer_gl0_inv
	v_cmpx_gt_u32_e32 16, v0
	s_cbranch_execz .LBB552_10
; %bb.9:
	ds_load_b32 v1, v2
.LBB552_10:
	s_or_b32 exec_lo, exec_lo, s1
	s_and_saveexec_b32 s0, vcc_lo
	s_cbranch_execz .LBB552_12
; %bb.11:
	s_waitcnt lgkmcnt(0)
	ds_bpermute_b32 v2, v3, v1
	s_waitcnt lgkmcnt(0)
	v_add_f32_e32 v1, v1, v2
	ds_bpermute_b32 v2, v4, v1
	s_waitcnt lgkmcnt(0)
	v_add_f32_e32 v1, v1, v2
	;; [unrolled: 3-line block ×4, first 2 shown]
.LBB552_12:
	s_or_b32 exec_lo, exec_lo, s0
	s_delay_alu instid0(SALU_CYCLE_1)
	s_mov_b32 s0, exec_lo
	v_cmpx_eq_u32_e32 0, v0
	s_cbranch_execz .LBB552_21
; %bb.13:
	s_cmp_lg_u32 s12, 1
	s_mov_b32 s15, -1
	s_cbranch_scc0 .LBB552_15
; %bb.14:
	s_mul_hi_u32 s1, s12, s2
	s_mul_i32 s0, s12, s2
	s_mov_b32 s15, 0
	s_lshl_b64 s[0:1], s[0:1], 2
	v_mov_b32_e32 v0, 0
	s_add_u32 s4, s4, s0
	s_addc_u32 s5, s5, s1
	s_lshl_b64 s[0:1], s[14:15], 2
	s_delay_alu instid0(SALU_CYCLE_1)
	s_add_u32 s0, s4, s0
	s_addc_u32 s1, s5, s1
	s_waitcnt lgkmcnt(0)
	global_store_b32 v0, v1, s[0:1]
.LBB552_15:
	s_and_not1_b32 vcc_lo, exec_lo, s15
	s_cbranch_vccnz .LBB552_21
; %bb.16:
	s_waitcnt lgkmcnt(0)
	v_and_b32_e32 v0, 0x7f800000, v1
	s_delay_alu instid0(VALU_DEP_1) | instskip(SKIP_1) | instid1(SALU_CYCLE_1)
	v_cmp_ne_u32_e32 vcc_lo, 0x7f800000, v0
                                        ; implicit-def: $vgpr0
	s_and_saveexec_b32 s0, vcc_lo
	s_xor_b32 s0, exec_lo, s0
; %bb.17:
	v_bfe_u32 v0, v1, 16, 1
	s_delay_alu instid0(VALU_DEP_1)
	v_add3_u32 v0, v1, v0, 0x7fff
                                        ; implicit-def: $vgpr1
; %bb.18:
	s_and_not1_saveexec_b32 s0, s0
; %bb.19:
	v_and_b32_e32 v0, 0xffff, v1
	v_or_b32_e32 v2, 0x10000, v1
	s_delay_alu instid0(VALU_DEP_2) | instskip(NEXT) | instid1(VALU_DEP_2)
	v_cmp_eq_u32_e32 vcc_lo, 0, v0
	v_cndmask_b32_e32 v0, v2, v1, vcc_lo
; %bb.20:
	s_or_b32 exec_lo, exec_lo, s0
	s_lshl_b64 s[0:1], s[2:3], 1
	v_mov_b32_e32 v1, 0
	s_add_u32 s0, s6, s0
	s_addc_u32 s1, s7, s1
	global_store_d16_hi_b16 v1, v0, s[0:1]
.LBB552_21:
	s_nop 0
	s_sendmsg sendmsg(MSG_DEALLOC_VGPRS)
	s_endpgm
	.section	.rodata,"a",@progbits
	.p2align	6, 0x0
	.amdhsa_kernel _ZL18rocblas_dot_kernelIiLb0ELi512ELi8ELb1E16rocblas_bfloat16PKPKS0_fEviT5_lT_lS5_lS6_liPT6_PT4_
		.amdhsa_group_segment_fixed_size 128
		.amdhsa_private_segment_fixed_size 0
		.amdhsa_kernarg_size 352
		.amdhsa_user_sgpr_count 14
		.amdhsa_user_sgpr_dispatch_ptr 0
		.amdhsa_user_sgpr_queue_ptr 0
		.amdhsa_user_sgpr_kernarg_segment_ptr 1
		.amdhsa_user_sgpr_dispatch_id 0
		.amdhsa_user_sgpr_private_segment_size 0
		.amdhsa_wavefront_size32 1
		.amdhsa_uses_dynamic_stack 0
		.amdhsa_enable_private_segment 0
		.amdhsa_system_sgpr_workgroup_id_x 1
		.amdhsa_system_sgpr_workgroup_id_y 0
		.amdhsa_system_sgpr_workgroup_id_z 1
		.amdhsa_system_sgpr_workgroup_info 0
		.amdhsa_system_vgpr_workitem_id 0
		.amdhsa_next_free_vgpr 9
		.amdhsa_next_free_sgpr 25
		.amdhsa_reserve_vcc 1
		.amdhsa_float_round_mode_32 0
		.amdhsa_float_round_mode_16_64 0
		.amdhsa_float_denorm_mode_32 3
		.amdhsa_float_denorm_mode_16_64 3
		.amdhsa_dx10_clamp 1
		.amdhsa_ieee_mode 1
		.amdhsa_fp16_overflow 0
		.amdhsa_workgroup_processor_mode 1
		.amdhsa_memory_ordered 1
		.amdhsa_forward_progress 0
		.amdhsa_shared_vgpr_count 0
		.amdhsa_exception_fp_ieee_invalid_op 0
		.amdhsa_exception_fp_denorm_src 0
		.amdhsa_exception_fp_ieee_div_zero 0
		.amdhsa_exception_fp_ieee_overflow 0
		.amdhsa_exception_fp_ieee_underflow 0
		.amdhsa_exception_fp_ieee_inexact 0
		.amdhsa_exception_int_div_zero 0
	.end_amdhsa_kernel
	.section	.text._ZL18rocblas_dot_kernelIiLb0ELi512ELi8ELb1E16rocblas_bfloat16PKPKS0_fEviT5_lT_lS5_lS6_liPT6_PT4_,"axG",@progbits,_ZL18rocblas_dot_kernelIiLb0ELi512ELi8ELb1E16rocblas_bfloat16PKPKS0_fEviT5_lT_lS5_lS6_liPT6_PT4_,comdat
.Lfunc_end552:
	.size	_ZL18rocblas_dot_kernelIiLb0ELi512ELi8ELb1E16rocblas_bfloat16PKPKS0_fEviT5_lT_lS5_lS6_liPT6_PT4_, .Lfunc_end552-_ZL18rocblas_dot_kernelIiLb0ELi512ELi8ELb1E16rocblas_bfloat16PKPKS0_fEviT5_lT_lS5_lS6_liPT6_PT4_
                                        ; -- End function
	.section	.AMDGPU.csdata,"",@progbits
; Kernel info:
; codeLenInByte = 1084
; NumSgprs: 27
; NumVgprs: 9
; ScratchSize: 0
; MemoryBound: 0
; FloatMode: 240
; IeeeMode: 1
; LDSByteSize: 128 bytes/workgroup (compile time only)
; SGPRBlocks: 3
; VGPRBlocks: 1
; NumSGPRsForWavesPerEU: 27
; NumVGPRsForWavesPerEU: 9
; Occupancy: 16
; WaveLimiterHint : 0
; COMPUTE_PGM_RSRC2:SCRATCH_EN: 0
; COMPUTE_PGM_RSRC2:USER_SGPR: 14
; COMPUTE_PGM_RSRC2:TRAP_HANDLER: 0
; COMPUTE_PGM_RSRC2:TGID_X_EN: 1
; COMPUTE_PGM_RSRC2:TGID_Y_EN: 0
; COMPUTE_PGM_RSRC2:TGID_Z_EN: 1
; COMPUTE_PGM_RSRC2:TIDIG_COMP_CNT: 0
	.section	.text._ZL24rocblas_dot_kernel_magsqIiLb0ELi512ELi8ELb1E16rocblas_bfloat16PKPKS0_fEviT5_lT_liPT6_PT4_,"axG",@progbits,_ZL24rocblas_dot_kernel_magsqIiLb0ELi512ELi8ELb1E16rocblas_bfloat16PKPKS0_fEviT5_lT_liPT6_PT4_,comdat
	.globl	_ZL24rocblas_dot_kernel_magsqIiLb0ELi512ELi8ELb1E16rocblas_bfloat16PKPKS0_fEviT5_lT_liPT6_PT4_ ; -- Begin function _ZL24rocblas_dot_kernel_magsqIiLb0ELi512ELi8ELb1E16rocblas_bfloat16PKPKS0_fEviT5_lT_liPT6_PT4_
	.p2align	8
	.type	_ZL24rocblas_dot_kernel_magsqIiLb0ELi512ELi8ELb1E16rocblas_bfloat16PKPKS0_fEviT5_lT_liPT6_PT4_,@function
_ZL24rocblas_dot_kernel_magsqIiLb0ELi512ELi8ELb1E16rocblas_bfloat16PKPKS0_fEviT5_lT_liPT6_PT4_: ; @_ZL24rocblas_dot_kernel_magsqIiLb0ELi512ELi8ELb1E16rocblas_bfloat16PKPKS0_fEviT5_lT_liPT6_PT4_
; %bb.0:
	s_clause 0x2
	s_load_b32 s11, s[0:1], 0x0
	s_load_b128 s[4:7], s[0:1], 0x30
	s_load_b32 s10, s[0:1], 0x40
	v_lshl_or_b32 v1, s14, 9, v0
	v_mov_b32_e32 v3, 0
	s_mov_b32 s2, s15
	s_mov_b32 s3, 0
	s_mov_b32 s12, exec_lo
	s_waitcnt lgkmcnt(0)
	v_cmpx_gt_i32_e64 s11, v1
	s_cbranch_execz .LBB553_4
; %bb.1:
	s_clause 0x1
	s_load_b128 s[16:19], s[0:1], 0x8
	s_load_b32 s13, s[0:1], 0x18
	s_lshl_b64 s[0:1], s[2:3], 3
	s_mov_b32 s15, s3
	s_waitcnt lgkmcnt(0)
	s_add_u32 s0, s16, s0
	s_addc_u32 s1, s17, s1
	v_mad_i64_i32 v[2:3], null, s13, v1, 0
	s_load_b64 s[8:9], s[0:1], 0x0
	s_lshl_b32 s1, s10, 9
	s_lshl_b64 s[16:17], s[18:19], 1
	v_add_nc_u32_e32 v4, s1, v1
	s_mul_hi_i32 s19, s13, s1
	s_mul_i32 s18, s13, s1
	s_delay_alu instid0(VALU_DEP_2)
	v_lshlrev_b64 v[1:2], 1, v[2:3]
	v_mov_b32_e32 v3, 0
	s_mov_b32 s13, s3
	s_waitcnt lgkmcnt(0)
	s_add_u32 s0, s8, s16
	s_addc_u32 s8, s9, s17
	v_add_co_u32 v1, vcc_lo, s0, v1
	v_add_co_ci_u32_e32 v2, vcc_lo, s8, v2, vcc_lo
	s_lshl_b64 s[8:9], s[18:19], 1
	.p2align	6
.LBB553_2:                              ; =>This Inner Loop Header: Depth=1
	global_load_u16 v5, v[1:2], off
	s_add_i32 s16, s15, 1
	v_cmp_le_i32_e32 vcc_lo, s11, v4
	v_add_co_u32 v1, s0, v1, s8
	s_cmp_gt_u32 s15, 6
	v_add_co_ci_u32_e64 v2, s0, s9, v2, s0
	s_cselect_b32 s0, -1, 0
	s_mov_b32 s15, s16
	s_or_b32 s0, s0, vcc_lo
	s_delay_alu instid0(SALU_CYCLE_1) | instskip(NEXT) | instid1(SALU_CYCLE_1)
	s_and_b32 s0, exec_lo, s0
	s_or_b32 s13, s0, s13
	s_waitcnt vmcnt(0)
	v_lshlrev_b32_e32 v5, 16, v5
	s_delay_alu instid0(VALU_DEP_1)
	v_dual_fmac_f32 v3, v5, v5 :: v_dual_add_nc_u32 v4, s1, v4
	s_and_not1_b32 exec_lo, exec_lo, s13
	s_cbranch_execnz .LBB553_2
; %bb.3:
	s_or_b32 exec_lo, exec_lo, s13
.LBB553_4:
	s_delay_alu instid0(SALU_CYCLE_1) | instskip(SKIP_2) | instid1(VALU_DEP_2)
	s_or_b32 exec_lo, exec_lo, s12
	v_and_b32_e32 v1, 31, v0
	v_cmp_gt_u32_e32 vcc_lo, 32, v0
	v_lshlrev_b32_e32 v2, 2, v1
	s_and_saveexec_b32 s0, vcc_lo
	s_cbranch_execz .LBB553_6
; %bb.5:
	v_mov_b32_e32 v4, 0
	ds_store_b32 v2, v4
.LBB553_6:
	s_or_b32 exec_lo, exec_lo, s0
	v_mbcnt_lo_u32_b32 v6, -1, 0
	s_mov_b32 s1, exec_lo
	s_waitcnt lgkmcnt(0)
	s_barrier
	buffer_gl0_inv
	v_cmp_gt_u32_e64 s0, 16, v6
	s_delay_alu instid0(VALU_DEP_1) | instskip(SKIP_1) | instid1(VALU_DEP_2)
	v_cndmask_b32_e64 v4, 0, 1, s0
	v_cmp_gt_u32_e64 s0, 24, v6
	v_lshlrev_b32_e32 v4, 4, v4
	s_delay_alu instid0(VALU_DEP_1) | instskip(SKIP_4) | instid1(VALU_DEP_2)
	v_add_lshl_u32 v4, v4, v6, 2
	ds_bpermute_b32 v5, v4, v3
	v_cndmask_b32_e64 v4, 0, 1, s0
	v_cmp_gt_u32_e64 s0, 28, v6
	s_waitcnt lgkmcnt(0)
	v_dual_add_f32 v5, v3, v5 :: v_dual_lshlrev_b32 v4, 3, v4
	s_delay_alu instid0(VALU_DEP_2) | instskip(SKIP_1) | instid1(VALU_DEP_3)
	v_cndmask_b32_e64 v3, 0, 1, s0
	v_cmp_gt_u32_e64 s0, 30, v6
	v_add_lshl_u32 v4, v4, v6, 2
	s_delay_alu instid0(VALU_DEP_3)
	v_lshlrev_b32_e32 v3, 2, v3
	ds_bpermute_b32 v7, v4, v5
	v_add_lshl_u32 v3, v3, v6, 2
	s_waitcnt lgkmcnt(0)
	v_add_f32_e32 v7, v5, v7
	v_cndmask_b32_e64 v5, 0, 1, s0
	v_cmp_ne_u32_e64 s0, 31, v6
	ds_bpermute_b32 v8, v3, v7
	v_lshlrev_b32_e32 v5, 1, v5
	s_delay_alu instid0(VALU_DEP_1) | instskip(SKIP_2) | instid1(VALU_DEP_1)
	v_add_lshl_u32 v5, v5, v6, 2
	v_add_co_ci_u32_e64 v6, s0, 0, v6, s0
	s_waitcnt lgkmcnt(0)
	v_dual_add_f32 v7, v7, v8 :: v_dual_lshlrev_b32 v6, 2, v6
	ds_bpermute_b32 v8, v5, v7
	s_waitcnt lgkmcnt(0)
	v_add_f32_e32 v7, v7, v8
	ds_bpermute_b32 v8, v6, v7
	v_cmpx_eq_u32_e32 0, v1
	s_cbranch_execz .LBB553_8
; %bb.7:
	v_lshrrev_b32_e32 v1, 3, v0
	s_waitcnt lgkmcnt(0)
	v_add_f32_e32 v7, v7, v8
	s_delay_alu instid0(VALU_DEP_2)
	v_and_b32_e32 v1, 60, v1
	ds_store_b32 v1, v7
.LBB553_8:
	s_or_b32 exec_lo, exec_lo, s1
	v_mov_b32_e32 v1, 0
	s_mov_b32 s1, exec_lo
	s_waitcnt lgkmcnt(0)
	s_barrier
	buffer_gl0_inv
	v_cmpx_gt_u32_e32 16, v0
	s_cbranch_execz .LBB553_10
; %bb.9:
	ds_load_b32 v1, v2
.LBB553_10:
	s_or_b32 exec_lo, exec_lo, s1
	s_and_saveexec_b32 s0, vcc_lo
	s_cbranch_execz .LBB553_12
; %bb.11:
	s_waitcnt lgkmcnt(0)
	ds_bpermute_b32 v2, v4, v1
	s_waitcnt lgkmcnt(0)
	v_add_f32_e32 v1, v1, v2
	ds_bpermute_b32 v2, v3, v1
	s_waitcnt lgkmcnt(0)
	v_add_f32_e32 v1, v1, v2
	;; [unrolled: 3-line block ×4, first 2 shown]
.LBB553_12:
	s_or_b32 exec_lo, exec_lo, s0
	s_delay_alu instid0(SALU_CYCLE_1)
	s_mov_b32 s0, exec_lo
	v_cmpx_eq_u32_e32 0, v0
	s_cbranch_execz .LBB553_21
; %bb.13:
	s_cmp_lg_u32 s10, 1
	s_mov_b32 s15, -1
	s_cbranch_scc0 .LBB553_15
; %bb.14:
	s_mul_hi_u32 s1, s10, s2
	s_mul_i32 s0, s10, s2
	s_mov_b32 s15, 0
	s_lshl_b64 s[0:1], s[0:1], 2
	v_mov_b32_e32 v0, 0
	s_add_u32 s4, s4, s0
	s_addc_u32 s5, s5, s1
	s_lshl_b64 s[0:1], s[14:15], 2
	s_delay_alu instid0(SALU_CYCLE_1)
	s_add_u32 s0, s4, s0
	s_addc_u32 s1, s5, s1
	s_waitcnt lgkmcnt(0)
	global_store_b32 v0, v1, s[0:1]
.LBB553_15:
	s_and_not1_b32 vcc_lo, exec_lo, s15
	s_cbranch_vccnz .LBB553_21
; %bb.16:
	s_waitcnt lgkmcnt(0)
	v_and_b32_e32 v0, 0x7f800000, v1
	s_delay_alu instid0(VALU_DEP_1) | instskip(SKIP_1) | instid1(SALU_CYCLE_1)
	v_cmp_ne_u32_e32 vcc_lo, 0x7f800000, v0
                                        ; implicit-def: $vgpr0
	s_and_saveexec_b32 s0, vcc_lo
	s_xor_b32 s0, exec_lo, s0
; %bb.17:
	v_bfe_u32 v0, v1, 16, 1
	s_delay_alu instid0(VALU_DEP_1)
	v_add3_u32 v0, v1, v0, 0x7fff
                                        ; implicit-def: $vgpr1
; %bb.18:
	s_and_not1_saveexec_b32 s0, s0
; %bb.19:
	v_and_b32_e32 v0, 0xffff, v1
	v_or_b32_e32 v2, 0x10000, v1
	s_delay_alu instid0(VALU_DEP_2) | instskip(NEXT) | instid1(VALU_DEP_2)
	v_cmp_eq_u32_e32 vcc_lo, 0, v0
	v_cndmask_b32_e32 v0, v2, v1, vcc_lo
; %bb.20:
	s_or_b32 exec_lo, exec_lo, s0
	s_lshl_b64 s[0:1], s[2:3], 1
	v_mov_b32_e32 v1, 0
	s_add_u32 s0, s6, s0
	s_addc_u32 s1, s7, s1
	global_store_d16_hi_b16 v1, v0, s[0:1]
.LBB553_21:
	s_nop 0
	s_sendmsg sendmsg(MSG_DEALLOC_VGPRS)
	s_endpgm
	.section	.rodata,"a",@progbits
	.p2align	6, 0x0
	.amdhsa_kernel _ZL24rocblas_dot_kernel_magsqIiLb0ELi512ELi8ELb1E16rocblas_bfloat16PKPKS0_fEviT5_lT_liPT6_PT4_
		.amdhsa_group_segment_fixed_size 128
		.amdhsa_private_segment_fixed_size 0
		.amdhsa_kernarg_size 320
		.amdhsa_user_sgpr_count 14
		.amdhsa_user_sgpr_dispatch_ptr 0
		.amdhsa_user_sgpr_queue_ptr 0
		.amdhsa_user_sgpr_kernarg_segment_ptr 1
		.amdhsa_user_sgpr_dispatch_id 0
		.amdhsa_user_sgpr_private_segment_size 0
		.amdhsa_wavefront_size32 1
		.amdhsa_uses_dynamic_stack 0
		.amdhsa_enable_private_segment 0
		.amdhsa_system_sgpr_workgroup_id_x 1
		.amdhsa_system_sgpr_workgroup_id_y 0
		.amdhsa_system_sgpr_workgroup_id_z 1
		.amdhsa_system_sgpr_workgroup_info 0
		.amdhsa_system_vgpr_workitem_id 0
		.amdhsa_next_free_vgpr 9
		.amdhsa_next_free_sgpr 20
		.amdhsa_reserve_vcc 1
		.amdhsa_float_round_mode_32 0
		.amdhsa_float_round_mode_16_64 0
		.amdhsa_float_denorm_mode_32 3
		.amdhsa_float_denorm_mode_16_64 3
		.amdhsa_dx10_clamp 1
		.amdhsa_ieee_mode 1
		.amdhsa_fp16_overflow 0
		.amdhsa_workgroup_processor_mode 1
		.amdhsa_memory_ordered 1
		.amdhsa_forward_progress 0
		.amdhsa_shared_vgpr_count 0
		.amdhsa_exception_fp_ieee_invalid_op 0
		.amdhsa_exception_fp_denorm_src 0
		.amdhsa_exception_fp_ieee_div_zero 0
		.amdhsa_exception_fp_ieee_overflow 0
		.amdhsa_exception_fp_ieee_underflow 0
		.amdhsa_exception_fp_ieee_inexact 0
		.amdhsa_exception_int_div_zero 0
	.end_amdhsa_kernel
	.section	.text._ZL24rocblas_dot_kernel_magsqIiLb0ELi512ELi8ELb1E16rocblas_bfloat16PKPKS0_fEviT5_lT_liPT6_PT4_,"axG",@progbits,_ZL24rocblas_dot_kernel_magsqIiLb0ELi512ELi8ELb1E16rocblas_bfloat16PKPKS0_fEviT5_lT_liPT6_PT4_,comdat
.Lfunc_end553:
	.size	_ZL24rocblas_dot_kernel_magsqIiLb0ELi512ELi8ELb1E16rocblas_bfloat16PKPKS0_fEviT5_lT_liPT6_PT4_, .Lfunc_end553-_ZL24rocblas_dot_kernel_magsqIiLb0ELi512ELi8ELb1E16rocblas_bfloat16PKPKS0_fEviT5_lT_liPT6_PT4_
                                        ; -- End function
	.section	.AMDGPU.csdata,"",@progbits
; Kernel info:
; codeLenInByte = 964
; NumSgprs: 22
; NumVgprs: 9
; ScratchSize: 0
; MemoryBound: 0
; FloatMode: 240
; IeeeMode: 1
; LDSByteSize: 128 bytes/workgroup (compile time only)
; SGPRBlocks: 2
; VGPRBlocks: 1
; NumSGPRsForWavesPerEU: 22
; NumVGPRsForWavesPerEU: 9
; Occupancy: 16
; WaveLimiterHint : 0
; COMPUTE_PGM_RSRC2:SCRATCH_EN: 0
; COMPUTE_PGM_RSRC2:USER_SGPR: 14
; COMPUTE_PGM_RSRC2:TRAP_HANDLER: 0
; COMPUTE_PGM_RSRC2:TGID_X_EN: 1
; COMPUTE_PGM_RSRC2:TGID_Y_EN: 0
; COMPUTE_PGM_RSRC2:TGID_Z_EN: 1
; COMPUTE_PGM_RSRC2:TIDIG_COMP_CNT: 0
	.section	.text._ZL28rocblas_dot_batched_4_kernelIiLi32ELi4ELb1EffPKPK16rocblas_bfloat16EviT5_lT_lS5_lS6_liPT4_,"axG",@progbits,_ZL28rocblas_dot_batched_4_kernelIiLi32ELi4ELb1EffPKPK16rocblas_bfloat16EviT5_lT_lS5_lS6_liPT4_,comdat
	.globl	_ZL28rocblas_dot_batched_4_kernelIiLi32ELi4ELb1EffPKPK16rocblas_bfloat16EviT5_lT_lS5_lS6_liPT4_ ; -- Begin function _ZL28rocblas_dot_batched_4_kernelIiLi32ELi4ELb1EffPKPK16rocblas_bfloat16EviT5_lT_lS5_lS6_liPT4_
	.p2align	8
	.type	_ZL28rocblas_dot_batched_4_kernelIiLi32ELi4ELb1EffPKPK16rocblas_bfloat16EviT5_lT_lS5_lS6_liPT4_,@function
_ZL28rocblas_dot_batched_4_kernelIiLi32ELi4ELb1EffPKPK16rocblas_bfloat16EviT5_lT_lS5_lS6_liPT4_: ; @_ZL28rocblas_dot_batched_4_kernelIiLi32ELi4ELb1EffPKPK16rocblas_bfloat16EviT5_lT_lS5_lS6_liPT4_
; %bb.0:
	s_load_b32 s2, s[0:1], 0x48
	v_bfe_u32 v1, v0, 10, 10
	s_delay_alu instid0(VALU_DEP_1) | instskip(SKIP_1) | instid1(VALU_DEP_1)
	v_lshl_add_u32 v1, s15, 2, v1
	s_waitcnt lgkmcnt(0)
	v_cmp_gt_u32_e32 vcc_lo, s2, v1
	s_and_saveexec_b32 s2, vcc_lo
	s_cbranch_execz .LBB554_7
; %bb.1:
	s_clause 0x1
	s_load_b32 s12, s[0:1], 0x0
	s_load_b64 s[2:3], s[0:1], 0x50
	v_mov_b32_e32 v2, 0
	v_and_b32_e32 v0, 0x3ff, v0
	s_mov_b32 s13, exec_lo
	s_delay_alu instid0(VALU_DEP_2) | instskip(SKIP_1) | instid1(VALU_DEP_2)
	v_mov_b32_e32 v7, v2
	s_waitcnt lgkmcnt(0)
	v_cmpx_gt_i32_e64 s12, v0
	s_cbranch_execz .LBB554_5
; %bb.2:
	s_clause 0x1
	s_load_b128 s[4:7], s[0:1], 0x8
	s_load_b128 s[8:11], s[0:1], 0x28
	v_lshlrev_b64 v[3:4], 3, v[1:2]
	s_clause 0x1
	s_load_b32 s14, s[0:1], 0x18
	s_load_b32 s0, s[0:1], 0x38
	v_mov_b32_e32 v7, 0
	s_waitcnt lgkmcnt(0)
	v_add_co_u32 v5, vcc_lo, s4, v3
	v_add_co_ci_u32_e32 v6, vcc_lo, s5, v4, vcc_lo
	v_add_co_u32 v3, vcc_lo, s8, v3
	v_add_co_ci_u32_e32 v4, vcc_lo, s9, v4, vcc_lo
	v_mad_i64_i32 v[10:11], null, s0, v0, 0
	global_load_b64 v[5:6], v[5:6], off
	global_load_b64 v[8:9], v[3:4], off
	v_mad_i64_i32 v[3:4], null, s14, v0, 0
	s_lshl_b64 s[4:5], s[6:7], 1
	s_lshl_b64 s[6:7], s[10:11], 1
	s_ashr_i32 s15, s14, 31
	v_lshlrev_b64 v[10:11], 1, v[10:11]
	s_ashr_i32 s1, s0, 31
	s_delay_alu instid0(VALU_DEP_2) | instskip(NEXT) | instid1(VALU_DEP_1)
	v_lshlrev_b64 v[3:4], 1, v[3:4]
	v_add_co_u32 v3, vcc_lo, v3, s4
	s_delay_alu instid0(VALU_DEP_2) | instskip(NEXT) | instid1(VALU_DEP_4)
	v_add_co_ci_u32_e32 v4, vcc_lo, s5, v4, vcc_lo
	v_add_co_u32 v10, vcc_lo, v10, s6
	v_add_co_ci_u32_e32 v11, vcc_lo, s7, v11, vcc_lo
	s_lshl_b64 s[4:5], s[14:15], 6
	s_lshl_b64 s[6:7], s[0:1], 6
	s_mov_b32 s1, 0
	s_waitcnt vmcnt(1)
	v_add_co_u32 v3, vcc_lo, v5, v3
	v_add_co_ci_u32_e32 v4, vcc_lo, v6, v4, vcc_lo
	s_waitcnt vmcnt(0)
	v_add_co_u32 v5, vcc_lo, v8, v10
	v_mov_b32_e32 v8, v0
	v_add_co_ci_u32_e32 v6, vcc_lo, v9, v11, vcc_lo
	.p2align	6
.LBB554_3:                              ; =>This Inner Loop Header: Depth=1
	global_load_u16 v9, v[5:6], off
	global_load_u16 v10, v[3:4], off
	v_add_co_u32 v3, vcc_lo, v3, s4
	v_add_co_ci_u32_e32 v4, vcc_lo, s5, v4, vcc_lo
	v_add_co_u32 v5, vcc_lo, v5, s6
	v_add_co_ci_u32_e32 v6, vcc_lo, s7, v6, vcc_lo
	s_waitcnt vmcnt(1)
	v_lshlrev_b32_e32 v9, 16, v9
	s_waitcnt vmcnt(0)
	v_lshlrev_b32_e32 v10, 16, v10
	s_delay_alu instid0(VALU_DEP_1) | instskip(NEXT) | instid1(VALU_DEP_1)
	v_dual_fmac_f32 v7, v10, v9 :: v_dual_add_nc_u32 v8, 32, v8
	v_cmp_le_i32_e64 s0, s12, v8
	s_delay_alu instid0(VALU_DEP_1) | instskip(NEXT) | instid1(SALU_CYCLE_1)
	s_or_b32 s1, s0, s1
	s_and_not1_b32 exec_lo, exec_lo, s1
	s_cbranch_execnz .LBB554_3
; %bb.4:
	s_or_b32 exec_lo, exec_lo, s1
.LBB554_5:
	s_delay_alu instid0(SALU_CYCLE_1)
	s_or_b32 exec_lo, exec_lo, s13
	v_mbcnt_lo_u32_b32 v3, -1, 0
	s_barrier
	buffer_gl0_inv
	v_cmp_gt_u32_e32 vcc_lo, 16, v3
	v_cndmask_b32_e64 v4, 0, 1, vcc_lo
	v_cmp_gt_u32_e32 vcc_lo, 24, v3
	s_delay_alu instid0(VALU_DEP_2) | instskip(SKIP_2) | instid1(VALU_DEP_3)
	v_lshlrev_b32_e32 v4, 4, v4
	v_cndmask_b32_e64 v5, 0, 1, vcc_lo
	v_cmp_gt_u32_e32 vcc_lo, 28, v3
	v_add_lshl_u32 v4, v4, v3, 2
	v_cndmask_b32_e64 v6, 0, 1, vcc_lo
	v_cmp_gt_u32_e32 vcc_lo, 30, v3
	ds_bpermute_b32 v4, v4, v7
	v_lshlrev_b32_e32 v5, 3, v5
	v_lshlrev_b32_e32 v6, 2, v6
	s_delay_alu instid0(VALU_DEP_1)
	v_add_lshl_u32 v6, v6, v3, 2
	s_waitcnt lgkmcnt(0)
	v_add_f32_e32 v4, v7, v4
	v_add_lshl_u32 v5, v5, v3, 2
	ds_bpermute_b32 v5, v5, v4
	s_waitcnt lgkmcnt(0)
	v_add_f32_e32 v4, v4, v5
	ds_bpermute_b32 v5, v6, v4
	v_cndmask_b32_e64 v6, 0, 1, vcc_lo
	v_cmp_ne_u32_e32 vcc_lo, 31, v3
	s_delay_alu instid0(VALU_DEP_2) | instskip(NEXT) | instid1(VALU_DEP_1)
	v_lshlrev_b32_e32 v6, 1, v6
	v_add_lshl_u32 v6, v6, v3, 2
	s_waitcnt lgkmcnt(0)
	v_add_f32_e32 v4, v4, v5
	ds_bpermute_b32 v5, v6, v4
	v_add_co_ci_u32_e32 v6, vcc_lo, 0, v3, vcc_lo
	v_cmp_eq_u32_e32 vcc_lo, 0, v0
	s_waitcnt lgkmcnt(0)
	s_delay_alu instid0(VALU_DEP_2)
	v_dual_add_f32 v3, v4, v5 :: v_dual_lshlrev_b32 v4, 2, v6
	ds_bpermute_b32 v4, v4, v3
	s_and_b32 exec_lo, exec_lo, vcc_lo
	s_cbranch_execz .LBB554_7
; %bb.6:
	v_lshlrev_b64 v[0:1], 2, v[1:2]
	s_waitcnt lgkmcnt(0)
	v_add_f32_e32 v2, v3, v4
	s_delay_alu instid0(VALU_DEP_2) | instskip(NEXT) | instid1(VALU_DEP_3)
	v_add_co_u32 v0, vcc_lo, s2, v0
	v_add_co_ci_u32_e32 v1, vcc_lo, s3, v1, vcc_lo
	global_store_b32 v[0:1], v2, off
.LBB554_7:
	s_nop 0
	s_sendmsg sendmsg(MSG_DEALLOC_VGPRS)
	s_endpgm
	.section	.rodata,"a",@progbits
	.p2align	6, 0x0
	.amdhsa_kernel _ZL28rocblas_dot_batched_4_kernelIiLi32ELi4ELb1EffPKPK16rocblas_bfloat16EviT5_lT_lS5_lS6_liPT4_
		.amdhsa_group_segment_fixed_size 0
		.amdhsa_private_segment_fixed_size 0
		.amdhsa_kernarg_size 88
		.amdhsa_user_sgpr_count 15
		.amdhsa_user_sgpr_dispatch_ptr 0
		.amdhsa_user_sgpr_queue_ptr 0
		.amdhsa_user_sgpr_kernarg_segment_ptr 1
		.amdhsa_user_sgpr_dispatch_id 0
		.amdhsa_user_sgpr_private_segment_size 0
		.amdhsa_wavefront_size32 1
		.amdhsa_uses_dynamic_stack 0
		.amdhsa_enable_private_segment 0
		.amdhsa_system_sgpr_workgroup_id_x 1
		.amdhsa_system_sgpr_workgroup_id_y 0
		.amdhsa_system_sgpr_workgroup_id_z 0
		.amdhsa_system_sgpr_workgroup_info 0
		.amdhsa_system_vgpr_workitem_id 1
		.amdhsa_next_free_vgpr 12
		.amdhsa_next_free_sgpr 16
		.amdhsa_reserve_vcc 1
		.amdhsa_float_round_mode_32 0
		.amdhsa_float_round_mode_16_64 0
		.amdhsa_float_denorm_mode_32 3
		.amdhsa_float_denorm_mode_16_64 3
		.amdhsa_dx10_clamp 1
		.amdhsa_ieee_mode 1
		.amdhsa_fp16_overflow 0
		.amdhsa_workgroup_processor_mode 1
		.amdhsa_memory_ordered 1
		.amdhsa_forward_progress 0
		.amdhsa_shared_vgpr_count 0
		.amdhsa_exception_fp_ieee_invalid_op 0
		.amdhsa_exception_fp_denorm_src 0
		.amdhsa_exception_fp_ieee_div_zero 0
		.amdhsa_exception_fp_ieee_overflow 0
		.amdhsa_exception_fp_ieee_underflow 0
		.amdhsa_exception_fp_ieee_inexact 0
		.amdhsa_exception_int_div_zero 0
	.end_amdhsa_kernel
	.section	.text._ZL28rocblas_dot_batched_4_kernelIiLi32ELi4ELb1EffPKPK16rocblas_bfloat16EviT5_lT_lS5_lS6_liPT4_,"axG",@progbits,_ZL28rocblas_dot_batched_4_kernelIiLi32ELi4ELb1EffPKPK16rocblas_bfloat16EviT5_lT_lS5_lS6_liPT4_,comdat
.Lfunc_end554:
	.size	_ZL28rocblas_dot_batched_4_kernelIiLi32ELi4ELb1EffPKPK16rocblas_bfloat16EviT5_lT_lS5_lS6_liPT4_, .Lfunc_end554-_ZL28rocblas_dot_batched_4_kernelIiLi32ELi4ELb1EffPKPK16rocblas_bfloat16EviT5_lT_lS5_lS6_liPT4_
                                        ; -- End function
	.section	.AMDGPU.csdata,"",@progbits
; Kernel info:
; codeLenInByte = 712
; NumSgprs: 18
; NumVgprs: 12
; ScratchSize: 0
; MemoryBound: 0
; FloatMode: 240
; IeeeMode: 1
; LDSByteSize: 0 bytes/workgroup (compile time only)
; SGPRBlocks: 2
; VGPRBlocks: 1
; NumSGPRsForWavesPerEU: 18
; NumVGPRsForWavesPerEU: 12
; Occupancy: 16
; WaveLimiterHint : 0
; COMPUTE_PGM_RSRC2:SCRATCH_EN: 0
; COMPUTE_PGM_RSRC2:USER_SGPR: 15
; COMPUTE_PGM_RSRC2:TRAP_HANDLER: 0
; COMPUTE_PGM_RSRC2:TGID_X_EN: 1
; COMPUTE_PGM_RSRC2:TGID_Y_EN: 0
; COMPUTE_PGM_RSRC2:TGID_Z_EN: 0
; COMPUTE_PGM_RSRC2:TIDIG_COMP_CNT: 1
	.section	.text._ZL28rocblas_dot_batched_4_kernelIiLi64ELi4ELb1EffPKPK16rocblas_bfloat16EviT5_lT_lS5_lS6_liPT4_,"axG",@progbits,_ZL28rocblas_dot_batched_4_kernelIiLi64ELi4ELb1EffPKPK16rocblas_bfloat16EviT5_lT_lS5_lS6_liPT4_,comdat
	.globl	_ZL28rocblas_dot_batched_4_kernelIiLi64ELi4ELb1EffPKPK16rocblas_bfloat16EviT5_lT_lS5_lS6_liPT4_ ; -- Begin function _ZL28rocblas_dot_batched_4_kernelIiLi64ELi4ELb1EffPKPK16rocblas_bfloat16EviT5_lT_lS5_lS6_liPT4_
	.p2align	8
	.type	_ZL28rocblas_dot_batched_4_kernelIiLi64ELi4ELb1EffPKPK16rocblas_bfloat16EviT5_lT_lS5_lS6_liPT4_,@function
_ZL28rocblas_dot_batched_4_kernelIiLi64ELi4ELb1EffPKPK16rocblas_bfloat16EviT5_lT_lS5_lS6_liPT4_: ; @_ZL28rocblas_dot_batched_4_kernelIiLi64ELi4ELb1EffPKPK16rocblas_bfloat16EviT5_lT_lS5_lS6_liPT4_
; %bb.0:
	s_load_b32 s2, s[0:1], 0x48
	v_bfe_u32 v1, v0, 10, 10
	s_delay_alu instid0(VALU_DEP_1) | instskip(SKIP_1) | instid1(VALU_DEP_1)
	v_lshl_add_u32 v1, s15, 2, v1
	s_waitcnt lgkmcnt(0)
	v_cmp_gt_u32_e32 vcc_lo, s2, v1
	s_and_saveexec_b32 s2, vcc_lo
	s_cbranch_execz .LBB555_7
; %bb.1:
	s_clause 0x1
	s_load_b32 s12, s[0:1], 0x0
	s_load_b64 s[2:3], s[0:1], 0x50
	v_mov_b32_e32 v2, 0
	v_and_b32_e32 v0, 0x3ff, v0
	s_mov_b32 s13, exec_lo
	s_delay_alu instid0(VALU_DEP_2) | instskip(SKIP_1) | instid1(VALU_DEP_2)
	v_mov_b32_e32 v7, v2
	s_waitcnt lgkmcnt(0)
	v_cmpx_gt_i32_e64 s12, v0
	s_cbranch_execz .LBB555_5
; %bb.2:
	s_clause 0x1
	s_load_b128 s[4:7], s[0:1], 0x8
	s_load_b128 s[8:11], s[0:1], 0x28
	v_lshlrev_b64 v[3:4], 3, v[1:2]
	s_clause 0x1
	s_load_b32 s14, s[0:1], 0x18
	s_load_b32 s0, s[0:1], 0x38
	v_mov_b32_e32 v7, 0
	s_waitcnt lgkmcnt(0)
	v_add_co_u32 v5, vcc_lo, s4, v3
	v_add_co_ci_u32_e32 v6, vcc_lo, s5, v4, vcc_lo
	v_add_co_u32 v3, vcc_lo, s8, v3
	v_add_co_ci_u32_e32 v4, vcc_lo, s9, v4, vcc_lo
	v_mad_i64_i32 v[10:11], null, s0, v0, 0
	global_load_b64 v[5:6], v[5:6], off
	global_load_b64 v[8:9], v[3:4], off
	v_mad_i64_i32 v[3:4], null, s14, v0, 0
	s_lshl_b64 s[4:5], s[6:7], 1
	s_lshl_b64 s[6:7], s[10:11], 1
	s_ashr_i32 s15, s14, 31
	v_lshlrev_b64 v[10:11], 1, v[10:11]
	s_ashr_i32 s1, s0, 31
	s_delay_alu instid0(VALU_DEP_2) | instskip(NEXT) | instid1(VALU_DEP_1)
	v_lshlrev_b64 v[3:4], 1, v[3:4]
	v_add_co_u32 v3, vcc_lo, v3, s4
	s_delay_alu instid0(VALU_DEP_2) | instskip(NEXT) | instid1(VALU_DEP_4)
	v_add_co_ci_u32_e32 v4, vcc_lo, s5, v4, vcc_lo
	v_add_co_u32 v10, vcc_lo, v10, s6
	v_add_co_ci_u32_e32 v11, vcc_lo, s7, v11, vcc_lo
	s_lshl_b64 s[4:5], s[14:15], 7
	s_lshl_b64 s[6:7], s[0:1], 7
	s_mov_b32 s1, 0
	s_waitcnt vmcnt(1)
	v_add_co_u32 v3, vcc_lo, v5, v3
	v_add_co_ci_u32_e32 v4, vcc_lo, v6, v4, vcc_lo
	s_waitcnt vmcnt(0)
	v_add_co_u32 v5, vcc_lo, v8, v10
	v_mov_b32_e32 v8, v0
	v_add_co_ci_u32_e32 v6, vcc_lo, v9, v11, vcc_lo
	.p2align	6
.LBB555_3:                              ; =>This Inner Loop Header: Depth=1
	global_load_u16 v9, v[5:6], off
	global_load_u16 v10, v[3:4], off
	v_add_co_u32 v3, vcc_lo, v3, s4
	v_add_co_ci_u32_e32 v4, vcc_lo, s5, v4, vcc_lo
	v_add_co_u32 v5, vcc_lo, v5, s6
	v_add_co_ci_u32_e32 v6, vcc_lo, s7, v6, vcc_lo
	s_waitcnt vmcnt(1)
	v_lshlrev_b32_e32 v9, 16, v9
	s_waitcnt vmcnt(0)
	v_lshlrev_b32_e32 v10, 16, v10
	s_delay_alu instid0(VALU_DEP_1) | instskip(NEXT) | instid1(VALU_DEP_1)
	v_dual_fmac_f32 v7, v10, v9 :: v_dual_add_nc_u32 v8, 64, v8
	v_cmp_le_i32_e64 s0, s12, v8
	s_delay_alu instid0(VALU_DEP_1) | instskip(NEXT) | instid1(SALU_CYCLE_1)
	s_or_b32 s1, s0, s1
	s_and_not1_b32 exec_lo, exec_lo, s1
	s_cbranch_execnz .LBB555_3
; %bb.4:
	s_or_b32 exec_lo, exec_lo, s1
.LBB555_5:
	s_delay_alu instid0(SALU_CYCLE_1)
	s_or_b32 exec_lo, exec_lo, s13
	v_mbcnt_lo_u32_b32 v3, -1, 0
	s_barrier
	buffer_gl0_inv
	v_lshlrev_b32_e32 v4, 2, v3
	v_cmp_gt_u32_e32 vcc_lo, 16, v3
	ds_bpermute_b32 v4, v4, v7
	v_cndmask_b32_e64 v5, 0, 1, vcc_lo
	v_cmp_gt_u32_e32 vcc_lo, 24, v3
	s_delay_alu instid0(VALU_DEP_2) | instskip(SKIP_2) | instid1(VALU_DEP_2)
	v_lshlrev_b32_e32 v5, 4, v5
	v_cndmask_b32_e64 v6, 0, 1, vcc_lo
	v_cmp_gt_u32_e32 vcc_lo, 28, v3
	v_lshlrev_b32_e32 v6, 3, v6
	s_delay_alu instid0(VALU_DEP_1)
	v_add_lshl_u32 v6, v6, v3, 2
	s_waitcnt lgkmcnt(0)
	v_add_f32_e32 v4, v7, v4
	v_add_lshl_u32 v5, v5, v3, 2
	ds_bpermute_b32 v5, v5, v4
	s_waitcnt lgkmcnt(0)
	v_add_f32_e32 v4, v4, v5
	ds_bpermute_b32 v5, v6, v4
	v_cndmask_b32_e64 v6, 0, 1, vcc_lo
	v_cmp_gt_u32_e32 vcc_lo, 30, v3
	s_delay_alu instid0(VALU_DEP_2) | instskip(NEXT) | instid1(VALU_DEP_1)
	v_lshlrev_b32_e32 v6, 2, v6
	v_add_lshl_u32 v6, v6, v3, 2
	s_waitcnt lgkmcnt(0)
	v_add_f32_e32 v4, v4, v5
	ds_bpermute_b32 v5, v6, v4
	v_cndmask_b32_e64 v6, 0, 1, vcc_lo
	v_cmp_ne_u32_e32 vcc_lo, 31, v3
	s_delay_alu instid0(VALU_DEP_2) | instskip(NEXT) | instid1(VALU_DEP_1)
	v_lshlrev_b32_e32 v6, 1, v6
	v_add_lshl_u32 v6, v6, v3, 2
	s_waitcnt lgkmcnt(0)
	v_add_f32_e32 v4, v4, v5
	ds_bpermute_b32 v5, v6, v4
	v_add_co_ci_u32_e32 v6, vcc_lo, 0, v3, vcc_lo
	v_cmp_eq_u32_e32 vcc_lo, 0, v0
	s_waitcnt lgkmcnt(0)
	s_delay_alu instid0(VALU_DEP_2)
	v_dual_add_f32 v3, v4, v5 :: v_dual_lshlrev_b32 v4, 2, v6
	ds_bpermute_b32 v4, v4, v3
	s_and_b32 exec_lo, exec_lo, vcc_lo
	s_cbranch_execz .LBB555_7
; %bb.6:
	v_lshlrev_b64 v[0:1], 2, v[1:2]
	s_waitcnt lgkmcnt(0)
	v_add_f32_e32 v2, v3, v4
	s_delay_alu instid0(VALU_DEP_2) | instskip(NEXT) | instid1(VALU_DEP_3)
	v_add_co_u32 v0, vcc_lo, s2, v0
	v_add_co_ci_u32_e32 v1, vcc_lo, s3, v1, vcc_lo
	global_store_b32 v[0:1], v2, off
.LBB555_7:
	s_nop 0
	s_sendmsg sendmsg(MSG_DEALLOC_VGPRS)
	s_endpgm
	.section	.rodata,"a",@progbits
	.p2align	6, 0x0
	.amdhsa_kernel _ZL28rocblas_dot_batched_4_kernelIiLi64ELi4ELb1EffPKPK16rocblas_bfloat16EviT5_lT_lS5_lS6_liPT4_
		.amdhsa_group_segment_fixed_size 0
		.amdhsa_private_segment_fixed_size 0
		.amdhsa_kernarg_size 88
		.amdhsa_user_sgpr_count 15
		.amdhsa_user_sgpr_dispatch_ptr 0
		.amdhsa_user_sgpr_queue_ptr 0
		.amdhsa_user_sgpr_kernarg_segment_ptr 1
		.amdhsa_user_sgpr_dispatch_id 0
		.amdhsa_user_sgpr_private_segment_size 0
		.amdhsa_wavefront_size32 1
		.amdhsa_uses_dynamic_stack 0
		.amdhsa_enable_private_segment 0
		.amdhsa_system_sgpr_workgroup_id_x 1
		.amdhsa_system_sgpr_workgroup_id_y 0
		.amdhsa_system_sgpr_workgroup_id_z 0
		.amdhsa_system_sgpr_workgroup_info 0
		.amdhsa_system_vgpr_workitem_id 1
		.amdhsa_next_free_vgpr 12
		.amdhsa_next_free_sgpr 16
		.amdhsa_reserve_vcc 1
		.amdhsa_float_round_mode_32 0
		.amdhsa_float_round_mode_16_64 0
		.amdhsa_float_denorm_mode_32 3
		.amdhsa_float_denorm_mode_16_64 3
		.amdhsa_dx10_clamp 1
		.amdhsa_ieee_mode 1
		.amdhsa_fp16_overflow 0
		.amdhsa_workgroup_processor_mode 1
		.amdhsa_memory_ordered 1
		.amdhsa_forward_progress 0
		.amdhsa_shared_vgpr_count 0
		.amdhsa_exception_fp_ieee_invalid_op 0
		.amdhsa_exception_fp_denorm_src 0
		.amdhsa_exception_fp_ieee_div_zero 0
		.amdhsa_exception_fp_ieee_overflow 0
		.amdhsa_exception_fp_ieee_underflow 0
		.amdhsa_exception_fp_ieee_inexact 0
		.amdhsa_exception_int_div_zero 0
	.end_amdhsa_kernel
	.section	.text._ZL28rocblas_dot_batched_4_kernelIiLi64ELi4ELb1EffPKPK16rocblas_bfloat16EviT5_lT_lS5_lS6_liPT4_,"axG",@progbits,_ZL28rocblas_dot_batched_4_kernelIiLi64ELi4ELb1EffPKPK16rocblas_bfloat16EviT5_lT_lS5_lS6_liPT4_,comdat
.Lfunc_end555:
	.size	_ZL28rocblas_dot_batched_4_kernelIiLi64ELi4ELb1EffPKPK16rocblas_bfloat16EviT5_lT_lS5_lS6_liPT4_, .Lfunc_end555-_ZL28rocblas_dot_batched_4_kernelIiLi64ELi4ELb1EffPKPK16rocblas_bfloat16EviT5_lT_lS5_lS6_liPT4_
                                        ; -- End function
	.section	.AMDGPU.csdata,"",@progbits
; Kernel info:
; codeLenInByte = 736
; NumSgprs: 18
; NumVgprs: 12
; ScratchSize: 0
; MemoryBound: 0
; FloatMode: 240
; IeeeMode: 1
; LDSByteSize: 0 bytes/workgroup (compile time only)
; SGPRBlocks: 2
; VGPRBlocks: 1
; NumSGPRsForWavesPerEU: 18
; NumVGPRsForWavesPerEU: 12
; Occupancy: 16
; WaveLimiterHint : 0
; COMPUTE_PGM_RSRC2:SCRATCH_EN: 0
; COMPUTE_PGM_RSRC2:USER_SGPR: 15
; COMPUTE_PGM_RSRC2:TRAP_HANDLER: 0
; COMPUTE_PGM_RSRC2:TGID_X_EN: 1
; COMPUTE_PGM_RSRC2:TGID_Y_EN: 0
; COMPUTE_PGM_RSRC2:TGID_Z_EN: 0
; COMPUTE_PGM_RSRC2:TIDIG_COMP_CNT: 1
	.section	.text._ZL18rocblas_dot_kernelIiLb1ELi1024ELi32ELb1EfPKPK16rocblas_bfloat16fEviT5_lT_lS5_lS6_liPT6_PT4_,"axG",@progbits,_ZL18rocblas_dot_kernelIiLb1ELi1024ELi32ELb1EfPKPK16rocblas_bfloat16fEviT5_lT_lS5_lS6_liPT6_PT4_,comdat
	.globl	_ZL18rocblas_dot_kernelIiLb1ELi1024ELi32ELb1EfPKPK16rocblas_bfloat16fEviT5_lT_lS5_lS6_liPT6_PT4_ ; -- Begin function _ZL18rocblas_dot_kernelIiLb1ELi1024ELi32ELb1EfPKPK16rocblas_bfloat16fEviT5_lT_lS5_lS6_liPT6_PT4_
	.p2align	8
	.type	_ZL18rocblas_dot_kernelIiLb1ELi1024ELi32ELb1EfPKPK16rocblas_bfloat16fEviT5_lT_lS5_lS6_liPT6_PT4_,@function
_ZL18rocblas_dot_kernelIiLb1ELi1024ELi32ELb1EfPKPK16rocblas_bfloat16fEviT5_lT_lS5_lS6_liPT6_PT4_: ; @_ZL18rocblas_dot_kernelIiLb1ELi1024ELi32ELb1EfPKPK16rocblas_bfloat16fEviT5_lT_lS5_lS6_liPT6_PT4_
; %bb.0:
	s_clause 0x1
	s_load_b32 s10, s[0:1], 0x0
	s_load_b64 s[2:3], s[0:1], 0x58
	v_mov_b32_e32 v5, 0
	s_mov_b32 s8, s15
	s_mov_b32 s9, 0
	s_mov_b32 s11, exec_lo
	s_waitcnt lgkmcnt(0)
	v_cmpx_gt_i32_e64 s10, v0
	s_cbranch_execz .LBB556_4
; %bb.1:
	s_clause 0x4
	s_load_b128 s[12:15], s[0:1], 0x8
	s_load_b128 s[4:7], s[0:1], 0x28
	s_load_b32 s18, s[0:1], 0x18
	s_load_b32 s20, s[0:1], 0x38
	s_load_b32 s19, s[0:1], 0x60
	s_lshl_b64 s[0:1], s[8:9], 3
	v_mov_b32_e32 v5, 0
	s_waitcnt lgkmcnt(0)
	s_add_u32 s12, s12, s0
	s_addc_u32 s13, s13, s1
	s_add_u32 s0, s4, s0
	s_load_b64 s[12:13], s[12:13], 0x0
	s_addc_u32 s1, s5, s1
	v_mad_i64_i32 v[1:2], null, s18, v0, 0
	s_load_b64 s[16:17], s[0:1], 0x0
	v_mad_i64_i32 v[3:4], null, s20, v0, 0
	s_lshl_b32 s1, s19, 10
	s_lshl_b64 s[4:5], s[14:15], 1
	s_mul_hi_i32 s15, s18, s1
	s_delay_alu instid0(VALU_DEP_2) | instskip(SKIP_2) | instid1(VALU_DEP_3)
	v_lshlrev_b64 v[1:2], 1, v[1:2]
	s_mul_i32 s14, s18, s1
	v_or_b32_e32 v6, s1, v0
	v_lshlrev_b64 v[3:4], 1, v[3:4]
	s_mul_hi_i32 s19, s20, s1
	s_mul_i32 s18, s20, s1
	s_waitcnt lgkmcnt(0)
	s_add_u32 s0, s12, s4
	s_addc_u32 s12, s13, s5
	s_lshl_b64 s[6:7], s[6:7], 1
	s_lshl_b64 s[4:5], s[14:15], 1
	v_add_co_u32 v1, vcc_lo, s0, v1
	s_add_u32 s0, s16, s6
	v_add_co_ci_u32_e32 v2, vcc_lo, s12, v2, vcc_lo
	s_addc_u32 s6, s17, s7
	v_add_co_u32 v3, vcc_lo, s0, v3
	v_add_co_ci_u32_e32 v4, vcc_lo, s6, v4, vcc_lo
	s_lshl_b64 s[6:7], s[18:19], 1
	s_mov_b32 s12, s9
	s_mov_b32 s13, s9
	.p2align	6
.LBB556_2:                              ; =>This Inner Loop Header: Depth=1
	global_load_u16 v7, v[1:2], off
	global_load_u16 v8, v[3:4], off
	v_add_co_u32 v1, s0, v1, s4
	s_delay_alu instid0(VALU_DEP_1)
	v_add_co_ci_u32_e64 v2, s0, s5, v2, s0
	s_add_i32 s14, s13, 1
	v_cmp_le_i32_e32 vcc_lo, s10, v6
	v_add_co_u32 v3, s0, v3, s6
	s_cmp_gt_u32 s13, 30
	v_add_co_ci_u32_e64 v4, s0, s7, v4, s0
	s_cselect_b32 s0, -1, 0
	s_mov_b32 s13, s14
	s_or_b32 s0, s0, vcc_lo
	s_delay_alu instid0(SALU_CYCLE_1) | instskip(NEXT) | instid1(SALU_CYCLE_1)
	s_and_b32 s0, exec_lo, s0
	s_or_b32 s12, s0, s12
	s_waitcnt vmcnt(1)
	v_lshlrev_b32_e32 v7, 16, v7
	s_waitcnt vmcnt(0)
	v_lshlrev_b32_e32 v8, 16, v8
	s_delay_alu instid0(VALU_DEP_1)
	v_dual_fmac_f32 v5, v8, v7 :: v_dual_add_nc_u32 v6, s1, v6
	s_and_not1_b32 exec_lo, exec_lo, s12
	s_cbranch_execnz .LBB556_2
; %bb.3:
	s_or_b32 exec_lo, exec_lo, s12
.LBB556_4:
	s_delay_alu instid0(SALU_CYCLE_1) | instskip(SKIP_2) | instid1(VALU_DEP_2)
	s_or_b32 exec_lo, exec_lo, s11
	v_and_b32_e32 v7, 31, v0
	v_cmp_gt_u32_e32 vcc_lo, 32, v0
	v_lshlrev_b32_e32 v1, 2, v7
	s_and_saveexec_b32 s0, vcc_lo
	s_cbranch_execz .LBB556_6
; %bb.5:
	v_mov_b32_e32 v2, 0
	ds_store_b32 v1, v2
.LBB556_6:
	s_or_b32 exec_lo, exec_lo, s0
	v_mbcnt_lo_u32_b32 v6, -1, 0
	s_mov_b32 s1, exec_lo
	s_waitcnt lgkmcnt(0)
	s_barrier
	buffer_gl0_inv
	v_cmp_gt_u32_e64 s0, 16, v6
	s_delay_alu instid0(VALU_DEP_1) | instskip(SKIP_1) | instid1(VALU_DEP_2)
	v_cndmask_b32_e64 v2, 0, 1, s0
	v_cmp_gt_u32_e64 s0, 24, v6
	v_lshlrev_b32_e32 v2, 4, v2
	s_delay_alu instid0(VALU_DEP_2) | instskip(SKIP_1) | instid1(VALU_DEP_3)
	v_cndmask_b32_e64 v3, 0, 1, s0
	v_cmp_gt_u32_e64 s0, 28, v6
	v_add_lshl_u32 v2, v2, v6, 2
	ds_bpermute_b32 v4, v2, v5
	s_waitcnt lgkmcnt(0)
	v_add_f32_e32 v5, v5, v4
	v_lshlrev_b32_e32 v3, 3, v3
	v_cndmask_b32_e64 v4, 0, 1, s0
	v_cmp_gt_u32_e64 s0, 30, v6
	s_delay_alu instid0(VALU_DEP_3) | instskip(NEXT) | instid1(VALU_DEP_3)
	v_add_lshl_u32 v3, v3, v6, 2
	v_lshlrev_b32_e32 v4, 2, v4
	ds_bpermute_b32 v8, v3, v5
	v_add_lshl_u32 v4, v4, v6, 2
	s_waitcnt lgkmcnt(0)
	v_add_f32_e32 v8, v5, v8
	v_cndmask_b32_e64 v5, 0, 1, s0
	v_cmp_ne_u32_e64 s0, 31, v6
	ds_bpermute_b32 v9, v4, v8
	v_lshlrev_b32_e32 v5, 1, v5
	s_delay_alu instid0(VALU_DEP_1) | instskip(SKIP_1) | instid1(VALU_DEP_1)
	v_add_lshl_u32 v5, v5, v6, 2
	v_add_co_ci_u32_e64 v6, s0, 0, v6, s0
	v_lshlrev_b32_e32 v6, 2, v6
	s_waitcnt lgkmcnt(0)
	v_add_f32_e32 v8, v8, v9
	ds_bpermute_b32 v9, v5, v8
	s_waitcnt lgkmcnt(0)
	v_add_f32_e32 v8, v8, v9
	ds_bpermute_b32 v9, v6, v8
	v_cmpx_eq_u32_e32 0, v7
	s_cbranch_execz .LBB556_8
; %bb.7:
	v_lshrrev_b32_e32 v7, 3, v0
	s_waitcnt lgkmcnt(0)
	s_delay_alu instid0(VALU_DEP_1)
	v_dual_add_f32 v8, v8, v9 :: v_dual_and_b32 v7, 0x7c, v7
	ds_store_b32 v7, v8
.LBB556_8:
	s_or_b32 exec_lo, exec_lo, s1
	v_mov_b32_e32 v7, 0
	s_waitcnt lgkmcnt(0)
	s_barrier
	buffer_gl0_inv
	s_and_saveexec_b32 s0, vcc_lo
	s_cbranch_execz .LBB556_10
; %bb.9:
	ds_load_b32 v7, v1
.LBB556_10:
	s_or_b32 exec_lo, exec_lo, s0
	s_and_saveexec_b32 s0, vcc_lo
	s_cbranch_execz .LBB556_12
; %bb.11:
	s_waitcnt lgkmcnt(0)
	ds_bpermute_b32 v1, v2, v7
	s_waitcnt lgkmcnt(0)
	v_add_f32_e32 v1, v7, v1
	ds_bpermute_b32 v2, v3, v1
	s_waitcnt lgkmcnt(0)
	v_add_f32_e32 v1, v1, v2
	ds_bpermute_b32 v2, v4, v1
	s_waitcnt lgkmcnt(0)
	v_add_f32_e32 v1, v1, v2
	ds_bpermute_b32 v2, v5, v1
	s_waitcnt lgkmcnt(0)
	v_add_f32_e32 v1, v1, v2
	ds_bpermute_b32 v2, v6, v1
	s_waitcnt lgkmcnt(0)
	v_add_f32_e32 v7, v1, v2
.LBB556_12:
	s_or_b32 exec_lo, exec_lo, s0
	s_delay_alu instid0(SALU_CYCLE_1)
	s_mov_b32 s0, exec_lo
	v_cmpx_eq_u32_e32 0, v0
	s_cbranch_execz .LBB556_14
; %bb.13:
	s_lshl_b64 s[0:1], s[8:9], 2
	v_mov_b32_e32 v0, 0
	s_add_u32 s0, s2, s0
	s_addc_u32 s1, s3, s1
	s_waitcnt lgkmcnt(0)
	global_store_b32 v0, v7, s[0:1]
.LBB556_14:
	s_nop 0
	s_sendmsg sendmsg(MSG_DEALLOC_VGPRS)
	s_endpgm
	.section	.rodata,"a",@progbits
	.p2align	6, 0x0
	.amdhsa_kernel _ZL18rocblas_dot_kernelIiLb1ELi1024ELi32ELb1EfPKPK16rocblas_bfloat16fEviT5_lT_lS5_lS6_liPT6_PT4_
		.amdhsa_group_segment_fixed_size 128
		.amdhsa_private_segment_fixed_size 0
		.amdhsa_kernarg_size 352
		.amdhsa_user_sgpr_count 14
		.amdhsa_user_sgpr_dispatch_ptr 0
		.amdhsa_user_sgpr_queue_ptr 0
		.amdhsa_user_sgpr_kernarg_segment_ptr 1
		.amdhsa_user_sgpr_dispatch_id 0
		.amdhsa_user_sgpr_private_segment_size 0
		.amdhsa_wavefront_size32 1
		.amdhsa_uses_dynamic_stack 0
		.amdhsa_enable_private_segment 0
		.amdhsa_system_sgpr_workgroup_id_x 1
		.amdhsa_system_sgpr_workgroup_id_y 0
		.amdhsa_system_sgpr_workgroup_id_z 1
		.amdhsa_system_sgpr_workgroup_info 0
		.amdhsa_system_vgpr_workitem_id 0
		.amdhsa_next_free_vgpr 10
		.amdhsa_next_free_sgpr 21
		.amdhsa_reserve_vcc 1
		.amdhsa_float_round_mode_32 0
		.amdhsa_float_round_mode_16_64 0
		.amdhsa_float_denorm_mode_32 3
		.amdhsa_float_denorm_mode_16_64 3
		.amdhsa_dx10_clamp 1
		.amdhsa_ieee_mode 1
		.amdhsa_fp16_overflow 0
		.amdhsa_workgroup_processor_mode 1
		.amdhsa_memory_ordered 1
		.amdhsa_forward_progress 0
		.amdhsa_shared_vgpr_count 0
		.amdhsa_exception_fp_ieee_invalid_op 0
		.amdhsa_exception_fp_denorm_src 0
		.amdhsa_exception_fp_ieee_div_zero 0
		.amdhsa_exception_fp_ieee_overflow 0
		.amdhsa_exception_fp_ieee_underflow 0
		.amdhsa_exception_fp_ieee_inexact 0
		.amdhsa_exception_int_div_zero 0
	.end_amdhsa_kernel
	.section	.text._ZL18rocblas_dot_kernelIiLb1ELi1024ELi32ELb1EfPKPK16rocblas_bfloat16fEviT5_lT_lS5_lS6_liPT6_PT4_,"axG",@progbits,_ZL18rocblas_dot_kernelIiLb1ELi1024ELi32ELb1EfPKPK16rocblas_bfloat16fEviT5_lT_lS5_lS6_liPT6_PT4_,comdat
.Lfunc_end556:
	.size	_ZL18rocblas_dot_kernelIiLb1ELi1024ELi32ELb1EfPKPK16rocblas_bfloat16fEviT5_lT_lS5_lS6_liPT6_PT4_, .Lfunc_end556-_ZL18rocblas_dot_kernelIiLb1ELi1024ELi32ELb1EfPKPK16rocblas_bfloat16fEviT5_lT_lS5_lS6_liPT6_PT4_
                                        ; -- End function
	.section	.AMDGPU.csdata,"",@progbits
; Kernel info:
; codeLenInByte = 924
; NumSgprs: 23
; NumVgprs: 10
; ScratchSize: 0
; MemoryBound: 0
; FloatMode: 240
; IeeeMode: 1
; LDSByteSize: 128 bytes/workgroup (compile time only)
; SGPRBlocks: 2
; VGPRBlocks: 1
; NumSGPRsForWavesPerEU: 23
; NumVGPRsForWavesPerEU: 10
; Occupancy: 16
; WaveLimiterHint : 0
; COMPUTE_PGM_RSRC2:SCRATCH_EN: 0
; COMPUTE_PGM_RSRC2:USER_SGPR: 14
; COMPUTE_PGM_RSRC2:TRAP_HANDLER: 0
; COMPUTE_PGM_RSRC2:TGID_X_EN: 1
; COMPUTE_PGM_RSRC2:TGID_Y_EN: 0
; COMPUTE_PGM_RSRC2:TGID_Z_EN: 1
; COMPUTE_PGM_RSRC2:TIDIG_COMP_CNT: 0
	.section	.text._ZL24rocblas_dot_kernel_magsqIiLb1ELi1024ELi32ELb1EfPKPK16rocblas_bfloat16fEviT5_lT_liPT6_PT4_,"axG",@progbits,_ZL24rocblas_dot_kernel_magsqIiLb1ELi1024ELi32ELb1EfPKPK16rocblas_bfloat16fEviT5_lT_liPT6_PT4_,comdat
	.globl	_ZL24rocblas_dot_kernel_magsqIiLb1ELi1024ELi32ELb1EfPKPK16rocblas_bfloat16fEviT5_lT_liPT6_PT4_ ; -- Begin function _ZL24rocblas_dot_kernel_magsqIiLb1ELi1024ELi32ELb1EfPKPK16rocblas_bfloat16fEviT5_lT_liPT6_PT4_
	.p2align	8
	.type	_ZL24rocblas_dot_kernel_magsqIiLb1ELi1024ELi32ELb1EfPKPK16rocblas_bfloat16fEviT5_lT_liPT6_PT4_,@function
_ZL24rocblas_dot_kernel_magsqIiLb1ELi1024ELi32ELb1EfPKPK16rocblas_bfloat16fEviT5_lT_liPT6_PT4_: ; @_ZL24rocblas_dot_kernel_magsqIiLb1ELi1024ELi32ELb1EfPKPK16rocblas_bfloat16fEviT5_lT_liPT6_PT4_
; %bb.0:
	s_clause 0x1
	s_load_b32 s8, s[0:1], 0x0
	s_load_b64 s[2:3], s[0:1], 0x38
	v_mov_b32_e32 v3, 0
	s_mov_b32 s4, s15
	s_mov_b32 s5, 0
	s_mov_b32 s9, exec_lo
	s_waitcnt lgkmcnt(0)
	v_cmpx_gt_i32_e64 s8, v0
	s_cbranch_execz .LBB557_4
; %bb.1:
	s_clause 0x2
	s_load_b128 s[12:15], s[0:1], 0x8
	s_load_b32 s16, s[0:1], 0x18
	s_load_b32 s10, s[0:1], 0x40
	s_lshl_b64 s[0:1], s[4:5], 3
	v_mov_b32_e32 v3, 0
	s_waitcnt lgkmcnt(0)
	s_add_u32 s0, s12, s0
	s_addc_u32 s1, s13, s1
	v_mad_i64_i32 v[1:2], null, s16, v0, 0
	s_load_b64 s[6:7], s[0:1], 0x0
	s_lshl_b32 s1, s10, 10
	s_lshl_b64 s[10:11], s[14:15], 1
	v_or_b32_e32 v4, s1, v0
	s_mul_hi_i32 s13, s16, s1
	s_mul_i32 s12, s16, s1
	s_delay_alu instid0(VALU_DEP_2) | instskip(SKIP_3) | instid1(VALU_DEP_1)
	v_lshlrev_b64 v[1:2], 1, v[1:2]
	s_waitcnt lgkmcnt(0)
	s_add_u32 s0, s6, s10
	s_addc_u32 s6, s7, s11
	v_add_co_u32 v1, vcc_lo, s0, v1
	s_delay_alu instid0(VALU_DEP_2)
	v_add_co_ci_u32_e32 v2, vcc_lo, s6, v2, vcc_lo
	s_lshl_b64 s[6:7], s[12:13], 1
	s_mov_b32 s10, s5
	s_mov_b32 s11, s5
	.p2align	6
.LBB557_2:                              ; =>This Inner Loop Header: Depth=1
	global_load_u16 v5, v[1:2], off
	s_add_i32 s12, s11, 1
	v_cmp_le_i32_e32 vcc_lo, s8, v4
	v_add_co_u32 v1, s0, v1, s6
	s_cmp_gt_u32 s11, 30
	v_add_co_ci_u32_e64 v2, s0, s7, v2, s0
	s_cselect_b32 s0, -1, 0
	s_mov_b32 s11, s12
	s_or_b32 s0, s0, vcc_lo
	s_delay_alu instid0(SALU_CYCLE_1) | instskip(NEXT) | instid1(SALU_CYCLE_1)
	s_and_b32 s0, exec_lo, s0
	s_or_b32 s10, s0, s10
	s_waitcnt vmcnt(0)
	v_lshlrev_b32_e32 v5, 16, v5
	s_delay_alu instid0(VALU_DEP_1)
	v_dual_fmac_f32 v3, v5, v5 :: v_dual_add_nc_u32 v4, s1, v4
	s_and_not1_b32 exec_lo, exec_lo, s10
	s_cbranch_execnz .LBB557_2
; %bb.3:
	s_or_b32 exec_lo, exec_lo, s10
.LBB557_4:
	s_delay_alu instid0(SALU_CYCLE_1) | instskip(SKIP_2) | instid1(VALU_DEP_2)
	s_or_b32 exec_lo, exec_lo, s9
	v_and_b32_e32 v7, 31, v0
	v_cmp_gt_u32_e32 vcc_lo, 32, v0
	v_lshlrev_b32_e32 v1, 2, v7
	s_and_saveexec_b32 s0, vcc_lo
	s_cbranch_execz .LBB557_6
; %bb.5:
	v_mov_b32_e32 v2, 0
	ds_store_b32 v1, v2
.LBB557_6:
	s_or_b32 exec_lo, exec_lo, s0
	v_mbcnt_lo_u32_b32 v6, -1, 0
	s_mov_b32 s1, exec_lo
	s_waitcnt lgkmcnt(0)
	s_barrier
	buffer_gl0_inv
	v_cmp_gt_u32_e64 s0, 16, v6
	s_delay_alu instid0(VALU_DEP_1) | instskip(SKIP_1) | instid1(VALU_DEP_2)
	v_cndmask_b32_e64 v2, 0, 1, s0
	v_cmp_gt_u32_e64 s0, 24, v6
	v_lshlrev_b32_e32 v2, 4, v2
	s_delay_alu instid0(VALU_DEP_2) | instskip(SKIP_1) | instid1(VALU_DEP_3)
	v_cndmask_b32_e64 v4, 0, 1, s0
	v_cmp_gt_u32_e64 s0, 28, v6
	v_add_lshl_u32 v2, v2, v6, 2
	s_delay_alu instid0(VALU_DEP_3)
	v_lshlrev_b32_e32 v4, 3, v4
	ds_bpermute_b32 v5, v2, v3
	v_add_lshl_u32 v4, v4, v6, 2
	s_waitcnt lgkmcnt(0)
	v_add_f32_e32 v5, v3, v5
	v_cndmask_b32_e64 v3, 0, 1, s0
	v_cmp_gt_u32_e64 s0, 30, v6
	ds_bpermute_b32 v8, v4, v5
	s_waitcnt lgkmcnt(0)
	v_dual_add_f32 v8, v5, v8 :: v_dual_lshlrev_b32 v3, 2, v3
	s_delay_alu instid0(VALU_DEP_1) | instskip(SKIP_4) | instid1(VALU_DEP_1)
	v_add_lshl_u32 v3, v3, v6, 2
	v_cndmask_b32_e64 v5, 0, 1, s0
	v_cmp_ne_u32_e64 s0, 31, v6
	ds_bpermute_b32 v9, v3, v8
	v_lshlrev_b32_e32 v5, 1, v5
	v_add_lshl_u32 v5, v5, v6, 2
	v_add_co_ci_u32_e64 v6, s0, 0, v6, s0
	s_delay_alu instid0(VALU_DEP_1)
	v_lshlrev_b32_e32 v6, 2, v6
	s_waitcnt lgkmcnt(0)
	v_add_f32_e32 v8, v8, v9
	ds_bpermute_b32 v9, v5, v8
	s_waitcnt lgkmcnt(0)
	v_add_f32_e32 v8, v8, v9
	ds_bpermute_b32 v9, v6, v8
	v_cmpx_eq_u32_e32 0, v7
	s_cbranch_execz .LBB557_8
; %bb.7:
	v_lshrrev_b32_e32 v7, 3, v0
	s_waitcnt lgkmcnt(0)
	s_delay_alu instid0(VALU_DEP_1)
	v_dual_add_f32 v8, v8, v9 :: v_dual_and_b32 v7, 0x7c, v7
	ds_store_b32 v7, v8
.LBB557_8:
	s_or_b32 exec_lo, exec_lo, s1
	v_mov_b32_e32 v7, 0
	s_waitcnt lgkmcnt(0)
	s_barrier
	buffer_gl0_inv
	s_and_saveexec_b32 s0, vcc_lo
	s_cbranch_execz .LBB557_10
; %bb.9:
	ds_load_b32 v7, v1
.LBB557_10:
	s_or_b32 exec_lo, exec_lo, s0
	s_and_saveexec_b32 s0, vcc_lo
	s_cbranch_execz .LBB557_12
; %bb.11:
	s_waitcnt lgkmcnt(0)
	ds_bpermute_b32 v1, v2, v7
	s_waitcnt lgkmcnt(0)
	v_add_f32_e32 v1, v7, v1
	ds_bpermute_b32 v2, v4, v1
	s_waitcnt lgkmcnt(0)
	v_add_f32_e32 v1, v1, v2
	;; [unrolled: 3-line block ×5, first 2 shown]
.LBB557_12:
	s_or_b32 exec_lo, exec_lo, s0
	s_delay_alu instid0(SALU_CYCLE_1)
	s_mov_b32 s0, exec_lo
	v_cmpx_eq_u32_e32 0, v0
	s_cbranch_execz .LBB557_14
; %bb.13:
	s_lshl_b64 s[0:1], s[4:5], 2
	v_mov_b32_e32 v0, 0
	s_add_u32 s0, s2, s0
	s_addc_u32 s1, s3, s1
	s_waitcnt lgkmcnt(0)
	global_store_b32 v0, v7, s[0:1]
.LBB557_14:
	s_nop 0
	s_sendmsg sendmsg(MSG_DEALLOC_VGPRS)
	s_endpgm
	.section	.rodata,"a",@progbits
	.p2align	6, 0x0
	.amdhsa_kernel _ZL24rocblas_dot_kernel_magsqIiLb1ELi1024ELi32ELb1EfPKPK16rocblas_bfloat16fEviT5_lT_liPT6_PT4_
		.amdhsa_group_segment_fixed_size 128
		.amdhsa_private_segment_fixed_size 0
		.amdhsa_kernarg_size 320
		.amdhsa_user_sgpr_count 14
		.amdhsa_user_sgpr_dispatch_ptr 0
		.amdhsa_user_sgpr_queue_ptr 0
		.amdhsa_user_sgpr_kernarg_segment_ptr 1
		.amdhsa_user_sgpr_dispatch_id 0
		.amdhsa_user_sgpr_private_segment_size 0
		.amdhsa_wavefront_size32 1
		.amdhsa_uses_dynamic_stack 0
		.amdhsa_enable_private_segment 0
		.amdhsa_system_sgpr_workgroup_id_x 1
		.amdhsa_system_sgpr_workgroup_id_y 0
		.amdhsa_system_sgpr_workgroup_id_z 1
		.amdhsa_system_sgpr_workgroup_info 0
		.amdhsa_system_vgpr_workitem_id 0
		.amdhsa_next_free_vgpr 10
		.amdhsa_next_free_sgpr 17
		.amdhsa_reserve_vcc 1
		.amdhsa_float_round_mode_32 0
		.amdhsa_float_round_mode_16_64 0
		.amdhsa_float_denorm_mode_32 3
		.amdhsa_float_denorm_mode_16_64 3
		.amdhsa_dx10_clamp 1
		.amdhsa_ieee_mode 1
		.amdhsa_fp16_overflow 0
		.amdhsa_workgroup_processor_mode 1
		.amdhsa_memory_ordered 1
		.amdhsa_forward_progress 0
		.amdhsa_shared_vgpr_count 0
		.amdhsa_exception_fp_ieee_invalid_op 0
		.amdhsa_exception_fp_denorm_src 0
		.amdhsa_exception_fp_ieee_div_zero 0
		.amdhsa_exception_fp_ieee_overflow 0
		.amdhsa_exception_fp_ieee_underflow 0
		.amdhsa_exception_fp_ieee_inexact 0
		.amdhsa_exception_int_div_zero 0
	.end_amdhsa_kernel
	.section	.text._ZL24rocblas_dot_kernel_magsqIiLb1ELi1024ELi32ELb1EfPKPK16rocblas_bfloat16fEviT5_lT_liPT6_PT4_,"axG",@progbits,_ZL24rocblas_dot_kernel_magsqIiLb1ELi1024ELi32ELb1EfPKPK16rocblas_bfloat16fEviT5_lT_liPT6_PT4_,comdat
.Lfunc_end557:
	.size	_ZL24rocblas_dot_kernel_magsqIiLb1ELi1024ELi32ELb1EfPKPK16rocblas_bfloat16fEviT5_lT_liPT6_PT4_, .Lfunc_end557-_ZL24rocblas_dot_kernel_magsqIiLb1ELi1024ELi32ELb1EfPKPK16rocblas_bfloat16fEviT5_lT_liPT6_PT4_
                                        ; -- End function
	.section	.AMDGPU.csdata,"",@progbits
; Kernel info:
; codeLenInByte = 812
; NumSgprs: 19
; NumVgprs: 10
; ScratchSize: 0
; MemoryBound: 0
; FloatMode: 240
; IeeeMode: 1
; LDSByteSize: 128 bytes/workgroup (compile time only)
; SGPRBlocks: 2
; VGPRBlocks: 1
; NumSGPRsForWavesPerEU: 19
; NumVGPRsForWavesPerEU: 10
; Occupancy: 16
; WaveLimiterHint : 0
; COMPUTE_PGM_RSRC2:SCRATCH_EN: 0
; COMPUTE_PGM_RSRC2:USER_SGPR: 14
; COMPUTE_PGM_RSRC2:TRAP_HANDLER: 0
; COMPUTE_PGM_RSRC2:TGID_X_EN: 1
; COMPUTE_PGM_RSRC2:TGID_Y_EN: 0
; COMPUTE_PGM_RSRC2:TGID_Z_EN: 1
; COMPUTE_PGM_RSRC2:TIDIG_COMP_CNT: 0
	.section	.text._ZL18rocblas_dot_kernelIiLb0ELi512ELi4ELb1EfPKPK16rocblas_bfloat16fEviT5_lT_lS5_lS6_liPT6_PT4_,"axG",@progbits,_ZL18rocblas_dot_kernelIiLb0ELi512ELi4ELb1EfPKPK16rocblas_bfloat16fEviT5_lT_lS5_lS6_liPT6_PT4_,comdat
	.globl	_ZL18rocblas_dot_kernelIiLb0ELi512ELi4ELb1EfPKPK16rocblas_bfloat16fEviT5_lT_lS5_lS6_liPT6_PT4_ ; -- Begin function _ZL18rocblas_dot_kernelIiLb0ELi512ELi4ELb1EfPKPK16rocblas_bfloat16fEviT5_lT_lS5_lS6_liPT6_PT4_
	.p2align	8
	.type	_ZL18rocblas_dot_kernelIiLb0ELi512ELi4ELb1EfPKPK16rocblas_bfloat16fEviT5_lT_lS5_lS6_liPT6_PT4_,@function
_ZL18rocblas_dot_kernelIiLb0ELi512ELi4ELb1EfPKPK16rocblas_bfloat16fEviT5_lT_lS5_lS6_liPT6_PT4_: ; @_ZL18rocblas_dot_kernelIiLb0ELi512ELi4ELb1EfPKPK16rocblas_bfloat16fEviT5_lT_lS5_lS6_liPT6_PT4_
; %bb.0:
	s_clause 0x2
	s_load_b32 s12, s[0:1], 0x60
	s_load_b32 s13, s[0:1], 0x0
	s_load_b128 s[4:7], s[0:1], 0x50
	v_lshl_or_b32 v1, s14, 9, v0
	v_mov_b32_e32 v5, 0
	s_mov_b32 s2, s15
	s_mov_b32 s3, 0
	s_mov_b32 s15, exec_lo
	s_waitcnt lgkmcnt(0)
	v_cmpx_gt_i32_e64 s13, v1
	s_cbranch_execz .LBB558_4
; %bb.1:
	s_clause 0x3
	s_load_b128 s[16:19], s[0:1], 0x8
	s_load_b128 s[8:11], s[0:1], 0x28
	s_load_b32 s22, s[0:1], 0x18
	s_load_b32 s24, s[0:1], 0x38
	s_lshl_b64 s[0:1], s[2:3], 3
	s_waitcnt lgkmcnt(0)
	s_add_u32 s16, s16, s0
	s_addc_u32 s17, s17, s1
	s_add_u32 s0, s8, s0
	s_load_b64 s[16:17], s[16:17], 0x0
	s_addc_u32 s1, s9, s1
	v_mad_i64_i32 v[2:3], null, s22, v1, 0
	s_load_b64 s[20:21], s[0:1], 0x0
	v_mad_i64_i32 v[4:5], null, s24, v1, 0
	s_lshl_b32 s1, s12, 9
	s_lshl_b64 s[8:9], s[18:19], 1
	v_add_nc_u32_e32 v6, s1, v1
	s_delay_alu instid0(VALU_DEP_3) | instskip(SKIP_2) | instid1(VALU_DEP_3)
	v_lshlrev_b64 v[1:2], 1, v[2:3]
	s_mul_hi_i32 s19, s22, s1
	s_mul_i32 s18, s22, s1
	v_lshlrev_b64 v[3:4], 1, v[4:5]
	v_mov_b32_e32 v5, 0
	s_mul_hi_i32 s23, s24, s1
	s_mul_i32 s22, s24, s1
	s_waitcnt lgkmcnt(0)
	s_add_u32 s0, s16, s8
	s_addc_u32 s16, s17, s9
	s_lshl_b64 s[10:11], s[10:11], 1
	s_lshl_b64 s[8:9], s[18:19], 1
	v_add_co_u32 v1, vcc_lo, s0, v1
	s_add_u32 s0, s20, s10
	v_add_co_ci_u32_e32 v2, vcc_lo, s16, v2, vcc_lo
	s_addc_u32 s10, s21, s11
	v_add_co_u32 v3, vcc_lo, s0, v3
	v_add_co_ci_u32_e32 v4, vcc_lo, s10, v4, vcc_lo
	s_lshl_b64 s[10:11], s[22:23], 1
	s_mov_b32 s16, s3
	s_mov_b32 s17, s3
	.p2align	6
.LBB558_2:                              ; =>This Inner Loop Header: Depth=1
	global_load_u16 v7, v[1:2], off
	global_load_u16 v8, v[3:4], off
	v_add_co_u32 v1, s0, v1, s8
	s_delay_alu instid0(VALU_DEP_1)
	v_add_co_ci_u32_e64 v2, s0, s9, v2, s0
	s_add_i32 s18, s17, 1
	v_cmp_le_i32_e32 vcc_lo, s13, v6
	v_add_co_u32 v3, s0, v3, s10
	s_cmp_gt_u32 s17, 2
	v_add_co_ci_u32_e64 v4, s0, s11, v4, s0
	s_cselect_b32 s0, -1, 0
	s_mov_b32 s17, s18
	s_or_b32 s0, s0, vcc_lo
	s_delay_alu instid0(SALU_CYCLE_1) | instskip(NEXT) | instid1(SALU_CYCLE_1)
	s_and_b32 s0, exec_lo, s0
	s_or_b32 s16, s0, s16
	s_waitcnt vmcnt(1)
	v_lshlrev_b32_e32 v7, 16, v7
	s_waitcnt vmcnt(0)
	v_lshlrev_b32_e32 v8, 16, v8
	s_delay_alu instid0(VALU_DEP_1)
	v_dual_fmac_f32 v5, v8, v7 :: v_dual_add_nc_u32 v6, s1, v6
	s_and_not1_b32 exec_lo, exec_lo, s16
	s_cbranch_execnz .LBB558_2
; %bb.3:
	s_or_b32 exec_lo, exec_lo, s16
.LBB558_4:
	s_delay_alu instid0(SALU_CYCLE_1) | instskip(SKIP_2) | instid1(VALU_DEP_2)
	s_or_b32 exec_lo, exec_lo, s15
	v_and_b32_e32 v2, 31, v0
	v_cmp_gt_u32_e32 vcc_lo, 32, v0
	v_lshlrev_b32_e32 v1, 2, v2
	s_and_saveexec_b32 s0, vcc_lo
	s_cbranch_execz .LBB558_6
; %bb.5:
	v_mov_b32_e32 v3, 0
	ds_store_b32 v1, v3
.LBB558_6:
	s_or_b32 exec_lo, exec_lo, s0
	v_mbcnt_lo_u32_b32 v6, -1, 0
	s_mov_b32 s1, exec_lo
	s_waitcnt lgkmcnt(0)
	s_barrier
	buffer_gl0_inv
	v_cmp_gt_u32_e64 s0, 16, v6
	s_delay_alu instid0(VALU_DEP_1) | instskip(SKIP_1) | instid1(VALU_DEP_2)
	v_cndmask_b32_e64 v3, 0, 1, s0
	v_cmp_gt_u32_e64 s0, 24, v6
	v_lshlrev_b32_e32 v3, 4, v3
	s_delay_alu instid0(VALU_DEP_1) | instskip(SKIP_3) | instid1(VALU_DEP_2)
	v_add_lshl_u32 v3, v3, v6, 2
	ds_bpermute_b32 v4, v3, v5
	v_cndmask_b32_e64 v3, 0, 1, s0
	v_cmp_gt_u32_e64 s0, 28, v6
	v_lshlrev_b32_e32 v3, 3, v3
	s_delay_alu instid0(VALU_DEP_1)
	v_add_lshl_u32 v3, v3, v6, 2
	s_waitcnt lgkmcnt(0)
	v_add_f32_e32 v5, v5, v4
	v_cndmask_b32_e64 v4, 0, 1, s0
	v_cmp_gt_u32_e64 s0, 30, v6
	ds_bpermute_b32 v7, v3, v5
	s_waitcnt lgkmcnt(0)
	v_dual_add_f32 v7, v5, v7 :: v_dual_lshlrev_b32 v4, 2, v4
	s_delay_alu instid0(VALU_DEP_1) | instskip(SKIP_4) | instid1(VALU_DEP_1)
	v_add_lshl_u32 v4, v4, v6, 2
	v_cndmask_b32_e64 v5, 0, 1, s0
	v_cmp_ne_u32_e64 s0, 31, v6
	ds_bpermute_b32 v8, v4, v7
	v_lshlrev_b32_e32 v5, 1, v5
	v_add_lshl_u32 v5, v5, v6, 2
	v_add_co_ci_u32_e64 v6, s0, 0, v6, s0
	s_waitcnt lgkmcnt(0)
	s_delay_alu instid0(VALU_DEP_1)
	v_dual_add_f32 v7, v7, v8 :: v_dual_lshlrev_b32 v6, 2, v6
	ds_bpermute_b32 v8, v5, v7
	s_waitcnt lgkmcnt(0)
	v_add_f32_e32 v7, v7, v8
	ds_bpermute_b32 v8, v6, v7
	v_cmpx_eq_u32_e32 0, v2
	s_cbranch_execz .LBB558_8
; %bb.7:
	v_lshrrev_b32_e32 v2, 3, v0
	s_waitcnt lgkmcnt(0)
	s_delay_alu instid0(VALU_DEP_1)
	v_dual_add_f32 v7, v7, v8 :: v_dual_and_b32 v2, 60, v2
	ds_store_b32 v2, v7
.LBB558_8:
	s_or_b32 exec_lo, exec_lo, s1
	v_mov_b32_e32 v2, 0
	s_mov_b32 s1, exec_lo
	s_waitcnt lgkmcnt(0)
	s_barrier
	buffer_gl0_inv
	v_cmpx_gt_u32_e32 16, v0
	s_cbranch_execz .LBB558_10
; %bb.9:
	ds_load_b32 v2, v1
.LBB558_10:
	s_or_b32 exec_lo, exec_lo, s1
	s_and_saveexec_b32 s0, vcc_lo
	s_cbranch_execz .LBB558_12
; %bb.11:
	s_waitcnt lgkmcnt(0)
	ds_bpermute_b32 v1, v3, v2
	s_waitcnt lgkmcnt(0)
	v_add_f32_e32 v1, v2, v1
	ds_bpermute_b32 v2, v4, v1
	s_waitcnt lgkmcnt(0)
	v_add_f32_e32 v1, v1, v2
	;; [unrolled: 3-line block ×4, first 2 shown]
.LBB558_12:
	s_or_b32 exec_lo, exec_lo, s0
	s_delay_alu instid0(SALU_CYCLE_1)
	s_mov_b32 s0, exec_lo
	v_cmpx_eq_u32_e32 0, v0
	s_cbranch_execz .LBB558_18
; %bb.13:
	s_cmp_lg_u32 s12, 1
	s_cbranch_scc0 .LBB558_15
; %bb.14:
	s_mul_hi_u32 s1, s12, s2
	s_mul_i32 s0, s12, s2
	s_mov_b32 s15, 0
	s_lshl_b64 s[0:1], s[0:1], 2
	s_delay_alu instid0(SALU_CYCLE_1) | instskip(SKIP_2) | instid1(SALU_CYCLE_1)
	s_add_u32 s4, s4, s0
	s_addc_u32 s5, s5, s1
	s_lshl_b64 s[0:1], s[14:15], 2
	s_add_u32 s0, s4, s0
	s_addc_u32 s1, s5, s1
	s_cbranch_execz .LBB558_16
	s_branch .LBB558_17
.LBB558_15:
                                        ; implicit-def: $sgpr0_sgpr1
.LBB558_16:
	s_lshl_b64 s[0:1], s[2:3], 2
	s_delay_alu instid0(SALU_CYCLE_1)
	s_add_u32 s0, s6, s0
	s_addc_u32 s1, s7, s1
.LBB558_17:
	v_mov_b32_e32 v0, 0
	s_waitcnt lgkmcnt(0)
	global_store_b32 v0, v2, s[0:1]
.LBB558_18:
	s_nop 0
	s_sendmsg sendmsg(MSG_DEALLOC_VGPRS)
	s_endpgm
	.section	.rodata,"a",@progbits
	.p2align	6, 0x0
	.amdhsa_kernel _ZL18rocblas_dot_kernelIiLb0ELi512ELi4ELb1EfPKPK16rocblas_bfloat16fEviT5_lT_lS5_lS6_liPT6_PT4_
		.amdhsa_group_segment_fixed_size 128
		.amdhsa_private_segment_fixed_size 0
		.amdhsa_kernarg_size 352
		.amdhsa_user_sgpr_count 14
		.amdhsa_user_sgpr_dispatch_ptr 0
		.amdhsa_user_sgpr_queue_ptr 0
		.amdhsa_user_sgpr_kernarg_segment_ptr 1
		.amdhsa_user_sgpr_dispatch_id 0
		.amdhsa_user_sgpr_private_segment_size 0
		.amdhsa_wavefront_size32 1
		.amdhsa_uses_dynamic_stack 0
		.amdhsa_enable_private_segment 0
		.amdhsa_system_sgpr_workgroup_id_x 1
		.amdhsa_system_sgpr_workgroup_id_y 0
		.amdhsa_system_sgpr_workgroup_id_z 1
		.amdhsa_system_sgpr_workgroup_info 0
		.amdhsa_system_vgpr_workitem_id 0
		.amdhsa_next_free_vgpr 9
		.amdhsa_next_free_sgpr 25
		.amdhsa_reserve_vcc 1
		.amdhsa_float_round_mode_32 0
		.amdhsa_float_round_mode_16_64 0
		.amdhsa_float_denorm_mode_32 3
		.amdhsa_float_denorm_mode_16_64 3
		.amdhsa_dx10_clamp 1
		.amdhsa_ieee_mode 1
		.amdhsa_fp16_overflow 0
		.amdhsa_workgroup_processor_mode 1
		.amdhsa_memory_ordered 1
		.amdhsa_forward_progress 0
		.amdhsa_shared_vgpr_count 0
		.amdhsa_exception_fp_ieee_invalid_op 0
		.amdhsa_exception_fp_denorm_src 0
		.amdhsa_exception_fp_ieee_div_zero 0
		.amdhsa_exception_fp_ieee_overflow 0
		.amdhsa_exception_fp_ieee_underflow 0
		.amdhsa_exception_fp_ieee_inexact 0
		.amdhsa_exception_int_div_zero 0
	.end_amdhsa_kernel
	.section	.text._ZL18rocblas_dot_kernelIiLb0ELi512ELi4ELb1EfPKPK16rocblas_bfloat16fEviT5_lT_lS5_lS6_liPT6_PT4_,"axG",@progbits,_ZL18rocblas_dot_kernelIiLb0ELi512ELi4ELb1EfPKPK16rocblas_bfloat16fEviT5_lT_lS5_lS6_liPT6_PT4_,comdat
.Lfunc_end558:
	.size	_ZL18rocblas_dot_kernelIiLb0ELi512ELi4ELb1EfPKPK16rocblas_bfloat16fEviT5_lT_lS5_lS6_liPT6_PT4_, .Lfunc_end558-_ZL18rocblas_dot_kernelIiLb0ELi512ELi4ELb1EfPKPK16rocblas_bfloat16fEviT5_lT_lS5_lS6_liPT6_PT4_
                                        ; -- End function
	.section	.AMDGPU.csdata,"",@progbits
; Kernel info:
; codeLenInByte = 980
; NumSgprs: 27
; NumVgprs: 9
; ScratchSize: 0
; MemoryBound: 0
; FloatMode: 240
; IeeeMode: 1
; LDSByteSize: 128 bytes/workgroup (compile time only)
; SGPRBlocks: 3
; VGPRBlocks: 1
; NumSGPRsForWavesPerEU: 27
; NumVGPRsForWavesPerEU: 9
; Occupancy: 16
; WaveLimiterHint : 0
; COMPUTE_PGM_RSRC2:SCRATCH_EN: 0
; COMPUTE_PGM_RSRC2:USER_SGPR: 14
; COMPUTE_PGM_RSRC2:TRAP_HANDLER: 0
; COMPUTE_PGM_RSRC2:TGID_X_EN: 1
; COMPUTE_PGM_RSRC2:TGID_Y_EN: 0
; COMPUTE_PGM_RSRC2:TGID_Z_EN: 1
; COMPUTE_PGM_RSRC2:TIDIG_COMP_CNT: 0
	.section	.text._ZL24rocblas_dot_kernel_magsqIiLb0ELi512ELi4ELb1EfPKPK16rocblas_bfloat16fEviT5_lT_liPT6_PT4_,"axG",@progbits,_ZL24rocblas_dot_kernel_magsqIiLb0ELi512ELi4ELb1EfPKPK16rocblas_bfloat16fEviT5_lT_liPT6_PT4_,comdat
	.globl	_ZL24rocblas_dot_kernel_magsqIiLb0ELi512ELi4ELb1EfPKPK16rocblas_bfloat16fEviT5_lT_liPT6_PT4_ ; -- Begin function _ZL24rocblas_dot_kernel_magsqIiLb0ELi512ELi4ELb1EfPKPK16rocblas_bfloat16fEviT5_lT_liPT6_PT4_
	.p2align	8
	.type	_ZL24rocblas_dot_kernel_magsqIiLb0ELi512ELi4ELb1EfPKPK16rocblas_bfloat16fEviT5_lT_liPT6_PT4_,@function
_ZL24rocblas_dot_kernel_magsqIiLb0ELi512ELi4ELb1EfPKPK16rocblas_bfloat16fEviT5_lT_liPT6_PT4_: ; @_ZL24rocblas_dot_kernel_magsqIiLb0ELi512ELi4ELb1EfPKPK16rocblas_bfloat16fEviT5_lT_liPT6_PT4_
; %bb.0:
	s_clause 0x2
	s_load_b32 s11, s[0:1], 0x0
	s_load_b128 s[4:7], s[0:1], 0x30
	s_load_b32 s10, s[0:1], 0x40
	v_lshl_or_b32 v1, s14, 9, v0
	v_mov_b32_e32 v3, 0
	s_mov_b32 s2, s15
	s_mov_b32 s3, 0
	s_mov_b32 s12, exec_lo
	s_waitcnt lgkmcnt(0)
	v_cmpx_gt_i32_e64 s11, v1
	s_cbranch_execz .LBB559_4
; %bb.1:
	s_clause 0x1
	s_load_b128 s[16:19], s[0:1], 0x8
	s_load_b32 s13, s[0:1], 0x18
	s_lshl_b64 s[0:1], s[2:3], 3
	s_mov_b32 s15, s3
	s_waitcnt lgkmcnt(0)
	s_add_u32 s0, s16, s0
	s_addc_u32 s1, s17, s1
	v_mad_i64_i32 v[2:3], null, s13, v1, 0
	s_load_b64 s[8:9], s[0:1], 0x0
	s_lshl_b32 s1, s10, 9
	s_lshl_b64 s[16:17], s[18:19], 1
	v_add_nc_u32_e32 v4, s1, v1
	s_mul_hi_i32 s19, s13, s1
	s_mul_i32 s18, s13, s1
	s_delay_alu instid0(VALU_DEP_2)
	v_lshlrev_b64 v[1:2], 1, v[2:3]
	v_mov_b32_e32 v3, 0
	s_mov_b32 s13, s3
	s_waitcnt lgkmcnt(0)
	s_add_u32 s0, s8, s16
	s_addc_u32 s8, s9, s17
	v_add_co_u32 v1, vcc_lo, s0, v1
	v_add_co_ci_u32_e32 v2, vcc_lo, s8, v2, vcc_lo
	s_lshl_b64 s[8:9], s[18:19], 1
	.p2align	6
.LBB559_2:                              ; =>This Inner Loop Header: Depth=1
	global_load_u16 v5, v[1:2], off
	s_add_i32 s16, s15, 1
	v_cmp_le_i32_e32 vcc_lo, s11, v4
	v_add_co_u32 v1, s0, v1, s8
	s_cmp_gt_u32 s15, 2
	v_add_co_ci_u32_e64 v2, s0, s9, v2, s0
	s_cselect_b32 s0, -1, 0
	s_mov_b32 s15, s16
	s_or_b32 s0, s0, vcc_lo
	s_delay_alu instid0(SALU_CYCLE_1) | instskip(NEXT) | instid1(SALU_CYCLE_1)
	s_and_b32 s0, exec_lo, s0
	s_or_b32 s13, s0, s13
	s_waitcnt vmcnt(0)
	v_lshlrev_b32_e32 v5, 16, v5
	s_delay_alu instid0(VALU_DEP_1)
	v_dual_fmac_f32 v3, v5, v5 :: v_dual_add_nc_u32 v4, s1, v4
	s_and_not1_b32 exec_lo, exec_lo, s13
	s_cbranch_execnz .LBB559_2
; %bb.3:
	s_or_b32 exec_lo, exec_lo, s13
.LBB559_4:
	s_delay_alu instid0(SALU_CYCLE_1) | instskip(SKIP_2) | instid1(VALU_DEP_2)
	s_or_b32 exec_lo, exec_lo, s12
	v_and_b32_e32 v2, 31, v0
	v_cmp_gt_u32_e32 vcc_lo, 32, v0
	v_lshlrev_b32_e32 v1, 2, v2
	s_and_saveexec_b32 s0, vcc_lo
	s_cbranch_execz .LBB559_6
; %bb.5:
	v_mov_b32_e32 v4, 0
	ds_store_b32 v1, v4
.LBB559_6:
	s_or_b32 exec_lo, exec_lo, s0
	v_mbcnt_lo_u32_b32 v6, -1, 0
	s_mov_b32 s1, exec_lo
	s_waitcnt lgkmcnt(0)
	s_barrier
	buffer_gl0_inv
	v_cmp_gt_u32_e64 s0, 16, v6
	s_delay_alu instid0(VALU_DEP_1) | instskip(SKIP_1) | instid1(VALU_DEP_2)
	v_cndmask_b32_e64 v4, 0, 1, s0
	v_cmp_gt_u32_e64 s0, 24, v6
	v_lshlrev_b32_e32 v4, 4, v4
	s_delay_alu instid0(VALU_DEP_1) | instskip(SKIP_4) | instid1(VALU_DEP_2)
	v_add_lshl_u32 v4, v4, v6, 2
	ds_bpermute_b32 v5, v4, v3
	v_cndmask_b32_e64 v4, 0, 1, s0
	v_cmp_gt_u32_e64 s0, 28, v6
	s_waitcnt lgkmcnt(0)
	v_dual_add_f32 v5, v3, v5 :: v_dual_lshlrev_b32 v4, 3, v4
	s_delay_alu instid0(VALU_DEP_2) | instskip(SKIP_1) | instid1(VALU_DEP_3)
	v_cndmask_b32_e64 v3, 0, 1, s0
	v_cmp_gt_u32_e64 s0, 30, v6
	v_add_lshl_u32 v4, v4, v6, 2
	s_delay_alu instid0(VALU_DEP_3)
	v_lshlrev_b32_e32 v3, 2, v3
	ds_bpermute_b32 v7, v4, v5
	v_add_lshl_u32 v3, v3, v6, 2
	s_waitcnt lgkmcnt(0)
	v_add_f32_e32 v7, v5, v7
	v_cndmask_b32_e64 v5, 0, 1, s0
	v_cmp_ne_u32_e64 s0, 31, v6
	ds_bpermute_b32 v8, v3, v7
	v_lshlrev_b32_e32 v5, 1, v5
	s_delay_alu instid0(VALU_DEP_1) | instskip(SKIP_2) | instid1(VALU_DEP_1)
	v_add_lshl_u32 v5, v5, v6, 2
	v_add_co_ci_u32_e64 v6, s0, 0, v6, s0
	s_waitcnt lgkmcnt(0)
	v_dual_add_f32 v7, v7, v8 :: v_dual_lshlrev_b32 v6, 2, v6
	ds_bpermute_b32 v8, v5, v7
	s_waitcnt lgkmcnt(0)
	v_add_f32_e32 v7, v7, v8
	ds_bpermute_b32 v8, v6, v7
	v_cmpx_eq_u32_e32 0, v2
	s_cbranch_execz .LBB559_8
; %bb.7:
	v_lshrrev_b32_e32 v2, 3, v0
	s_waitcnt lgkmcnt(0)
	s_delay_alu instid0(VALU_DEP_1)
	v_dual_add_f32 v7, v7, v8 :: v_dual_and_b32 v2, 60, v2
	ds_store_b32 v2, v7
.LBB559_8:
	s_or_b32 exec_lo, exec_lo, s1
	v_mov_b32_e32 v2, 0
	s_mov_b32 s1, exec_lo
	s_waitcnt lgkmcnt(0)
	s_barrier
	buffer_gl0_inv
	v_cmpx_gt_u32_e32 16, v0
	s_cbranch_execz .LBB559_10
; %bb.9:
	ds_load_b32 v2, v1
.LBB559_10:
	s_or_b32 exec_lo, exec_lo, s1
	s_and_saveexec_b32 s0, vcc_lo
	s_cbranch_execz .LBB559_12
; %bb.11:
	s_waitcnt lgkmcnt(0)
	ds_bpermute_b32 v1, v4, v2
	s_waitcnt lgkmcnt(0)
	v_add_f32_e32 v1, v2, v1
	ds_bpermute_b32 v2, v3, v1
	s_waitcnt lgkmcnt(0)
	v_add_f32_e32 v1, v1, v2
	;; [unrolled: 3-line block ×4, first 2 shown]
.LBB559_12:
	s_or_b32 exec_lo, exec_lo, s0
	s_delay_alu instid0(SALU_CYCLE_1)
	s_mov_b32 s0, exec_lo
	v_cmpx_eq_u32_e32 0, v0
	s_cbranch_execz .LBB559_18
; %bb.13:
	s_cmp_lg_u32 s10, 1
	s_cbranch_scc0 .LBB559_15
; %bb.14:
	s_mul_hi_u32 s1, s10, s2
	s_mul_i32 s0, s10, s2
	s_mov_b32 s15, 0
	s_lshl_b64 s[0:1], s[0:1], 2
	s_delay_alu instid0(SALU_CYCLE_1) | instskip(SKIP_2) | instid1(SALU_CYCLE_1)
	s_add_u32 s4, s4, s0
	s_addc_u32 s5, s5, s1
	s_lshl_b64 s[0:1], s[14:15], 2
	s_add_u32 s0, s4, s0
	s_addc_u32 s1, s5, s1
	s_cbranch_execz .LBB559_16
	s_branch .LBB559_17
.LBB559_15:
                                        ; implicit-def: $sgpr0_sgpr1
.LBB559_16:
	s_lshl_b64 s[0:1], s[2:3], 2
	s_delay_alu instid0(SALU_CYCLE_1)
	s_add_u32 s0, s6, s0
	s_addc_u32 s1, s7, s1
.LBB559_17:
	v_mov_b32_e32 v0, 0
	s_waitcnt lgkmcnt(0)
	global_store_b32 v0, v2, s[0:1]
.LBB559_18:
	s_nop 0
	s_sendmsg sendmsg(MSG_DEALLOC_VGPRS)
	s_endpgm
	.section	.rodata,"a",@progbits
	.p2align	6, 0x0
	.amdhsa_kernel _ZL24rocblas_dot_kernel_magsqIiLb0ELi512ELi4ELb1EfPKPK16rocblas_bfloat16fEviT5_lT_liPT6_PT4_
		.amdhsa_group_segment_fixed_size 128
		.amdhsa_private_segment_fixed_size 0
		.amdhsa_kernarg_size 320
		.amdhsa_user_sgpr_count 14
		.amdhsa_user_sgpr_dispatch_ptr 0
		.amdhsa_user_sgpr_queue_ptr 0
		.amdhsa_user_sgpr_kernarg_segment_ptr 1
		.amdhsa_user_sgpr_dispatch_id 0
		.amdhsa_user_sgpr_private_segment_size 0
		.amdhsa_wavefront_size32 1
		.amdhsa_uses_dynamic_stack 0
		.amdhsa_enable_private_segment 0
		.amdhsa_system_sgpr_workgroup_id_x 1
		.amdhsa_system_sgpr_workgroup_id_y 0
		.amdhsa_system_sgpr_workgroup_id_z 1
		.amdhsa_system_sgpr_workgroup_info 0
		.amdhsa_system_vgpr_workitem_id 0
		.amdhsa_next_free_vgpr 9
		.amdhsa_next_free_sgpr 20
		.amdhsa_reserve_vcc 1
		.amdhsa_float_round_mode_32 0
		.amdhsa_float_round_mode_16_64 0
		.amdhsa_float_denorm_mode_32 3
		.amdhsa_float_denorm_mode_16_64 3
		.amdhsa_dx10_clamp 1
		.amdhsa_ieee_mode 1
		.amdhsa_fp16_overflow 0
		.amdhsa_workgroup_processor_mode 1
		.amdhsa_memory_ordered 1
		.amdhsa_forward_progress 0
		.amdhsa_shared_vgpr_count 0
		.amdhsa_exception_fp_ieee_invalid_op 0
		.amdhsa_exception_fp_denorm_src 0
		.amdhsa_exception_fp_ieee_div_zero 0
		.amdhsa_exception_fp_ieee_overflow 0
		.amdhsa_exception_fp_ieee_underflow 0
		.amdhsa_exception_fp_ieee_inexact 0
		.amdhsa_exception_int_div_zero 0
	.end_amdhsa_kernel
	.section	.text._ZL24rocblas_dot_kernel_magsqIiLb0ELi512ELi4ELb1EfPKPK16rocblas_bfloat16fEviT5_lT_liPT6_PT4_,"axG",@progbits,_ZL24rocblas_dot_kernel_magsqIiLb0ELi512ELi4ELb1EfPKPK16rocblas_bfloat16fEviT5_lT_liPT6_PT4_,comdat
.Lfunc_end559:
	.size	_ZL24rocblas_dot_kernel_magsqIiLb0ELi512ELi4ELb1EfPKPK16rocblas_bfloat16fEviT5_lT_liPT6_PT4_, .Lfunc_end559-_ZL24rocblas_dot_kernel_magsqIiLb0ELi512ELi4ELb1EfPKPK16rocblas_bfloat16fEviT5_lT_liPT6_PT4_
                                        ; -- End function
	.section	.AMDGPU.csdata,"",@progbits
; Kernel info:
; codeLenInByte = 860
; NumSgprs: 22
; NumVgprs: 9
; ScratchSize: 0
; MemoryBound: 0
; FloatMode: 240
; IeeeMode: 1
; LDSByteSize: 128 bytes/workgroup (compile time only)
; SGPRBlocks: 2
; VGPRBlocks: 1
; NumSGPRsForWavesPerEU: 22
; NumVGPRsForWavesPerEU: 9
; Occupancy: 16
; WaveLimiterHint : 0
; COMPUTE_PGM_RSRC2:SCRATCH_EN: 0
; COMPUTE_PGM_RSRC2:USER_SGPR: 14
; COMPUTE_PGM_RSRC2:TRAP_HANDLER: 0
; COMPUTE_PGM_RSRC2:TGID_X_EN: 1
; COMPUTE_PGM_RSRC2:TGID_Y_EN: 0
; COMPUTE_PGM_RSRC2:TGID_Z_EN: 1
; COMPUTE_PGM_RSRC2:TIDIG_COMP_CNT: 0
	.section	.text._ZL28rocblas_dot_batched_4_kernelIlLi32ELi4ELb1Ef16rocblas_bfloat16PKPKS0_EviT5_lT_lS5_lS6_liPT4_,"axG",@progbits,_ZL28rocblas_dot_batched_4_kernelIlLi32ELi4ELb1Ef16rocblas_bfloat16PKPKS0_EviT5_lT_lS5_lS6_liPT4_,comdat
	.globl	_ZL28rocblas_dot_batched_4_kernelIlLi32ELi4ELb1Ef16rocblas_bfloat16PKPKS0_EviT5_lT_lS5_lS6_liPT4_ ; -- Begin function _ZL28rocblas_dot_batched_4_kernelIlLi32ELi4ELb1Ef16rocblas_bfloat16PKPKS0_EviT5_lT_lS5_lS6_liPT4_
	.p2align	8
	.type	_ZL28rocblas_dot_batched_4_kernelIlLi32ELi4ELb1Ef16rocblas_bfloat16PKPKS0_EviT5_lT_lS5_lS6_liPT4_,@function
_ZL28rocblas_dot_batched_4_kernelIlLi32ELi4ELb1Ef16rocblas_bfloat16PKPKS0_EviT5_lT_lS5_lS6_liPT4_: ; @_ZL28rocblas_dot_batched_4_kernelIlLi32ELi4ELb1Ef16rocblas_bfloat16PKPKS0_EviT5_lT_lS5_lS6_liPT4_
; %bb.0:
	s_load_b32 s2, s[0:1], 0x48
	v_bfe_u32 v1, v0, 10, 10
	s_delay_alu instid0(VALU_DEP_1) | instskip(SKIP_1) | instid1(VALU_DEP_1)
	v_lshl_add_u32 v1, s15, 2, v1
	s_waitcnt lgkmcnt(0)
	v_cmp_gt_u32_e32 vcc_lo, s2, v1
	s_and_saveexec_b32 s2, vcc_lo
	s_cbranch_execz .LBB560_11
; %bb.1:
	s_clause 0x1
	s_load_b32 s10, s[0:1], 0x0
	s_load_b64 s[8:9], s[0:1], 0x50
	v_mov_b32_e32 v2, 0
	v_and_b32_e32 v0, 0x3ff, v0
	s_mov_b32 s11, exec_lo
	s_delay_alu instid0(VALU_DEP_2) | instskip(SKIP_1) | instid1(VALU_DEP_2)
	v_mov_b32_e32 v7, v2
	s_waitcnt lgkmcnt(0)
	v_cmpx_gt_i32_e64 s10, v0
	s_cbranch_execz .LBB560_5
; %bb.2:
	s_clause 0x1
	s_load_b64 s[12:13], s[0:1], 0x8
	s_load_b64 s[14:15], s[0:1], 0x28
	v_lshlrev_b64 v[3:4], 3, v[1:2]
	s_clause 0x1
	s_load_b128 s[4:7], s[0:1], 0x10
	s_load_b128 s[0:3], s[0:1], 0x30
	s_waitcnt lgkmcnt(0)
	s_delay_alu instid0(VALU_DEP_1)
	v_add_co_u32 v5, vcc_lo, s12, v3
	v_add_co_ci_u32_e32 v6, vcc_lo, s13, v4, vcc_lo
	v_add_co_u32 v3, vcc_lo, s14, v3
	v_add_co_ci_u32_e32 v4, vcc_lo, s15, v4, vcc_lo
	v_mad_u64_u32 v[10:11], null, s2, v0, 0
	global_load_b64 v[5:6], v[5:6], off
	global_load_b64 v[8:9], v[3:4], off
	v_mad_u64_u32 v[3:4], null, s6, v0, 0
	s_lshl_b64 s[4:5], s[4:5], 1
	s_lshl_b64 s[0:1], s[0:1], 1
	v_mov_b32_e32 v7, v11
	s_waitcnt vmcnt(1)
	s_delay_alu instid0(VALU_DEP_2) | instskip(SKIP_1) | instid1(VALU_DEP_2)
	v_mad_u64_u32 v[11:12], null, s7, v0, v[4:5]
	s_waitcnt vmcnt(0)
	v_mad_u64_u32 v[12:13], null, s3, v0, v[7:8]
	v_mov_b32_e32 v7, 0
	s_lshl_b64 s[2:3], s[2:3], 6
	s_delay_alu instid0(VALU_DEP_2) | instskip(NEXT) | instid1(VALU_DEP_1)
	v_dual_mov_b32 v4, v11 :: v_dual_mov_b32 v11, v12
	v_lshlrev_b64 v[3:4], 1, v[3:4]
	s_delay_alu instid0(VALU_DEP_2) | instskip(NEXT) | instid1(VALU_DEP_2)
	v_lshlrev_b64 v[10:11], 1, v[10:11]
	v_add_co_u32 v3, vcc_lo, v3, s4
	s_delay_alu instid0(VALU_DEP_3) | instskip(NEXT) | instid1(VALU_DEP_3)
	v_add_co_ci_u32_e32 v4, vcc_lo, s5, v4, vcc_lo
	v_add_co_u32 v10, vcc_lo, v10, s0
	s_delay_alu instid0(VALU_DEP_4) | instskip(NEXT) | instid1(VALU_DEP_4)
	v_add_co_ci_u32_e32 v11, vcc_lo, s1, v11, vcc_lo
	v_add_co_u32 v3, vcc_lo, v5, v3
	s_delay_alu instid0(VALU_DEP_4) | instskip(NEXT) | instid1(VALU_DEP_4)
	v_add_co_ci_u32_e32 v4, vcc_lo, v6, v4, vcc_lo
	v_add_co_u32 v5, vcc_lo, v8, v10
	s_delay_alu instid0(VALU_DEP_4)
	v_add_co_ci_u32_e32 v6, vcc_lo, v9, v11, vcc_lo
	v_mov_b32_e32 v8, v0
	s_lshl_b64 s[4:5], s[6:7], 6
	s_mov_b32 s1, 0
	.p2align	6
.LBB560_3:                              ; =>This Inner Loop Header: Depth=1
	global_load_u16 v9, v[5:6], off
	global_load_u16 v10, v[3:4], off
	v_add_co_u32 v3, vcc_lo, v3, s4
	v_add_co_ci_u32_e32 v4, vcc_lo, s5, v4, vcc_lo
	v_add_co_u32 v5, vcc_lo, v5, s2
	v_add_co_ci_u32_e32 v6, vcc_lo, s3, v6, vcc_lo
	s_waitcnt vmcnt(1)
	v_lshlrev_b32_e32 v9, 16, v9
	s_waitcnt vmcnt(0)
	v_lshlrev_b32_e32 v10, 16, v10
	s_delay_alu instid0(VALU_DEP_1) | instskip(NEXT) | instid1(VALU_DEP_1)
	v_dual_fmac_f32 v7, v10, v9 :: v_dual_add_nc_u32 v8, 32, v8
	v_cmp_le_i32_e64 s0, s10, v8
	s_delay_alu instid0(VALU_DEP_1) | instskip(NEXT) | instid1(SALU_CYCLE_1)
	s_or_b32 s1, s0, s1
	s_and_not1_b32 exec_lo, exec_lo, s1
	s_cbranch_execnz .LBB560_3
; %bb.4:
	s_or_b32 exec_lo, exec_lo, s1
.LBB560_5:
	s_delay_alu instid0(SALU_CYCLE_1)
	s_or_b32 exec_lo, exec_lo, s11
	v_mbcnt_lo_u32_b32 v3, -1, 0
	s_barrier
	buffer_gl0_inv
	v_cmp_gt_u32_e32 vcc_lo, 16, v3
	v_cndmask_b32_e64 v4, 0, 1, vcc_lo
	v_cmp_gt_u32_e32 vcc_lo, 24, v3
	s_delay_alu instid0(VALU_DEP_2) | instskip(SKIP_2) | instid1(VALU_DEP_3)
	v_lshlrev_b32_e32 v4, 4, v4
	v_cndmask_b32_e64 v5, 0, 1, vcc_lo
	v_cmp_gt_u32_e32 vcc_lo, 28, v3
	v_add_lshl_u32 v4, v4, v3, 2
	v_cndmask_b32_e64 v6, 0, 1, vcc_lo
	v_cmp_gt_u32_e32 vcc_lo, 30, v3
	ds_bpermute_b32 v4, v4, v7
	v_lshlrev_b32_e32 v5, 3, v5
	v_lshlrev_b32_e32 v6, 2, v6
	s_delay_alu instid0(VALU_DEP_1)
	v_add_lshl_u32 v6, v6, v3, 2
	s_waitcnt lgkmcnt(0)
	v_add_f32_e32 v4, v7, v4
	v_add_lshl_u32 v5, v5, v3, 2
	ds_bpermute_b32 v5, v5, v4
	s_waitcnt lgkmcnt(0)
	v_add_f32_e32 v4, v4, v5
	ds_bpermute_b32 v5, v6, v4
	v_cndmask_b32_e64 v6, 0, 1, vcc_lo
	v_cmp_ne_u32_e32 vcc_lo, 31, v3
	s_delay_alu instid0(VALU_DEP_2) | instskip(NEXT) | instid1(VALU_DEP_1)
	v_lshlrev_b32_e32 v6, 1, v6
	v_add_lshl_u32 v6, v6, v3, 2
	s_waitcnt lgkmcnt(0)
	v_add_f32_e32 v4, v4, v5
	ds_bpermute_b32 v5, v6, v4
	v_add_co_ci_u32_e32 v6, vcc_lo, 0, v3, vcc_lo
	v_cmp_eq_u32_e32 vcc_lo, 0, v0
	s_waitcnt lgkmcnt(0)
	s_delay_alu instid0(VALU_DEP_2)
	v_dual_add_f32 v3, v4, v5 :: v_dual_lshlrev_b32 v4, 2, v6
	ds_bpermute_b32 v4, v4, v3
	s_and_b32 exec_lo, exec_lo, vcc_lo
	s_cbranch_execz .LBB560_11
; %bb.6:
	s_waitcnt lgkmcnt(0)
	v_add_f32_e32 v3, v3, v4
	s_delay_alu instid0(VALU_DEP_1) | instskip(NEXT) | instid1(VALU_DEP_1)
	v_and_b32_e32 v0, 0x7f800000, v3
	v_cmp_ne_u32_e32 vcc_lo, 0x7f800000, v0
                                        ; implicit-def: $vgpr0
	s_and_saveexec_b32 s0, vcc_lo
	s_delay_alu instid0(SALU_CYCLE_1)
	s_xor_b32 s0, exec_lo, s0
; %bb.7:
	v_bfe_u32 v0, v3, 16, 1
	s_delay_alu instid0(VALU_DEP_1)
	v_add3_u32 v0, v3, v0, 0x7fff
                                        ; implicit-def: $vgpr3
; %bb.8:
	s_and_not1_saveexec_b32 s0, s0
; %bb.9:
	v_and_b32_e32 v0, 0xffff, v3
	v_or_b32_e32 v4, 0x10000, v3
	s_delay_alu instid0(VALU_DEP_2) | instskip(NEXT) | instid1(VALU_DEP_2)
	v_cmp_eq_u32_e32 vcc_lo, 0, v0
	v_cndmask_b32_e32 v0, v4, v3, vcc_lo
; %bb.10:
	s_or_b32 exec_lo, exec_lo, s0
	v_lshlrev_b64 v[1:2], 1, v[1:2]
	s_delay_alu instid0(VALU_DEP_1) | instskip(NEXT) | instid1(VALU_DEP_2)
	v_add_co_u32 v1, vcc_lo, s8, v1
	v_add_co_ci_u32_e32 v2, vcc_lo, s9, v2, vcc_lo
	global_store_d16_hi_b16 v[1:2], v0, off
.LBB560_11:
	s_nop 0
	s_sendmsg sendmsg(MSG_DEALLOC_VGPRS)
	s_endpgm
	.section	.rodata,"a",@progbits
	.p2align	6, 0x0
	.amdhsa_kernel _ZL28rocblas_dot_batched_4_kernelIlLi32ELi4ELb1Ef16rocblas_bfloat16PKPKS0_EviT5_lT_lS5_lS6_liPT4_
		.amdhsa_group_segment_fixed_size 0
		.amdhsa_private_segment_fixed_size 0
		.amdhsa_kernarg_size 88
		.amdhsa_user_sgpr_count 15
		.amdhsa_user_sgpr_dispatch_ptr 0
		.amdhsa_user_sgpr_queue_ptr 0
		.amdhsa_user_sgpr_kernarg_segment_ptr 1
		.amdhsa_user_sgpr_dispatch_id 0
		.amdhsa_user_sgpr_private_segment_size 0
		.amdhsa_wavefront_size32 1
		.amdhsa_uses_dynamic_stack 0
		.amdhsa_enable_private_segment 0
		.amdhsa_system_sgpr_workgroup_id_x 1
		.amdhsa_system_sgpr_workgroup_id_y 0
		.amdhsa_system_sgpr_workgroup_id_z 0
		.amdhsa_system_sgpr_workgroup_info 0
		.amdhsa_system_vgpr_workitem_id 1
		.amdhsa_next_free_vgpr 14
		.amdhsa_next_free_sgpr 16
		.amdhsa_reserve_vcc 1
		.amdhsa_float_round_mode_32 0
		.amdhsa_float_round_mode_16_64 0
		.amdhsa_float_denorm_mode_32 3
		.amdhsa_float_denorm_mode_16_64 3
		.amdhsa_dx10_clamp 1
		.amdhsa_ieee_mode 1
		.amdhsa_fp16_overflow 0
		.amdhsa_workgroup_processor_mode 1
		.amdhsa_memory_ordered 1
		.amdhsa_forward_progress 0
		.amdhsa_shared_vgpr_count 0
		.amdhsa_exception_fp_ieee_invalid_op 0
		.amdhsa_exception_fp_denorm_src 0
		.amdhsa_exception_fp_ieee_div_zero 0
		.amdhsa_exception_fp_ieee_overflow 0
		.amdhsa_exception_fp_ieee_underflow 0
		.amdhsa_exception_fp_ieee_inexact 0
		.amdhsa_exception_int_div_zero 0
	.end_amdhsa_kernel
	.section	.text._ZL28rocblas_dot_batched_4_kernelIlLi32ELi4ELb1Ef16rocblas_bfloat16PKPKS0_EviT5_lT_lS5_lS6_liPT4_,"axG",@progbits,_ZL28rocblas_dot_batched_4_kernelIlLi32ELi4ELb1Ef16rocblas_bfloat16PKPKS0_EviT5_lT_lS5_lS6_liPT4_,comdat
.Lfunc_end560:
	.size	_ZL28rocblas_dot_batched_4_kernelIlLi32ELi4ELb1Ef16rocblas_bfloat16PKPKS0_EviT5_lT_lS5_lS6_liPT4_, .Lfunc_end560-_ZL28rocblas_dot_batched_4_kernelIlLi32ELi4ELb1Ef16rocblas_bfloat16PKPKS0_EviT5_lT_lS5_lS6_liPT4_
                                        ; -- End function
	.section	.AMDGPU.csdata,"",@progbits
; Kernel info:
; codeLenInByte = 848
; NumSgprs: 18
; NumVgprs: 14
; ScratchSize: 0
; MemoryBound: 0
; FloatMode: 240
; IeeeMode: 1
; LDSByteSize: 0 bytes/workgroup (compile time only)
; SGPRBlocks: 2
; VGPRBlocks: 1
; NumSGPRsForWavesPerEU: 18
; NumVGPRsForWavesPerEU: 14
; Occupancy: 16
; WaveLimiterHint : 0
; COMPUTE_PGM_RSRC2:SCRATCH_EN: 0
; COMPUTE_PGM_RSRC2:USER_SGPR: 15
; COMPUTE_PGM_RSRC2:TRAP_HANDLER: 0
; COMPUTE_PGM_RSRC2:TGID_X_EN: 1
; COMPUTE_PGM_RSRC2:TGID_Y_EN: 0
; COMPUTE_PGM_RSRC2:TGID_Z_EN: 0
; COMPUTE_PGM_RSRC2:TIDIG_COMP_CNT: 1
	.section	.text._ZL28rocblas_dot_batched_4_kernelIlLi64ELi4ELb1Ef16rocblas_bfloat16PKPKS0_EviT5_lT_lS5_lS6_liPT4_,"axG",@progbits,_ZL28rocblas_dot_batched_4_kernelIlLi64ELi4ELb1Ef16rocblas_bfloat16PKPKS0_EviT5_lT_lS5_lS6_liPT4_,comdat
	.globl	_ZL28rocblas_dot_batched_4_kernelIlLi64ELi4ELb1Ef16rocblas_bfloat16PKPKS0_EviT5_lT_lS5_lS6_liPT4_ ; -- Begin function _ZL28rocblas_dot_batched_4_kernelIlLi64ELi4ELb1Ef16rocblas_bfloat16PKPKS0_EviT5_lT_lS5_lS6_liPT4_
	.p2align	8
	.type	_ZL28rocblas_dot_batched_4_kernelIlLi64ELi4ELb1Ef16rocblas_bfloat16PKPKS0_EviT5_lT_lS5_lS6_liPT4_,@function
_ZL28rocblas_dot_batched_4_kernelIlLi64ELi4ELb1Ef16rocblas_bfloat16PKPKS0_EviT5_lT_lS5_lS6_liPT4_: ; @_ZL28rocblas_dot_batched_4_kernelIlLi64ELi4ELb1Ef16rocblas_bfloat16PKPKS0_EviT5_lT_lS5_lS6_liPT4_
; %bb.0:
	s_load_b32 s2, s[0:1], 0x48
	v_bfe_u32 v1, v0, 10, 10
	s_delay_alu instid0(VALU_DEP_1) | instskip(SKIP_1) | instid1(VALU_DEP_1)
	v_lshl_add_u32 v1, s15, 2, v1
	s_waitcnt lgkmcnt(0)
	v_cmp_gt_u32_e32 vcc_lo, s2, v1
	s_and_saveexec_b32 s2, vcc_lo
	s_cbranch_execz .LBB561_11
; %bb.1:
	s_clause 0x1
	s_load_b32 s10, s[0:1], 0x0
	s_load_b64 s[8:9], s[0:1], 0x50
	v_mov_b32_e32 v2, 0
	v_and_b32_e32 v0, 0x3ff, v0
	s_mov_b32 s11, exec_lo
	s_delay_alu instid0(VALU_DEP_2) | instskip(SKIP_1) | instid1(VALU_DEP_2)
	v_mov_b32_e32 v7, v2
	s_waitcnt lgkmcnt(0)
	v_cmpx_gt_i32_e64 s10, v0
	s_cbranch_execz .LBB561_5
; %bb.2:
	s_clause 0x1
	s_load_b64 s[12:13], s[0:1], 0x8
	s_load_b64 s[14:15], s[0:1], 0x28
	v_lshlrev_b64 v[3:4], 3, v[1:2]
	s_clause 0x1
	s_load_b128 s[4:7], s[0:1], 0x10
	s_load_b128 s[0:3], s[0:1], 0x30
	s_waitcnt lgkmcnt(0)
	s_delay_alu instid0(VALU_DEP_1)
	v_add_co_u32 v5, vcc_lo, s12, v3
	v_add_co_ci_u32_e32 v6, vcc_lo, s13, v4, vcc_lo
	v_add_co_u32 v3, vcc_lo, s14, v3
	v_add_co_ci_u32_e32 v4, vcc_lo, s15, v4, vcc_lo
	v_mad_u64_u32 v[10:11], null, s2, v0, 0
	global_load_b64 v[5:6], v[5:6], off
	global_load_b64 v[8:9], v[3:4], off
	v_mad_u64_u32 v[3:4], null, s6, v0, 0
	s_lshl_b64 s[4:5], s[4:5], 1
	s_lshl_b64 s[0:1], s[0:1], 1
	v_mov_b32_e32 v7, v11
	s_waitcnt vmcnt(1)
	s_delay_alu instid0(VALU_DEP_2) | instskip(SKIP_1) | instid1(VALU_DEP_2)
	v_mad_u64_u32 v[11:12], null, s7, v0, v[4:5]
	s_waitcnt vmcnt(0)
	v_mad_u64_u32 v[12:13], null, s3, v0, v[7:8]
	v_mov_b32_e32 v7, 0
	s_lshl_b64 s[2:3], s[2:3], 7
	s_delay_alu instid0(VALU_DEP_2) | instskip(NEXT) | instid1(VALU_DEP_1)
	v_dual_mov_b32 v4, v11 :: v_dual_mov_b32 v11, v12
	v_lshlrev_b64 v[3:4], 1, v[3:4]
	s_delay_alu instid0(VALU_DEP_2) | instskip(NEXT) | instid1(VALU_DEP_2)
	v_lshlrev_b64 v[10:11], 1, v[10:11]
	v_add_co_u32 v3, vcc_lo, v3, s4
	s_delay_alu instid0(VALU_DEP_3) | instskip(NEXT) | instid1(VALU_DEP_3)
	v_add_co_ci_u32_e32 v4, vcc_lo, s5, v4, vcc_lo
	v_add_co_u32 v10, vcc_lo, v10, s0
	s_delay_alu instid0(VALU_DEP_4) | instskip(NEXT) | instid1(VALU_DEP_4)
	v_add_co_ci_u32_e32 v11, vcc_lo, s1, v11, vcc_lo
	v_add_co_u32 v3, vcc_lo, v5, v3
	s_delay_alu instid0(VALU_DEP_4) | instskip(NEXT) | instid1(VALU_DEP_4)
	v_add_co_ci_u32_e32 v4, vcc_lo, v6, v4, vcc_lo
	v_add_co_u32 v5, vcc_lo, v8, v10
	s_delay_alu instid0(VALU_DEP_4)
	v_add_co_ci_u32_e32 v6, vcc_lo, v9, v11, vcc_lo
	v_mov_b32_e32 v8, v0
	s_lshl_b64 s[4:5], s[6:7], 7
	s_mov_b32 s1, 0
	.p2align	6
.LBB561_3:                              ; =>This Inner Loop Header: Depth=1
	global_load_u16 v9, v[5:6], off
	global_load_u16 v10, v[3:4], off
	v_add_co_u32 v3, vcc_lo, v3, s4
	v_add_co_ci_u32_e32 v4, vcc_lo, s5, v4, vcc_lo
	v_add_co_u32 v5, vcc_lo, v5, s2
	v_add_co_ci_u32_e32 v6, vcc_lo, s3, v6, vcc_lo
	s_waitcnt vmcnt(1)
	v_lshlrev_b32_e32 v9, 16, v9
	s_waitcnt vmcnt(0)
	v_lshlrev_b32_e32 v10, 16, v10
	s_delay_alu instid0(VALU_DEP_1) | instskip(NEXT) | instid1(VALU_DEP_1)
	v_dual_fmac_f32 v7, v10, v9 :: v_dual_add_nc_u32 v8, 64, v8
	v_cmp_le_i32_e64 s0, s10, v8
	s_delay_alu instid0(VALU_DEP_1) | instskip(NEXT) | instid1(SALU_CYCLE_1)
	s_or_b32 s1, s0, s1
	s_and_not1_b32 exec_lo, exec_lo, s1
	s_cbranch_execnz .LBB561_3
; %bb.4:
	s_or_b32 exec_lo, exec_lo, s1
.LBB561_5:
	s_delay_alu instid0(SALU_CYCLE_1)
	s_or_b32 exec_lo, exec_lo, s11
	v_mbcnt_lo_u32_b32 v3, -1, 0
	s_barrier
	buffer_gl0_inv
	v_lshlrev_b32_e32 v4, 2, v3
	v_cmp_gt_u32_e32 vcc_lo, 16, v3
	ds_bpermute_b32 v4, v4, v7
	v_cndmask_b32_e64 v5, 0, 1, vcc_lo
	v_cmp_gt_u32_e32 vcc_lo, 24, v3
	s_delay_alu instid0(VALU_DEP_2) | instskip(SKIP_2) | instid1(VALU_DEP_2)
	v_lshlrev_b32_e32 v5, 4, v5
	v_cndmask_b32_e64 v6, 0, 1, vcc_lo
	v_cmp_gt_u32_e32 vcc_lo, 28, v3
	v_lshlrev_b32_e32 v6, 3, v6
	s_delay_alu instid0(VALU_DEP_1)
	v_add_lshl_u32 v6, v6, v3, 2
	s_waitcnt lgkmcnt(0)
	v_add_f32_e32 v4, v7, v4
	v_add_lshl_u32 v5, v5, v3, 2
	ds_bpermute_b32 v5, v5, v4
	s_waitcnt lgkmcnt(0)
	v_add_f32_e32 v4, v4, v5
	ds_bpermute_b32 v5, v6, v4
	v_cndmask_b32_e64 v6, 0, 1, vcc_lo
	v_cmp_gt_u32_e32 vcc_lo, 30, v3
	s_delay_alu instid0(VALU_DEP_2) | instskip(NEXT) | instid1(VALU_DEP_1)
	v_lshlrev_b32_e32 v6, 2, v6
	v_add_lshl_u32 v6, v6, v3, 2
	s_waitcnt lgkmcnt(0)
	v_add_f32_e32 v4, v4, v5
	ds_bpermute_b32 v5, v6, v4
	v_cndmask_b32_e64 v6, 0, 1, vcc_lo
	v_cmp_ne_u32_e32 vcc_lo, 31, v3
	s_delay_alu instid0(VALU_DEP_2) | instskip(NEXT) | instid1(VALU_DEP_1)
	v_lshlrev_b32_e32 v6, 1, v6
	v_add_lshl_u32 v6, v6, v3, 2
	s_waitcnt lgkmcnt(0)
	v_add_f32_e32 v4, v4, v5
	ds_bpermute_b32 v5, v6, v4
	v_add_co_ci_u32_e32 v6, vcc_lo, 0, v3, vcc_lo
	v_cmp_eq_u32_e32 vcc_lo, 0, v0
	s_waitcnt lgkmcnt(0)
	s_delay_alu instid0(VALU_DEP_2)
	v_dual_add_f32 v3, v4, v5 :: v_dual_lshlrev_b32 v4, 2, v6
	ds_bpermute_b32 v4, v4, v3
	s_and_b32 exec_lo, exec_lo, vcc_lo
	s_cbranch_execz .LBB561_11
; %bb.6:
	s_waitcnt lgkmcnt(0)
	v_add_f32_e32 v3, v3, v4
	s_delay_alu instid0(VALU_DEP_1) | instskip(NEXT) | instid1(VALU_DEP_1)
	v_and_b32_e32 v0, 0x7f800000, v3
	v_cmp_ne_u32_e32 vcc_lo, 0x7f800000, v0
                                        ; implicit-def: $vgpr0
	s_and_saveexec_b32 s0, vcc_lo
	s_delay_alu instid0(SALU_CYCLE_1)
	s_xor_b32 s0, exec_lo, s0
; %bb.7:
	v_bfe_u32 v0, v3, 16, 1
	s_delay_alu instid0(VALU_DEP_1)
	v_add3_u32 v0, v3, v0, 0x7fff
                                        ; implicit-def: $vgpr3
; %bb.8:
	s_and_not1_saveexec_b32 s0, s0
; %bb.9:
	v_and_b32_e32 v0, 0xffff, v3
	v_or_b32_e32 v4, 0x10000, v3
	s_delay_alu instid0(VALU_DEP_2) | instskip(NEXT) | instid1(VALU_DEP_2)
	v_cmp_eq_u32_e32 vcc_lo, 0, v0
	v_cndmask_b32_e32 v0, v4, v3, vcc_lo
; %bb.10:
	s_or_b32 exec_lo, exec_lo, s0
	v_lshlrev_b64 v[1:2], 1, v[1:2]
	s_delay_alu instid0(VALU_DEP_1) | instskip(NEXT) | instid1(VALU_DEP_2)
	v_add_co_u32 v1, vcc_lo, s8, v1
	v_add_co_ci_u32_e32 v2, vcc_lo, s9, v2, vcc_lo
	global_store_d16_hi_b16 v[1:2], v0, off
.LBB561_11:
	s_nop 0
	s_sendmsg sendmsg(MSG_DEALLOC_VGPRS)
	s_endpgm
	.section	.rodata,"a",@progbits
	.p2align	6, 0x0
	.amdhsa_kernel _ZL28rocblas_dot_batched_4_kernelIlLi64ELi4ELb1Ef16rocblas_bfloat16PKPKS0_EviT5_lT_lS5_lS6_liPT4_
		.amdhsa_group_segment_fixed_size 0
		.amdhsa_private_segment_fixed_size 0
		.amdhsa_kernarg_size 88
		.amdhsa_user_sgpr_count 15
		.amdhsa_user_sgpr_dispatch_ptr 0
		.amdhsa_user_sgpr_queue_ptr 0
		.amdhsa_user_sgpr_kernarg_segment_ptr 1
		.amdhsa_user_sgpr_dispatch_id 0
		.amdhsa_user_sgpr_private_segment_size 0
		.amdhsa_wavefront_size32 1
		.amdhsa_uses_dynamic_stack 0
		.amdhsa_enable_private_segment 0
		.amdhsa_system_sgpr_workgroup_id_x 1
		.amdhsa_system_sgpr_workgroup_id_y 0
		.amdhsa_system_sgpr_workgroup_id_z 0
		.amdhsa_system_sgpr_workgroup_info 0
		.amdhsa_system_vgpr_workitem_id 1
		.amdhsa_next_free_vgpr 14
		.amdhsa_next_free_sgpr 16
		.amdhsa_reserve_vcc 1
		.amdhsa_float_round_mode_32 0
		.amdhsa_float_round_mode_16_64 0
		.amdhsa_float_denorm_mode_32 3
		.amdhsa_float_denorm_mode_16_64 3
		.amdhsa_dx10_clamp 1
		.amdhsa_ieee_mode 1
		.amdhsa_fp16_overflow 0
		.amdhsa_workgroup_processor_mode 1
		.amdhsa_memory_ordered 1
		.amdhsa_forward_progress 0
		.amdhsa_shared_vgpr_count 0
		.amdhsa_exception_fp_ieee_invalid_op 0
		.amdhsa_exception_fp_denorm_src 0
		.amdhsa_exception_fp_ieee_div_zero 0
		.amdhsa_exception_fp_ieee_overflow 0
		.amdhsa_exception_fp_ieee_underflow 0
		.amdhsa_exception_fp_ieee_inexact 0
		.amdhsa_exception_int_div_zero 0
	.end_amdhsa_kernel
	.section	.text._ZL28rocblas_dot_batched_4_kernelIlLi64ELi4ELb1Ef16rocblas_bfloat16PKPKS0_EviT5_lT_lS5_lS6_liPT4_,"axG",@progbits,_ZL28rocblas_dot_batched_4_kernelIlLi64ELi4ELb1Ef16rocblas_bfloat16PKPKS0_EviT5_lT_lS5_lS6_liPT4_,comdat
.Lfunc_end561:
	.size	_ZL28rocblas_dot_batched_4_kernelIlLi64ELi4ELb1Ef16rocblas_bfloat16PKPKS0_EviT5_lT_lS5_lS6_liPT4_, .Lfunc_end561-_ZL28rocblas_dot_batched_4_kernelIlLi64ELi4ELb1Ef16rocblas_bfloat16PKPKS0_EviT5_lT_lS5_lS6_liPT4_
                                        ; -- End function
	.section	.AMDGPU.csdata,"",@progbits
; Kernel info:
; codeLenInByte = 872
; NumSgprs: 18
; NumVgprs: 14
; ScratchSize: 0
; MemoryBound: 0
; FloatMode: 240
; IeeeMode: 1
; LDSByteSize: 0 bytes/workgroup (compile time only)
; SGPRBlocks: 2
; VGPRBlocks: 1
; NumSGPRsForWavesPerEU: 18
; NumVGPRsForWavesPerEU: 14
; Occupancy: 16
; WaveLimiterHint : 0
; COMPUTE_PGM_RSRC2:SCRATCH_EN: 0
; COMPUTE_PGM_RSRC2:USER_SGPR: 15
; COMPUTE_PGM_RSRC2:TRAP_HANDLER: 0
; COMPUTE_PGM_RSRC2:TGID_X_EN: 1
; COMPUTE_PGM_RSRC2:TGID_Y_EN: 0
; COMPUTE_PGM_RSRC2:TGID_Z_EN: 0
; COMPUTE_PGM_RSRC2:TIDIG_COMP_CNT: 1
	.section	.text._ZL18rocblas_dot_kernelIlLb1ELi1024ELi32ELb1E16rocblas_bfloat16PKPKS0_fEviT5_lT_lS5_lS6_liPT6_PT4_,"axG",@progbits,_ZL18rocblas_dot_kernelIlLb1ELi1024ELi32ELb1E16rocblas_bfloat16PKPKS0_fEviT5_lT_lS5_lS6_liPT6_PT4_,comdat
	.globl	_ZL18rocblas_dot_kernelIlLb1ELi1024ELi32ELb1E16rocblas_bfloat16PKPKS0_fEviT5_lT_lS5_lS6_liPT6_PT4_ ; -- Begin function _ZL18rocblas_dot_kernelIlLb1ELi1024ELi32ELb1E16rocblas_bfloat16PKPKS0_fEviT5_lT_lS5_lS6_liPT6_PT4_
	.p2align	8
	.type	_ZL18rocblas_dot_kernelIlLb1ELi1024ELi32ELb1E16rocblas_bfloat16PKPKS0_fEviT5_lT_lS5_lS6_liPT6_PT4_,@function
_ZL18rocblas_dot_kernelIlLb1ELi1024ELi32ELb1E16rocblas_bfloat16PKPKS0_fEviT5_lT_lS5_lS6_liPT6_PT4_: ; @_ZL18rocblas_dot_kernelIlLb1ELi1024ELi32ELb1E16rocblas_bfloat16PKPKS0_fEviT5_lT_lS5_lS6_liPT6_PT4_
; %bb.0:
	s_clause 0x1
	s_load_b32 s14, s[0:1], 0x0
	s_load_b64 s[2:3], s[0:1], 0x58
	v_mov_b32_e32 v5, 0
	s_mov_b32 s12, s15
	s_mov_b32 s13, 0
	s_mov_b32 s15, exec_lo
	s_waitcnt lgkmcnt(0)
	v_cmpx_gt_i32_e64 s14, v0
	s_cbranch_execz .LBB562_4
; %bb.1:
	s_clause 0x4
	s_load_b64 s[16:17], s[0:1], 0x8
	s_load_b128 s[8:11], s[0:1], 0x10
	s_load_b128 s[4:7], s[0:1], 0x30
	s_load_b64 s[18:19], s[0:1], 0x28
	s_load_b32 s20, s[0:1], 0x60
	s_lshl_b64 s[0:1], s[12:13], 3
	s_waitcnt lgkmcnt(0)
	s_add_u32 s16, s16, s0
	v_mad_u64_u32 v[1:2], null, s10, v0, 0
	v_mad_u64_u32 v[3:4], null, s6, v0, 0
	s_addc_u32 s17, s17, s1
	s_add_u32 s18, s18, s0
	s_load_b64 s[16:17], s[16:17], 0x0
	s_addc_u32 s19, s19, s1
	s_lshl_b64 s[8:9], s[8:9], 1
	s_load_b64 s[18:19], s[18:19], 0x0
	s_delay_alu instid0(VALU_DEP_1) | instskip(SKIP_2) | instid1(SALU_CYCLE_1)
	v_mad_u64_u32 v[7:8], null, s11, v0, v[2:3]
	v_mov_b32_e32 v5, 0
	s_lshl_b32 s1, s20, 10
	s_mul_hi_u32 s0, s10, s1
	s_mul_i32 s11, s11, s1
	s_mul_i32 s20, s10, s1
	s_delay_alu instid0(VALU_DEP_2) | instskip(SKIP_3) | instid1(VALU_DEP_2)
	v_mov_b32_e32 v2, v7
	v_mad_u64_u32 v[8:9], null, s7, v0, v[4:5]
	s_mul_hi_u32 s23, s6, s1
	s_mul_i32 s22, s6, s1
	v_lshlrev_b64 v[1:2], 1, v[1:2]
	s_mul_i32 s7, s7, s1
	v_or_b32_e32 v6, s1, v0
	s_waitcnt lgkmcnt(0)
	s_add_u32 s16, s16, s8
	v_mov_b32_e32 v4, v8
	s_addc_u32 s17, s17, s9
	s_ashr_i32 s24, s1, 31
	s_lshl_b64 s[8:9], s[4:5], 1
	s_mul_i32 s4, s10, s24
	v_lshlrev_b64 v[3:4], 1, v[3:4]
	s_add_i32 s0, s0, s4
	v_add_co_u32 v1, vcc_lo, s16, v1
	s_add_i32 s21, s0, s11
	s_mul_i32 s0, s6, s24
	s_lshl_b64 s[4:5], s[20:21], 1
	s_add_u32 s6, s18, s8
	v_add_co_ci_u32_e32 v2, vcc_lo, s17, v2, vcc_lo
	s_addc_u32 s8, s19, s9
	v_add_co_u32 v3, vcc_lo, s6, v3
	s_add_i32 s0, s23, s0
	v_add_co_ci_u32_e32 v4, vcc_lo, s8, v4, vcc_lo
	s_add_i32 s23, s0, s7
	s_mov_b32 s8, s13
	s_lshl_b64 s[6:7], s[22:23], 1
	s_mov_b32 s9, s13
	.p2align	6
.LBB562_2:                              ; =>This Inner Loop Header: Depth=1
	global_load_u16 v7, v[1:2], off
	global_load_u16 v8, v[3:4], off
	v_add_co_u32 v1, s0, v1, s4
	s_delay_alu instid0(VALU_DEP_1)
	v_add_co_ci_u32_e64 v2, s0, s5, v2, s0
	s_add_i32 s10, s9, 1
	v_cmp_le_i32_e32 vcc_lo, s14, v6
	v_add_co_u32 v3, s0, v3, s6
	s_cmp_gt_u32 s9, 30
	v_add_co_ci_u32_e64 v4, s0, s7, v4, s0
	s_cselect_b32 s0, -1, 0
	s_mov_b32 s9, s10
	s_or_b32 s0, s0, vcc_lo
	s_delay_alu instid0(SALU_CYCLE_1) | instskip(NEXT) | instid1(SALU_CYCLE_1)
	s_and_b32 s0, exec_lo, s0
	s_or_b32 s8, s0, s8
	s_waitcnt vmcnt(1)
	v_lshlrev_b32_e32 v7, 16, v7
	s_waitcnt vmcnt(0)
	v_lshlrev_b32_e32 v8, 16, v8
	s_delay_alu instid0(VALU_DEP_1)
	v_dual_fmac_f32 v5, v8, v7 :: v_dual_add_nc_u32 v6, s1, v6
	s_and_not1_b32 exec_lo, exec_lo, s8
	s_cbranch_execnz .LBB562_2
; %bb.3:
	s_or_b32 exec_lo, exec_lo, s8
.LBB562_4:
	s_delay_alu instid0(SALU_CYCLE_1) | instskip(SKIP_2) | instid1(VALU_DEP_2)
	s_or_b32 exec_lo, exec_lo, s15
	v_and_b32_e32 v8, 31, v0
	v_cmp_gt_u32_e32 vcc_lo, 32, v0
	v_lshlrev_b32_e32 v1, 2, v8
	s_and_saveexec_b32 s0, vcc_lo
	s_cbranch_execz .LBB562_6
; %bb.5:
	v_mov_b32_e32 v2, 0
	ds_store_b32 v1, v2
.LBB562_6:
	s_or_b32 exec_lo, exec_lo, s0
	v_mbcnt_lo_u32_b32 v7, -1, 0
	s_mov_b32 s1, exec_lo
	s_waitcnt lgkmcnt(0)
	s_barrier
	buffer_gl0_inv
	v_cmp_gt_u32_e64 s0, 16, v7
	s_delay_alu instid0(VALU_DEP_1) | instskip(SKIP_1) | instid1(VALU_DEP_2)
	v_cndmask_b32_e64 v2, 0, 1, s0
	v_cmp_gt_u32_e64 s0, 24, v7
	v_lshlrev_b32_e32 v2, 4, v2
	s_delay_alu instid0(VALU_DEP_2) | instskip(SKIP_1) | instid1(VALU_DEP_3)
	v_cndmask_b32_e64 v3, 0, 1, s0
	v_cmp_gt_u32_e64 s0, 28, v7
	v_add_lshl_u32 v2, v2, v7, 2
	s_delay_alu instid0(VALU_DEP_3)
	v_lshlrev_b32_e32 v3, 3, v3
	ds_bpermute_b32 v4, v2, v5
	v_add_lshl_u32 v3, v3, v7, 2
	s_waitcnt lgkmcnt(0)
	v_add_f32_e32 v5, v5, v4
	v_cndmask_b32_e64 v4, 0, 1, s0
	v_cmp_gt_u32_e64 s0, 30, v7
	ds_bpermute_b32 v6, v3, v5
	s_waitcnt lgkmcnt(0)
	v_dual_add_f32 v5, v5, v6 :: v_dual_lshlrev_b32 v4, 2, v4
	s_delay_alu instid0(VALU_DEP_1)
	v_add_lshl_u32 v4, v4, v7, 2
	v_cndmask_b32_e64 v6, 0, 1, s0
	v_cmp_ne_u32_e64 s0, 31, v7
	ds_bpermute_b32 v9, v4, v5
	s_waitcnt lgkmcnt(0)
	v_dual_add_f32 v5, v5, v9 :: v_dual_lshlrev_b32 v6, 1, v6
	s_delay_alu instid0(VALU_DEP_1)
	v_add_lshl_u32 v6, v6, v7, 2
	v_add_co_ci_u32_e64 v7, s0, 0, v7, s0
	ds_bpermute_b32 v9, v6, v5
	v_lshlrev_b32_e32 v7, 2, v7
	s_waitcnt lgkmcnt(0)
	v_add_f32_e32 v5, v5, v9
	ds_bpermute_b32 v9, v7, v5
	v_cmpx_eq_u32_e32 0, v8
	s_cbranch_execz .LBB562_8
; %bb.7:
	v_lshrrev_b32_e32 v8, 3, v0
	s_waitcnt lgkmcnt(0)
	s_delay_alu instid0(VALU_DEP_1)
	v_dual_add_f32 v5, v5, v9 :: v_dual_and_b32 v8, 0x7c, v8
	ds_store_b32 v8, v5
.LBB562_8:
	s_or_b32 exec_lo, exec_lo, s1
	v_mov_b32_e32 v5, 0
	s_waitcnt lgkmcnt(0)
	s_barrier
	buffer_gl0_inv
	s_and_saveexec_b32 s0, vcc_lo
	s_cbranch_execz .LBB562_10
; %bb.9:
	ds_load_b32 v5, v1
.LBB562_10:
	s_or_b32 exec_lo, exec_lo, s0
	s_and_saveexec_b32 s0, vcc_lo
	s_cbranch_execz .LBB562_12
; %bb.11:
	s_waitcnt lgkmcnt(0)
	ds_bpermute_b32 v1, v2, v5
	s_waitcnt lgkmcnt(0)
	v_add_f32_e32 v1, v5, v1
	ds_bpermute_b32 v2, v3, v1
	s_waitcnt lgkmcnt(0)
	v_add_f32_e32 v1, v1, v2
	;; [unrolled: 3-line block ×5, first 2 shown]
.LBB562_12:
	s_or_b32 exec_lo, exec_lo, s0
	s_delay_alu instid0(SALU_CYCLE_1)
	s_mov_b32 s0, exec_lo
	v_cmpx_eq_u32_e32 0, v0
	s_cbranch_execz .LBB562_18
; %bb.13:
	s_waitcnt lgkmcnt(0)
	v_and_b32_e32 v0, 0x7f800000, v5
	s_delay_alu instid0(VALU_DEP_1) | instskip(SKIP_1) | instid1(SALU_CYCLE_1)
	v_cmp_ne_u32_e32 vcc_lo, 0x7f800000, v0
                                        ; implicit-def: $vgpr0
	s_and_saveexec_b32 s0, vcc_lo
	s_xor_b32 s0, exec_lo, s0
; %bb.14:
	v_bfe_u32 v0, v5, 16, 1
	s_delay_alu instid0(VALU_DEP_1)
	v_add3_u32 v0, v5, v0, 0x7fff
                                        ; implicit-def: $vgpr5
; %bb.15:
	s_and_not1_saveexec_b32 s0, s0
; %bb.16:
	v_and_b32_e32 v0, 0xffff, v5
	v_or_b32_e32 v1, 0x10000, v5
	s_delay_alu instid0(VALU_DEP_2) | instskip(NEXT) | instid1(VALU_DEP_2)
	v_cmp_eq_u32_e32 vcc_lo, 0, v0
	v_cndmask_b32_e32 v0, v1, v5, vcc_lo
; %bb.17:
	s_or_b32 exec_lo, exec_lo, s0
	s_lshl_b64 s[0:1], s[12:13], 1
	v_mov_b32_e32 v1, 0
	s_add_u32 s0, s2, s0
	s_addc_u32 s1, s3, s1
	global_store_d16_hi_b16 v1, v0, s[0:1]
.LBB562_18:
	s_nop 0
	s_sendmsg sendmsg(MSG_DEALLOC_VGPRS)
	s_endpgm
	.section	.rodata,"a",@progbits
	.p2align	6, 0x0
	.amdhsa_kernel _ZL18rocblas_dot_kernelIlLb1ELi1024ELi32ELb1E16rocblas_bfloat16PKPKS0_fEviT5_lT_lS5_lS6_liPT6_PT4_
		.amdhsa_group_segment_fixed_size 128
		.amdhsa_private_segment_fixed_size 0
		.amdhsa_kernarg_size 352
		.amdhsa_user_sgpr_count 14
		.amdhsa_user_sgpr_dispatch_ptr 0
		.amdhsa_user_sgpr_queue_ptr 0
		.amdhsa_user_sgpr_kernarg_segment_ptr 1
		.amdhsa_user_sgpr_dispatch_id 0
		.amdhsa_user_sgpr_private_segment_size 0
		.amdhsa_wavefront_size32 1
		.amdhsa_uses_dynamic_stack 0
		.amdhsa_enable_private_segment 0
		.amdhsa_system_sgpr_workgroup_id_x 1
		.amdhsa_system_sgpr_workgroup_id_y 0
		.amdhsa_system_sgpr_workgroup_id_z 1
		.amdhsa_system_sgpr_workgroup_info 0
		.amdhsa_system_vgpr_workitem_id 0
		.amdhsa_next_free_vgpr 10
		.amdhsa_next_free_sgpr 25
		.amdhsa_reserve_vcc 1
		.amdhsa_float_round_mode_32 0
		.amdhsa_float_round_mode_16_64 0
		.amdhsa_float_denorm_mode_32 3
		.amdhsa_float_denorm_mode_16_64 3
		.amdhsa_dx10_clamp 1
		.amdhsa_ieee_mode 1
		.amdhsa_fp16_overflow 0
		.amdhsa_workgroup_processor_mode 1
		.amdhsa_memory_ordered 1
		.amdhsa_forward_progress 0
		.amdhsa_shared_vgpr_count 0
		.amdhsa_exception_fp_ieee_invalid_op 0
		.amdhsa_exception_fp_denorm_src 0
		.amdhsa_exception_fp_ieee_div_zero 0
		.amdhsa_exception_fp_ieee_overflow 0
		.amdhsa_exception_fp_ieee_underflow 0
		.amdhsa_exception_fp_ieee_inexact 0
		.amdhsa_exception_int_div_zero 0
	.end_amdhsa_kernel
	.section	.text._ZL18rocblas_dot_kernelIlLb1ELi1024ELi32ELb1E16rocblas_bfloat16PKPKS0_fEviT5_lT_lS5_lS6_liPT6_PT4_,"axG",@progbits,_ZL18rocblas_dot_kernelIlLb1ELi1024ELi32ELb1E16rocblas_bfloat16PKPKS0_fEviT5_lT_lS5_lS6_liPT6_PT4_,comdat
.Lfunc_end562:
	.size	_ZL18rocblas_dot_kernelIlLb1ELi1024ELi32ELb1E16rocblas_bfloat16PKPKS0_fEviT5_lT_lS5_lS6_liPT6_PT4_, .Lfunc_end562-_ZL18rocblas_dot_kernelIlLb1ELi1024ELi32ELb1E16rocblas_bfloat16PKPKS0_fEviT5_lT_lS5_lS6_liPT6_PT4_
                                        ; -- End function
	.section	.AMDGPU.csdata,"",@progbits
; Kernel info:
; codeLenInByte = 1080
; NumSgprs: 27
; NumVgprs: 10
; ScratchSize: 0
; MemoryBound: 0
; FloatMode: 240
; IeeeMode: 1
; LDSByteSize: 128 bytes/workgroup (compile time only)
; SGPRBlocks: 3
; VGPRBlocks: 1
; NumSGPRsForWavesPerEU: 27
; NumVGPRsForWavesPerEU: 10
; Occupancy: 16
; WaveLimiterHint : 0
; COMPUTE_PGM_RSRC2:SCRATCH_EN: 0
; COMPUTE_PGM_RSRC2:USER_SGPR: 14
; COMPUTE_PGM_RSRC2:TRAP_HANDLER: 0
; COMPUTE_PGM_RSRC2:TGID_X_EN: 1
; COMPUTE_PGM_RSRC2:TGID_Y_EN: 0
; COMPUTE_PGM_RSRC2:TGID_Z_EN: 1
; COMPUTE_PGM_RSRC2:TIDIG_COMP_CNT: 0
	.section	.text._ZL24rocblas_dot_kernel_magsqIlLb1ELi1024ELi32ELb1E16rocblas_bfloat16PKPKS0_fEviT5_lT_liPT6_PT4_,"axG",@progbits,_ZL24rocblas_dot_kernel_magsqIlLb1ELi1024ELi32ELb1E16rocblas_bfloat16PKPKS0_fEviT5_lT_liPT6_PT4_,comdat
	.globl	_ZL24rocblas_dot_kernel_magsqIlLb1ELi1024ELi32ELb1E16rocblas_bfloat16PKPKS0_fEviT5_lT_liPT6_PT4_ ; -- Begin function _ZL24rocblas_dot_kernel_magsqIlLb1ELi1024ELi32ELb1E16rocblas_bfloat16PKPKS0_fEviT5_lT_liPT6_PT4_
	.p2align	8
	.type	_ZL24rocblas_dot_kernel_magsqIlLb1ELi1024ELi32ELb1E16rocblas_bfloat16PKPKS0_fEviT5_lT_liPT6_PT4_,@function
_ZL24rocblas_dot_kernel_magsqIlLb1ELi1024ELi32ELb1E16rocblas_bfloat16PKPKS0_fEviT5_lT_liPT6_PT4_: ; @_ZL24rocblas_dot_kernel_magsqIlLb1ELi1024ELi32ELb1E16rocblas_bfloat16PKPKS0_fEviT5_lT_liPT6_PT4_
; %bb.0:
	s_clause 0x1
	s_load_b32 s8, s[0:1], 0x0
	s_load_b64 s[2:3], s[0:1], 0x38
	v_mov_b32_e32 v3, 0
	s_mov_b32 s4, s15
	s_mov_b32 s5, 0
	s_mov_b32 s9, exec_lo
	s_waitcnt lgkmcnt(0)
	v_cmpx_gt_i32_e64 s8, v0
	s_cbranch_execz .LBB563_4
; %bb.1:
	s_clause 0x1
	s_load_b64 s[6:7], s[0:1], 0x8
	s_load_b128 s[12:15], s[0:1], 0x10
	s_lshl_b64 s[10:11], s[4:5], 3
	s_load_b32 s16, s[0:1], 0x40
	s_waitcnt lgkmcnt(0)
	s_add_u32 s0, s6, s10
	v_mad_u64_u32 v[1:2], null, s14, v0, 0
	s_addc_u32 s1, s7, s11
	s_lshl_b64 s[10:11], s[12:13], 1
	s_load_b64 s[6:7], s[0:1], 0x0
	s_lshl_b32 s1, s16, 10
	s_delay_alu instid0(SALU_CYCLE_1) | instskip(NEXT) | instid1(VALU_DEP_1)
	s_mul_hi_u32 s0, s14, s1
	v_mad_u64_u32 v[3:4], null, s15, v0, v[2:3]
	v_or_b32_e32 v4, s1, v0
	s_delay_alu instid0(VALU_DEP_2) | instskip(NEXT) | instid1(VALU_DEP_1)
	v_dual_mov_b32 v2, v3 :: v_dual_mov_b32 v3, 0
	v_lshlrev_b64 v[1:2], 1, v[1:2]
	s_waitcnt lgkmcnt(0)
	s_add_u32 s10, s6, s10
	s_addc_u32 s11, s7, s11
	s_ashr_i32 s6, s1, 31
	s_delay_alu instid0(VALU_DEP_1)
	v_add_co_u32 v1, vcc_lo, s10, v1
	s_mul_i32 s6, s14, s6
	s_mul_i32 s7, s15, s1
	s_add_i32 s0, s0, s6
	v_add_co_ci_u32_e32 v2, vcc_lo, s11, v2, vcc_lo
	s_mul_i32 s6, s14, s1
	s_add_i32 s7, s0, s7
	s_mov_b32 s10, s5
	s_lshl_b64 s[6:7], s[6:7], 1
	s_mov_b32 s11, s5
	.p2align	6
.LBB563_2:                              ; =>This Inner Loop Header: Depth=1
	global_load_u16 v5, v[1:2], off
	s_add_i32 s12, s11, 1
	v_cmp_le_i32_e32 vcc_lo, s8, v4
	v_add_co_u32 v1, s0, v1, s6
	s_cmp_gt_u32 s11, 30
	v_add_co_ci_u32_e64 v2, s0, s7, v2, s0
	s_cselect_b32 s0, -1, 0
	s_mov_b32 s11, s12
	s_or_b32 s0, s0, vcc_lo
	s_delay_alu instid0(SALU_CYCLE_1) | instskip(NEXT) | instid1(SALU_CYCLE_1)
	s_and_b32 s0, exec_lo, s0
	s_or_b32 s10, s0, s10
	s_waitcnt vmcnt(0)
	v_lshlrev_b32_e32 v5, 16, v5
	s_delay_alu instid0(VALU_DEP_1)
	v_dual_fmac_f32 v3, v5, v5 :: v_dual_add_nc_u32 v4, s1, v4
	s_and_not1_b32 exec_lo, exec_lo, s10
	s_cbranch_execnz .LBB563_2
; %bb.3:
	s_or_b32 exec_lo, exec_lo, s10
.LBB563_4:
	s_delay_alu instid0(SALU_CYCLE_1) | instskip(SKIP_2) | instid1(VALU_DEP_2)
	s_or_b32 exec_lo, exec_lo, s9
	v_and_b32_e32 v5, 31, v0
	v_cmp_gt_u32_e32 vcc_lo, 32, v0
	v_lshlrev_b32_e32 v1, 2, v5
	s_and_saveexec_b32 s0, vcc_lo
	s_cbranch_execz .LBB563_6
; %bb.5:
	v_mov_b32_e32 v2, 0
	ds_store_b32 v1, v2
.LBB563_6:
	s_or_b32 exec_lo, exec_lo, s0
	v_mbcnt_lo_u32_b32 v7, -1, 0
	s_mov_b32 s1, exec_lo
	s_waitcnt lgkmcnt(0)
	s_barrier
	buffer_gl0_inv
	v_cmp_gt_u32_e64 s0, 16, v7
	s_delay_alu instid0(VALU_DEP_1) | instskip(SKIP_1) | instid1(VALU_DEP_2)
	v_cndmask_b32_e64 v2, 0, 1, s0
	v_cmp_gt_u32_e64 s0, 24, v7
	v_lshlrev_b32_e32 v2, 4, v2
	s_delay_alu instid0(VALU_DEP_2) | instskip(SKIP_1) | instid1(VALU_DEP_3)
	v_cndmask_b32_e64 v4, 0, 1, s0
	v_cmp_gt_u32_e64 s0, 28, v7
	v_add_lshl_u32 v2, v2, v7, 2
	s_delay_alu instid0(VALU_DEP_3)
	v_lshlrev_b32_e32 v4, 3, v4
	ds_bpermute_b32 v6, v2, v3
	v_add_lshl_u32 v4, v4, v7, 2
	s_waitcnt lgkmcnt(0)
	v_add_f32_e32 v6, v3, v6
	v_cndmask_b32_e64 v3, 0, 1, s0
	v_cmp_gt_u32_e64 s0, 30, v7
	s_delay_alu instid0(VALU_DEP_2)
	v_lshlrev_b32_e32 v3, 2, v3
	ds_bpermute_b32 v8, v4, v6
	v_add_lshl_u32 v3, v3, v7, 2
	s_waitcnt lgkmcnt(0)
	v_add_f32_e32 v8, v6, v8
	v_cndmask_b32_e64 v6, 0, 1, s0
	v_cmp_ne_u32_e64 s0, 31, v7
	s_delay_alu instid0(VALU_DEP_2) | instskip(NEXT) | instid1(VALU_DEP_1)
	v_lshlrev_b32_e32 v6, 1, v6
	v_add_lshl_u32 v6, v6, v7, 2
	s_delay_alu instid0(VALU_DEP_3) | instskip(NEXT) | instid1(VALU_DEP_1)
	v_add_co_ci_u32_e64 v7, s0, 0, v7, s0
	v_lshlrev_b32_e32 v7, 2, v7
	ds_bpermute_b32 v9, v3, v8
	s_waitcnt lgkmcnt(0)
	v_add_f32_e32 v8, v8, v9
	ds_bpermute_b32 v9, v6, v8
	s_waitcnt lgkmcnt(0)
	v_add_f32_e32 v8, v8, v9
	ds_bpermute_b32 v9, v7, v8
	v_cmpx_eq_u32_e32 0, v5
	s_cbranch_execz .LBB563_8
; %bb.7:
	v_lshrrev_b32_e32 v5, 3, v0
	s_waitcnt lgkmcnt(0)
	v_add_f32_e32 v8, v8, v9
	s_delay_alu instid0(VALU_DEP_2)
	v_and_b32_e32 v5, 0x7c, v5
	ds_store_b32 v5, v8
.LBB563_8:
	s_or_b32 exec_lo, exec_lo, s1
	v_mov_b32_e32 v5, 0
	s_waitcnt lgkmcnt(0)
	s_barrier
	buffer_gl0_inv
	s_and_saveexec_b32 s0, vcc_lo
	s_cbranch_execz .LBB563_10
; %bb.9:
	ds_load_b32 v5, v1
.LBB563_10:
	s_or_b32 exec_lo, exec_lo, s0
	s_and_saveexec_b32 s0, vcc_lo
	s_cbranch_execz .LBB563_12
; %bb.11:
	s_waitcnt lgkmcnt(0)
	ds_bpermute_b32 v1, v2, v5
	s_waitcnt lgkmcnt(0)
	v_add_f32_e32 v1, v5, v1
	ds_bpermute_b32 v2, v4, v1
	s_waitcnt lgkmcnt(0)
	v_add_f32_e32 v1, v1, v2
	;; [unrolled: 3-line block ×5, first 2 shown]
.LBB563_12:
	s_or_b32 exec_lo, exec_lo, s0
	s_delay_alu instid0(SALU_CYCLE_1)
	s_mov_b32 s0, exec_lo
	v_cmpx_eq_u32_e32 0, v0
	s_cbranch_execz .LBB563_18
; %bb.13:
	s_waitcnt lgkmcnt(0)
	v_and_b32_e32 v0, 0x7f800000, v5
	s_delay_alu instid0(VALU_DEP_1) | instskip(SKIP_1) | instid1(SALU_CYCLE_1)
	v_cmp_ne_u32_e32 vcc_lo, 0x7f800000, v0
                                        ; implicit-def: $vgpr0
	s_and_saveexec_b32 s0, vcc_lo
	s_xor_b32 s0, exec_lo, s0
; %bb.14:
	v_bfe_u32 v0, v5, 16, 1
	s_delay_alu instid0(VALU_DEP_1)
	v_add3_u32 v0, v5, v0, 0x7fff
                                        ; implicit-def: $vgpr5
; %bb.15:
	s_and_not1_saveexec_b32 s0, s0
; %bb.16:
	v_and_b32_e32 v0, 0xffff, v5
	v_or_b32_e32 v1, 0x10000, v5
	s_delay_alu instid0(VALU_DEP_2) | instskip(NEXT) | instid1(VALU_DEP_2)
	v_cmp_eq_u32_e32 vcc_lo, 0, v0
	v_cndmask_b32_e32 v0, v1, v5, vcc_lo
; %bb.17:
	s_or_b32 exec_lo, exec_lo, s0
	s_lshl_b64 s[0:1], s[4:5], 1
	v_mov_b32_e32 v1, 0
	s_add_u32 s0, s2, s0
	s_addc_u32 s1, s3, s1
	global_store_d16_hi_b16 v1, v0, s[0:1]
.LBB563_18:
	s_nop 0
	s_sendmsg sendmsg(MSG_DEALLOC_VGPRS)
	s_endpgm
	.section	.rodata,"a",@progbits
	.p2align	6, 0x0
	.amdhsa_kernel _ZL24rocblas_dot_kernel_magsqIlLb1ELi1024ELi32ELb1E16rocblas_bfloat16PKPKS0_fEviT5_lT_liPT6_PT4_
		.amdhsa_group_segment_fixed_size 128
		.amdhsa_private_segment_fixed_size 0
		.amdhsa_kernarg_size 320
		.amdhsa_user_sgpr_count 14
		.amdhsa_user_sgpr_dispatch_ptr 0
		.amdhsa_user_sgpr_queue_ptr 0
		.amdhsa_user_sgpr_kernarg_segment_ptr 1
		.amdhsa_user_sgpr_dispatch_id 0
		.amdhsa_user_sgpr_private_segment_size 0
		.amdhsa_wavefront_size32 1
		.amdhsa_uses_dynamic_stack 0
		.amdhsa_enable_private_segment 0
		.amdhsa_system_sgpr_workgroup_id_x 1
		.amdhsa_system_sgpr_workgroup_id_y 0
		.amdhsa_system_sgpr_workgroup_id_z 1
		.amdhsa_system_sgpr_workgroup_info 0
		.amdhsa_system_vgpr_workitem_id 0
		.amdhsa_next_free_vgpr 10
		.amdhsa_next_free_sgpr 17
		.amdhsa_reserve_vcc 1
		.amdhsa_float_round_mode_32 0
		.amdhsa_float_round_mode_16_64 0
		.amdhsa_float_denorm_mode_32 3
		.amdhsa_float_denorm_mode_16_64 3
		.amdhsa_dx10_clamp 1
		.amdhsa_ieee_mode 1
		.amdhsa_fp16_overflow 0
		.amdhsa_workgroup_processor_mode 1
		.amdhsa_memory_ordered 1
		.amdhsa_forward_progress 0
		.amdhsa_shared_vgpr_count 0
		.amdhsa_exception_fp_ieee_invalid_op 0
		.amdhsa_exception_fp_denorm_src 0
		.amdhsa_exception_fp_ieee_div_zero 0
		.amdhsa_exception_fp_ieee_overflow 0
		.amdhsa_exception_fp_ieee_underflow 0
		.amdhsa_exception_fp_ieee_inexact 0
		.amdhsa_exception_int_div_zero 0
	.end_amdhsa_kernel
	.section	.text._ZL24rocblas_dot_kernel_magsqIlLb1ELi1024ELi32ELb1E16rocblas_bfloat16PKPKS0_fEviT5_lT_liPT6_PT4_,"axG",@progbits,_ZL24rocblas_dot_kernel_magsqIlLb1ELi1024ELi32ELb1E16rocblas_bfloat16PKPKS0_fEviT5_lT_liPT6_PT4_,comdat
.Lfunc_end563:
	.size	_ZL24rocblas_dot_kernel_magsqIlLb1ELi1024ELi32ELb1E16rocblas_bfloat16PKPKS0_fEviT5_lT_liPT6_PT4_, .Lfunc_end563-_ZL24rocblas_dot_kernel_magsqIlLb1ELi1024ELi32ELb1E16rocblas_bfloat16PKPKS0_fEviT5_lT_liPT6_PT4_
                                        ; -- End function
	.section	.AMDGPU.csdata,"",@progbits
; Kernel info:
; codeLenInByte = 940
; NumSgprs: 19
; NumVgprs: 10
; ScratchSize: 0
; MemoryBound: 0
; FloatMode: 240
; IeeeMode: 1
; LDSByteSize: 128 bytes/workgroup (compile time only)
; SGPRBlocks: 2
; VGPRBlocks: 1
; NumSGPRsForWavesPerEU: 19
; NumVGPRsForWavesPerEU: 10
; Occupancy: 16
; WaveLimiterHint : 0
; COMPUTE_PGM_RSRC2:SCRATCH_EN: 0
; COMPUTE_PGM_RSRC2:USER_SGPR: 14
; COMPUTE_PGM_RSRC2:TRAP_HANDLER: 0
; COMPUTE_PGM_RSRC2:TGID_X_EN: 1
; COMPUTE_PGM_RSRC2:TGID_Y_EN: 0
; COMPUTE_PGM_RSRC2:TGID_Z_EN: 1
; COMPUTE_PGM_RSRC2:TIDIG_COMP_CNT: 0
	.section	.text._ZL18rocblas_dot_kernelIlLb0ELi512ELi8ELb1E16rocblas_bfloat16PKPKS0_fEviT5_lT_lS5_lS6_liPT6_PT4_,"axG",@progbits,_ZL18rocblas_dot_kernelIlLb0ELi512ELi8ELb1E16rocblas_bfloat16PKPKS0_fEviT5_lT_lS5_lS6_liPT6_PT4_,comdat
	.globl	_ZL18rocblas_dot_kernelIlLb0ELi512ELi8ELb1E16rocblas_bfloat16PKPKS0_fEviT5_lT_lS5_lS6_liPT6_PT4_ ; -- Begin function _ZL18rocblas_dot_kernelIlLb0ELi512ELi8ELb1E16rocblas_bfloat16PKPKS0_fEviT5_lT_lS5_lS6_liPT6_PT4_
	.p2align	8
	.type	_ZL18rocblas_dot_kernelIlLb0ELi512ELi8ELb1E16rocblas_bfloat16PKPKS0_fEviT5_lT_lS5_lS6_liPT6_PT4_,@function
_ZL18rocblas_dot_kernelIlLb0ELi512ELi8ELb1E16rocblas_bfloat16PKPKS0_fEviT5_lT_lS5_lS6_liPT6_PT4_: ; @_ZL18rocblas_dot_kernelIlLb0ELi512ELi8ELb1E16rocblas_bfloat16PKPKS0_fEviT5_lT_lS5_lS6_liPT6_PT4_
; %bb.0:
	s_clause 0x2
	s_load_b32 s12, s[0:1], 0x60
	s_load_b32 s13, s[0:1], 0x0
	s_load_b128 s[4:7], s[0:1], 0x50
	v_lshl_or_b32 v1, s14, 9, v0
	v_mov_b32_e32 v5, 0
	s_mov_b32 s2, s15
	s_mov_b32 s3, 0
	s_mov_b32 s15, exec_lo
	s_waitcnt lgkmcnt(0)
	v_cmpx_gt_i32_e64 s13, v1
	s_cbranch_execz .LBB564_4
; %bb.1:
	s_clause 0x3
	s_load_b64 s[20:21], s[0:1], 0x8
	s_load_b128 s[16:19], s[0:1], 0x10
	s_load_b128 s[8:11], s[0:1], 0x30
	s_load_b64 s[0:1], s[0:1], 0x28
	s_lshl_b64 s[22:23], s[2:3], 3
	v_ashrrev_i32_e32 v4, 31, v1
	s_waitcnt lgkmcnt(0)
	s_add_u32 s20, s20, s22
	s_addc_u32 s21, s21, s23
	v_mul_lo_u32 v9, s19, v1
	s_load_b64 s[20:21], s[20:21], 0x0
	s_add_u32 s22, s0, s22
	s_addc_u32 s23, s1, s23
	v_mul_lo_u32 v10, s18, v4
	v_mad_u64_u32 v[2:3], null, s18, v1, 0
	s_load_b64 s[22:23], s[22:23], 0x0
	v_mul_lo_u32 v11, s11, v1
	v_mul_lo_u32 v4, s10, v4
	v_mad_u64_u32 v[7:8], null, s10, v1, 0
	s_lshl_b64 s[16:17], s[16:17], 1
	s_delay_alu instid0(VALU_DEP_4) | instskip(SKIP_1) | instid1(SALU_CYCLE_1)
	v_add3_u32 v3, v3, v10, v9
	s_lshl_b32 s1, s12, 9
	v_dual_mov_b32 v5, 0 :: v_dual_add_nc_u32 v6, s1, v1
	s_mul_hi_u32 s0, s18, s1
	s_delay_alu instid0(VALU_DEP_3)
	v_add3_u32 v8, v8, v4, v11
	v_lshlrev_b64 v[1:2], 1, v[2:3]
	s_mul_i32 s19, s19, s1
	s_waitcnt lgkmcnt(0)
	s_add_u32 s20, s20, s16
	s_addc_u32 s21, s21, s17
	s_ashr_i32 s28, s1, 31
	v_lshlrev_b64 v[3:4], 1, v[7:8]
	s_mul_i32 s16, s18, s28
	s_mul_i32 s24, s18, s1
	s_add_i32 s0, s0, s16
	s_lshl_b64 s[16:17], s[8:9], 1
	s_add_i32 s25, s0, s19
	v_add_co_u32 v1, vcc_lo, s20, v1
	s_lshl_b64 s[8:9], s[24:25], 1
	s_mul_hi_u32 s27, s10, s1
	s_mul_i32 s26, s10, s1
	s_mul_i32 s0, s10, s28
	s_add_u32 s10, s22, s16
	v_add_co_ci_u32_e32 v2, vcc_lo, s21, v2, vcc_lo
	s_addc_u32 s16, s23, s17
	v_add_co_u32 v3, vcc_lo, s10, v3
	s_mul_i32 s11, s11, s1
	s_add_i32 s0, s27, s0
	v_add_co_ci_u32_e32 v4, vcc_lo, s16, v4, vcc_lo
	s_add_i32 s27, s0, s11
	s_mov_b32 s16, s3
	s_lshl_b64 s[10:11], s[26:27], 1
	s_mov_b32 s17, s3
	.p2align	6
.LBB564_2:                              ; =>This Inner Loop Header: Depth=1
	global_load_u16 v7, v[1:2], off
	global_load_u16 v8, v[3:4], off
	v_add_co_u32 v1, s0, v1, s8
	s_delay_alu instid0(VALU_DEP_1)
	v_add_co_ci_u32_e64 v2, s0, s9, v2, s0
	s_add_i32 s18, s17, 1
	v_cmp_le_i32_e32 vcc_lo, s13, v6
	v_add_co_u32 v3, s0, v3, s10
	s_cmp_gt_u32 s17, 6
	v_add_co_ci_u32_e64 v4, s0, s11, v4, s0
	s_cselect_b32 s0, -1, 0
	s_mov_b32 s17, s18
	s_or_b32 s0, s0, vcc_lo
	s_delay_alu instid0(SALU_CYCLE_1) | instskip(NEXT) | instid1(SALU_CYCLE_1)
	s_and_b32 s0, exec_lo, s0
	s_or_b32 s16, s0, s16
	s_waitcnt vmcnt(1)
	v_lshlrev_b32_e32 v7, 16, v7
	s_waitcnt vmcnt(0)
	v_lshlrev_b32_e32 v8, 16, v8
	s_delay_alu instid0(VALU_DEP_1)
	v_dual_fmac_f32 v5, v8, v7 :: v_dual_add_nc_u32 v6, s1, v6
	s_and_not1_b32 exec_lo, exec_lo, s16
	s_cbranch_execnz .LBB564_2
; %bb.3:
	s_or_b32 exec_lo, exec_lo, s16
.LBB564_4:
	s_delay_alu instid0(SALU_CYCLE_1) | instskip(SKIP_2) | instid1(VALU_DEP_2)
	s_or_b32 exec_lo, exec_lo, s15
	v_and_b32_e32 v1, 31, v0
	v_cmp_gt_u32_e32 vcc_lo, 32, v0
	v_lshlrev_b32_e32 v2, 2, v1
	s_and_saveexec_b32 s0, vcc_lo
	s_cbranch_execz .LBB564_6
; %bb.5:
	v_mov_b32_e32 v3, 0
	ds_store_b32 v2, v3
.LBB564_6:
	s_or_b32 exec_lo, exec_lo, s0
	v_mbcnt_lo_u32_b32 v6, -1, 0
	s_mov_b32 s1, exec_lo
	s_waitcnt lgkmcnt(0)
	s_barrier
	buffer_gl0_inv
	v_cmp_gt_u32_e64 s0, 16, v6
	s_delay_alu instid0(VALU_DEP_1) | instskip(SKIP_1) | instid1(VALU_DEP_2)
	v_cndmask_b32_e64 v3, 0, 1, s0
	v_cmp_gt_u32_e64 s0, 24, v6
	v_lshlrev_b32_e32 v3, 4, v3
	s_delay_alu instid0(VALU_DEP_1) | instskip(SKIP_3) | instid1(VALU_DEP_2)
	v_add_lshl_u32 v3, v3, v6, 2
	ds_bpermute_b32 v4, v3, v5
	v_cndmask_b32_e64 v3, 0, 1, s0
	v_cmp_gt_u32_e64 s0, 28, v6
	v_lshlrev_b32_e32 v3, 3, v3
	s_delay_alu instid0(VALU_DEP_1)
	v_add_lshl_u32 v3, v3, v6, 2
	s_waitcnt lgkmcnt(0)
	v_add_f32_e32 v5, v5, v4
	v_cndmask_b32_e64 v4, 0, 1, s0
	v_cmp_gt_u32_e64 s0, 30, v6
	ds_bpermute_b32 v7, v3, v5
	s_waitcnt lgkmcnt(0)
	v_dual_add_f32 v7, v5, v7 :: v_dual_lshlrev_b32 v4, 2, v4
	s_delay_alu instid0(VALU_DEP_1) | instskip(SKIP_4) | instid1(VALU_DEP_1)
	v_add_lshl_u32 v4, v4, v6, 2
	v_cndmask_b32_e64 v5, 0, 1, s0
	v_cmp_ne_u32_e64 s0, 31, v6
	ds_bpermute_b32 v8, v4, v7
	v_lshlrev_b32_e32 v5, 1, v5
	v_add_lshl_u32 v5, v5, v6, 2
	v_add_co_ci_u32_e64 v6, s0, 0, v6, s0
	s_waitcnt lgkmcnt(0)
	s_delay_alu instid0(VALU_DEP_1)
	v_dual_add_f32 v7, v7, v8 :: v_dual_lshlrev_b32 v6, 2, v6
	ds_bpermute_b32 v8, v5, v7
	s_waitcnt lgkmcnt(0)
	v_add_f32_e32 v7, v7, v8
	ds_bpermute_b32 v8, v6, v7
	v_cmpx_eq_u32_e32 0, v1
	s_cbranch_execz .LBB564_8
; %bb.7:
	v_lshrrev_b32_e32 v1, 3, v0
	s_waitcnt lgkmcnt(0)
	v_add_f32_e32 v7, v7, v8
	s_delay_alu instid0(VALU_DEP_2)
	v_and_b32_e32 v1, 60, v1
	ds_store_b32 v1, v7
.LBB564_8:
	s_or_b32 exec_lo, exec_lo, s1
	v_mov_b32_e32 v1, 0
	s_mov_b32 s1, exec_lo
	s_waitcnt lgkmcnt(0)
	s_barrier
	buffer_gl0_inv
	v_cmpx_gt_u32_e32 16, v0
	s_cbranch_execz .LBB564_10
; %bb.9:
	ds_load_b32 v1, v2
.LBB564_10:
	s_or_b32 exec_lo, exec_lo, s1
	s_and_saveexec_b32 s0, vcc_lo
	s_cbranch_execz .LBB564_12
; %bb.11:
	s_waitcnt lgkmcnt(0)
	ds_bpermute_b32 v2, v3, v1
	s_waitcnt lgkmcnt(0)
	v_add_f32_e32 v1, v1, v2
	ds_bpermute_b32 v2, v4, v1
	s_waitcnt lgkmcnt(0)
	v_add_f32_e32 v1, v1, v2
	ds_bpermute_b32 v2, v5, v1
	s_waitcnt lgkmcnt(0)
	v_add_f32_e32 v1, v1, v2
	ds_bpermute_b32 v2, v6, v1
	s_waitcnt lgkmcnt(0)
	v_add_f32_e32 v1, v1, v2
.LBB564_12:
	s_or_b32 exec_lo, exec_lo, s0
	s_delay_alu instid0(SALU_CYCLE_1)
	s_mov_b32 s0, exec_lo
	v_cmpx_eq_u32_e32 0, v0
	s_cbranch_execz .LBB564_21
; %bb.13:
	s_cmp_lg_u32 s12, 1
	s_mov_b32 s15, -1
	s_cbranch_scc0 .LBB564_15
; %bb.14:
	s_mul_hi_u32 s1, s12, s2
	s_mul_i32 s0, s12, s2
	s_mov_b32 s15, 0
	s_lshl_b64 s[0:1], s[0:1], 2
	v_mov_b32_e32 v0, 0
	s_add_u32 s4, s4, s0
	s_addc_u32 s5, s5, s1
	s_lshl_b64 s[0:1], s[14:15], 2
	s_delay_alu instid0(SALU_CYCLE_1)
	s_add_u32 s0, s4, s0
	s_addc_u32 s1, s5, s1
	s_waitcnt lgkmcnt(0)
	global_store_b32 v0, v1, s[0:1]
.LBB564_15:
	s_and_not1_b32 vcc_lo, exec_lo, s15
	s_cbranch_vccnz .LBB564_21
; %bb.16:
	s_waitcnt lgkmcnt(0)
	v_and_b32_e32 v0, 0x7f800000, v1
	s_delay_alu instid0(VALU_DEP_1) | instskip(SKIP_1) | instid1(SALU_CYCLE_1)
	v_cmp_ne_u32_e32 vcc_lo, 0x7f800000, v0
                                        ; implicit-def: $vgpr0
	s_and_saveexec_b32 s0, vcc_lo
	s_xor_b32 s0, exec_lo, s0
; %bb.17:
	v_bfe_u32 v0, v1, 16, 1
	s_delay_alu instid0(VALU_DEP_1)
	v_add3_u32 v0, v1, v0, 0x7fff
                                        ; implicit-def: $vgpr1
; %bb.18:
	s_and_not1_saveexec_b32 s0, s0
; %bb.19:
	v_and_b32_e32 v0, 0xffff, v1
	v_or_b32_e32 v2, 0x10000, v1
	s_delay_alu instid0(VALU_DEP_2) | instskip(NEXT) | instid1(VALU_DEP_2)
	v_cmp_eq_u32_e32 vcc_lo, 0, v0
	v_cndmask_b32_e32 v0, v2, v1, vcc_lo
; %bb.20:
	s_or_b32 exec_lo, exec_lo, s0
	s_lshl_b64 s[0:1], s[2:3], 1
	v_mov_b32_e32 v1, 0
	s_add_u32 s0, s6, s0
	s_addc_u32 s1, s7, s1
	global_store_d16_hi_b16 v1, v0, s[0:1]
.LBB564_21:
	s_nop 0
	s_sendmsg sendmsg(MSG_DEALLOC_VGPRS)
	s_endpgm
	.section	.rodata,"a",@progbits
	.p2align	6, 0x0
	.amdhsa_kernel _ZL18rocblas_dot_kernelIlLb0ELi512ELi8ELb1E16rocblas_bfloat16PKPKS0_fEviT5_lT_lS5_lS6_liPT6_PT4_
		.amdhsa_group_segment_fixed_size 128
		.amdhsa_private_segment_fixed_size 0
		.amdhsa_kernarg_size 352
		.amdhsa_user_sgpr_count 14
		.amdhsa_user_sgpr_dispatch_ptr 0
		.amdhsa_user_sgpr_queue_ptr 0
		.amdhsa_user_sgpr_kernarg_segment_ptr 1
		.amdhsa_user_sgpr_dispatch_id 0
		.amdhsa_user_sgpr_private_segment_size 0
		.amdhsa_wavefront_size32 1
		.amdhsa_uses_dynamic_stack 0
		.amdhsa_enable_private_segment 0
		.amdhsa_system_sgpr_workgroup_id_x 1
		.amdhsa_system_sgpr_workgroup_id_y 0
		.amdhsa_system_sgpr_workgroup_id_z 1
		.amdhsa_system_sgpr_workgroup_info 0
		.amdhsa_system_vgpr_workitem_id 0
		.amdhsa_next_free_vgpr 12
		.amdhsa_next_free_sgpr 29
		.amdhsa_reserve_vcc 1
		.amdhsa_float_round_mode_32 0
		.amdhsa_float_round_mode_16_64 0
		.amdhsa_float_denorm_mode_32 3
		.amdhsa_float_denorm_mode_16_64 3
		.amdhsa_dx10_clamp 1
		.amdhsa_ieee_mode 1
		.amdhsa_fp16_overflow 0
		.amdhsa_workgroup_processor_mode 1
		.amdhsa_memory_ordered 1
		.amdhsa_forward_progress 0
		.amdhsa_shared_vgpr_count 0
		.amdhsa_exception_fp_ieee_invalid_op 0
		.amdhsa_exception_fp_denorm_src 0
		.amdhsa_exception_fp_ieee_div_zero 0
		.amdhsa_exception_fp_ieee_overflow 0
		.amdhsa_exception_fp_ieee_underflow 0
		.amdhsa_exception_fp_ieee_inexact 0
		.amdhsa_exception_int_div_zero 0
	.end_amdhsa_kernel
	.section	.text._ZL18rocblas_dot_kernelIlLb0ELi512ELi8ELb1E16rocblas_bfloat16PKPKS0_fEviT5_lT_lS5_lS6_liPT6_PT4_,"axG",@progbits,_ZL18rocblas_dot_kernelIlLb0ELi512ELi8ELb1E16rocblas_bfloat16PKPKS0_fEviT5_lT_lS5_lS6_liPT6_PT4_,comdat
.Lfunc_end564:
	.size	_ZL18rocblas_dot_kernelIlLb0ELi512ELi8ELb1E16rocblas_bfloat16PKPKS0_fEviT5_lT_lS5_lS6_liPT6_PT4_, .Lfunc_end564-_ZL18rocblas_dot_kernelIlLb0ELi512ELi8ELb1E16rocblas_bfloat16PKPKS0_fEviT5_lT_lS5_lS6_liPT6_PT4_
                                        ; -- End function
	.section	.AMDGPU.csdata,"",@progbits
; Kernel info:
; codeLenInByte = 1176
; NumSgprs: 31
; NumVgprs: 12
; ScratchSize: 0
; MemoryBound: 0
; FloatMode: 240
; IeeeMode: 1
; LDSByteSize: 128 bytes/workgroup (compile time only)
; SGPRBlocks: 3
; VGPRBlocks: 1
; NumSGPRsForWavesPerEU: 31
; NumVGPRsForWavesPerEU: 12
; Occupancy: 16
; WaveLimiterHint : 0
; COMPUTE_PGM_RSRC2:SCRATCH_EN: 0
; COMPUTE_PGM_RSRC2:USER_SGPR: 14
; COMPUTE_PGM_RSRC2:TRAP_HANDLER: 0
; COMPUTE_PGM_RSRC2:TGID_X_EN: 1
; COMPUTE_PGM_RSRC2:TGID_Y_EN: 0
; COMPUTE_PGM_RSRC2:TGID_Z_EN: 1
; COMPUTE_PGM_RSRC2:TIDIG_COMP_CNT: 0
	.section	.text._ZL24rocblas_dot_kernel_magsqIlLb0ELi512ELi8ELb1E16rocblas_bfloat16PKPKS0_fEviT5_lT_liPT6_PT4_,"axG",@progbits,_ZL24rocblas_dot_kernel_magsqIlLb0ELi512ELi8ELb1E16rocblas_bfloat16PKPKS0_fEviT5_lT_liPT6_PT4_,comdat
	.globl	_ZL24rocblas_dot_kernel_magsqIlLb0ELi512ELi8ELb1E16rocblas_bfloat16PKPKS0_fEviT5_lT_liPT6_PT4_ ; -- Begin function _ZL24rocblas_dot_kernel_magsqIlLb0ELi512ELi8ELb1E16rocblas_bfloat16PKPKS0_fEviT5_lT_liPT6_PT4_
	.p2align	8
	.type	_ZL24rocblas_dot_kernel_magsqIlLb0ELi512ELi8ELb1E16rocblas_bfloat16PKPKS0_fEviT5_lT_liPT6_PT4_,@function
_ZL24rocblas_dot_kernel_magsqIlLb0ELi512ELi8ELb1E16rocblas_bfloat16PKPKS0_fEviT5_lT_liPT6_PT4_: ; @_ZL24rocblas_dot_kernel_magsqIlLb0ELi512ELi8ELb1E16rocblas_bfloat16PKPKS0_fEviT5_lT_liPT6_PT4_
; %bb.0:
	s_clause 0x2
	s_load_b32 s11, s[0:1], 0x0
	s_load_b128 s[4:7], s[0:1], 0x30
	s_load_b32 s10, s[0:1], 0x40
	v_lshl_or_b32 v1, s14, 9, v0
	v_mov_b32_e32 v3, 0
	s_mov_b32 s8, s15
	s_mov_b32 s9, 0
	s_mov_b32 s12, exec_lo
	s_waitcnt lgkmcnt(0)
	v_cmpx_gt_i32_e64 s11, v1
	s_cbranch_execz .LBB565_4
; %bb.1:
	s_clause 0x1
	s_load_b64 s[16:17], s[0:1], 0x8
	s_load_b128 s[0:3], s[0:1], 0x10
	s_lshl_b64 s[18:19], s[8:9], 3
	v_ashrrev_i32_e32 v2, 31, v1
	s_waitcnt lgkmcnt(0)
	s_add_u32 s16, s16, s18
	s_addc_u32 s17, s17, s19
	v_mul_lo_u32 v4, s3, v1
	s_load_b64 s[16:17], s[16:17], 0x0
	v_mul_lo_u32 v2, s2, v2
	v_mad_u64_u32 v[5:6], null, s2, v1, 0
	s_lshl_b32 s13, s10, 9
	v_mov_b32_e32 v3, 0
	s_lshl_b64 s[0:1], s[0:1], 1
	s_mul_hi_u32 s15, s2, s13
	s_mul_i32 s3, s3, s13
	s_delay_alu instid0(VALU_DEP_2) | instskip(SKIP_1) | instid1(VALU_DEP_2)
	v_add3_u32 v6, v6, v2, v4
	v_add_nc_u32_e32 v4, s13, v1
	v_lshlrev_b64 v[1:2], 1, v[5:6]
	s_waitcnt lgkmcnt(0)
	s_add_u32 s0, s16, s0
	s_addc_u32 s1, s17, s1
	s_ashr_i32 s16, s13, 31
	s_delay_alu instid0(VALU_DEP_1)
	v_add_co_u32 v1, vcc_lo, s0, v1
	s_mul_i32 s16, s2, s16
	v_add_co_ci_u32_e32 v2, vcc_lo, s1, v2, vcc_lo
	s_add_i32 s15, s15, s16
	s_mul_i32 s2, s2, s13
	s_add_i32 s3, s15, s3
	s_mov_b32 s1, s9
	s_lshl_b64 s[2:3], s[2:3], 1
	s_mov_b32 s15, s9
	.p2align	6
.LBB565_2:                              ; =>This Inner Loop Header: Depth=1
	global_load_u16 v5, v[1:2], off
	s_add_i32 s16, s15, 1
	v_cmp_le_i32_e32 vcc_lo, s11, v4
	v_add_co_u32 v1, s0, v1, s2
	s_cmp_gt_u32 s15, 6
	v_add_co_ci_u32_e64 v2, s0, s3, v2, s0
	s_cselect_b32 s0, -1, 0
	s_mov_b32 s15, s16
	s_or_b32 s0, s0, vcc_lo
	s_delay_alu instid0(SALU_CYCLE_1) | instskip(NEXT) | instid1(SALU_CYCLE_1)
	s_and_b32 s0, exec_lo, s0
	s_or_b32 s1, s0, s1
	s_waitcnt vmcnt(0)
	v_lshlrev_b32_e32 v5, 16, v5
	s_delay_alu instid0(VALU_DEP_1)
	v_dual_fmac_f32 v3, v5, v5 :: v_dual_add_nc_u32 v4, s13, v4
	s_and_not1_b32 exec_lo, exec_lo, s1
	s_cbranch_execnz .LBB565_2
; %bb.3:
	s_or_b32 exec_lo, exec_lo, s1
.LBB565_4:
	s_delay_alu instid0(SALU_CYCLE_1) | instskip(SKIP_2) | instid1(VALU_DEP_2)
	s_or_b32 exec_lo, exec_lo, s12
	v_and_b32_e32 v1, 31, v0
	v_cmp_gt_u32_e32 vcc_lo, 32, v0
	v_lshlrev_b32_e32 v2, 2, v1
	s_and_saveexec_b32 s0, vcc_lo
	s_cbranch_execz .LBB565_6
; %bb.5:
	v_mov_b32_e32 v4, 0
	ds_store_b32 v2, v4
.LBB565_6:
	s_or_b32 exec_lo, exec_lo, s0
	v_mbcnt_lo_u32_b32 v6, -1, 0
	s_mov_b32 s1, exec_lo
	s_waitcnt lgkmcnt(0)
	s_barrier
	buffer_gl0_inv
	v_cmp_gt_u32_e64 s0, 16, v6
	s_delay_alu instid0(VALU_DEP_1) | instskip(SKIP_1) | instid1(VALU_DEP_2)
	v_cndmask_b32_e64 v4, 0, 1, s0
	v_cmp_gt_u32_e64 s0, 24, v6
	v_lshlrev_b32_e32 v4, 4, v4
	s_delay_alu instid0(VALU_DEP_1) | instskip(SKIP_4) | instid1(VALU_DEP_2)
	v_add_lshl_u32 v4, v4, v6, 2
	ds_bpermute_b32 v5, v4, v3
	v_cndmask_b32_e64 v4, 0, 1, s0
	v_cmp_gt_u32_e64 s0, 28, v6
	s_waitcnt lgkmcnt(0)
	v_dual_add_f32 v5, v3, v5 :: v_dual_lshlrev_b32 v4, 3, v4
	s_delay_alu instid0(VALU_DEP_2) | instskip(SKIP_1) | instid1(VALU_DEP_3)
	v_cndmask_b32_e64 v3, 0, 1, s0
	v_cmp_gt_u32_e64 s0, 30, v6
	v_add_lshl_u32 v4, v4, v6, 2
	s_delay_alu instid0(VALU_DEP_3)
	v_lshlrev_b32_e32 v3, 2, v3
	ds_bpermute_b32 v7, v4, v5
	v_add_lshl_u32 v3, v3, v6, 2
	s_waitcnt lgkmcnt(0)
	v_add_f32_e32 v7, v5, v7
	v_cndmask_b32_e64 v5, 0, 1, s0
	v_cmp_ne_u32_e64 s0, 31, v6
	ds_bpermute_b32 v8, v3, v7
	v_lshlrev_b32_e32 v5, 1, v5
	s_delay_alu instid0(VALU_DEP_1) | instskip(SKIP_2) | instid1(VALU_DEP_1)
	v_add_lshl_u32 v5, v5, v6, 2
	v_add_co_ci_u32_e64 v6, s0, 0, v6, s0
	s_waitcnt lgkmcnt(0)
	v_dual_add_f32 v7, v7, v8 :: v_dual_lshlrev_b32 v6, 2, v6
	ds_bpermute_b32 v8, v5, v7
	s_waitcnt lgkmcnt(0)
	v_add_f32_e32 v7, v7, v8
	ds_bpermute_b32 v8, v6, v7
	v_cmpx_eq_u32_e32 0, v1
	s_cbranch_execz .LBB565_8
; %bb.7:
	v_lshrrev_b32_e32 v1, 3, v0
	s_waitcnt lgkmcnt(0)
	v_add_f32_e32 v7, v7, v8
	s_delay_alu instid0(VALU_DEP_2)
	v_and_b32_e32 v1, 60, v1
	ds_store_b32 v1, v7
.LBB565_8:
	s_or_b32 exec_lo, exec_lo, s1
	v_mov_b32_e32 v1, 0
	s_mov_b32 s1, exec_lo
	s_waitcnt lgkmcnt(0)
	s_barrier
	buffer_gl0_inv
	v_cmpx_gt_u32_e32 16, v0
	s_cbranch_execz .LBB565_10
; %bb.9:
	ds_load_b32 v1, v2
.LBB565_10:
	s_or_b32 exec_lo, exec_lo, s1
	s_and_saveexec_b32 s0, vcc_lo
	s_cbranch_execz .LBB565_12
; %bb.11:
	s_waitcnt lgkmcnt(0)
	ds_bpermute_b32 v2, v4, v1
	s_waitcnt lgkmcnt(0)
	v_add_f32_e32 v1, v1, v2
	ds_bpermute_b32 v2, v3, v1
	s_waitcnt lgkmcnt(0)
	v_add_f32_e32 v1, v1, v2
	;; [unrolled: 3-line block ×4, first 2 shown]
.LBB565_12:
	s_or_b32 exec_lo, exec_lo, s0
	s_delay_alu instid0(SALU_CYCLE_1)
	s_mov_b32 s0, exec_lo
	v_cmpx_eq_u32_e32 0, v0
	s_cbranch_execz .LBB565_21
; %bb.13:
	s_cmp_lg_u32 s10, 1
	s_mov_b32 s15, -1
	s_cbranch_scc0 .LBB565_15
; %bb.14:
	s_mul_hi_u32 s1, s10, s8
	s_mul_i32 s0, s10, s8
	s_mov_b32 s15, 0
	s_lshl_b64 s[0:1], s[0:1], 2
	v_mov_b32_e32 v0, 0
	s_add_u32 s2, s4, s0
	s_addc_u32 s3, s5, s1
	s_lshl_b64 s[0:1], s[14:15], 2
	s_delay_alu instid0(SALU_CYCLE_1)
	s_add_u32 s0, s2, s0
	s_addc_u32 s1, s3, s1
	s_waitcnt lgkmcnt(0)
	global_store_b32 v0, v1, s[0:1]
.LBB565_15:
	s_and_not1_b32 vcc_lo, exec_lo, s15
	s_cbranch_vccnz .LBB565_21
; %bb.16:
	s_waitcnt lgkmcnt(0)
	v_and_b32_e32 v0, 0x7f800000, v1
	s_delay_alu instid0(VALU_DEP_1) | instskip(SKIP_1) | instid1(SALU_CYCLE_1)
	v_cmp_ne_u32_e32 vcc_lo, 0x7f800000, v0
                                        ; implicit-def: $vgpr0
	s_and_saveexec_b32 s0, vcc_lo
	s_xor_b32 s0, exec_lo, s0
; %bb.17:
	v_bfe_u32 v0, v1, 16, 1
	s_delay_alu instid0(VALU_DEP_1)
	v_add3_u32 v0, v1, v0, 0x7fff
                                        ; implicit-def: $vgpr1
; %bb.18:
	s_and_not1_saveexec_b32 s0, s0
; %bb.19:
	v_and_b32_e32 v0, 0xffff, v1
	v_or_b32_e32 v2, 0x10000, v1
	s_delay_alu instid0(VALU_DEP_2) | instskip(NEXT) | instid1(VALU_DEP_2)
	v_cmp_eq_u32_e32 vcc_lo, 0, v0
	v_cndmask_b32_e32 v0, v2, v1, vcc_lo
; %bb.20:
	s_or_b32 exec_lo, exec_lo, s0
	s_lshl_b64 s[0:1], s[8:9], 1
	v_mov_b32_e32 v1, 0
	s_add_u32 s0, s6, s0
	s_addc_u32 s1, s7, s1
	global_store_d16_hi_b16 v1, v0, s[0:1]
.LBB565_21:
	s_nop 0
	s_sendmsg sendmsg(MSG_DEALLOC_VGPRS)
	s_endpgm
	.section	.rodata,"a",@progbits
	.p2align	6, 0x0
	.amdhsa_kernel _ZL24rocblas_dot_kernel_magsqIlLb0ELi512ELi8ELb1E16rocblas_bfloat16PKPKS0_fEviT5_lT_liPT6_PT4_
		.amdhsa_group_segment_fixed_size 128
		.amdhsa_private_segment_fixed_size 0
		.amdhsa_kernarg_size 320
		.amdhsa_user_sgpr_count 14
		.amdhsa_user_sgpr_dispatch_ptr 0
		.amdhsa_user_sgpr_queue_ptr 0
		.amdhsa_user_sgpr_kernarg_segment_ptr 1
		.amdhsa_user_sgpr_dispatch_id 0
		.amdhsa_user_sgpr_private_segment_size 0
		.amdhsa_wavefront_size32 1
		.amdhsa_uses_dynamic_stack 0
		.amdhsa_enable_private_segment 0
		.amdhsa_system_sgpr_workgroup_id_x 1
		.amdhsa_system_sgpr_workgroup_id_y 0
		.amdhsa_system_sgpr_workgroup_id_z 1
		.amdhsa_system_sgpr_workgroup_info 0
		.amdhsa_system_vgpr_workitem_id 0
		.amdhsa_next_free_vgpr 9
		.amdhsa_next_free_sgpr 20
		.amdhsa_reserve_vcc 1
		.amdhsa_float_round_mode_32 0
		.amdhsa_float_round_mode_16_64 0
		.amdhsa_float_denorm_mode_32 3
		.amdhsa_float_denorm_mode_16_64 3
		.amdhsa_dx10_clamp 1
		.amdhsa_ieee_mode 1
		.amdhsa_fp16_overflow 0
		.amdhsa_workgroup_processor_mode 1
		.amdhsa_memory_ordered 1
		.amdhsa_forward_progress 0
		.amdhsa_shared_vgpr_count 0
		.amdhsa_exception_fp_ieee_invalid_op 0
		.amdhsa_exception_fp_denorm_src 0
		.amdhsa_exception_fp_ieee_div_zero 0
		.amdhsa_exception_fp_ieee_overflow 0
		.amdhsa_exception_fp_ieee_underflow 0
		.amdhsa_exception_fp_ieee_inexact 0
		.amdhsa_exception_int_div_zero 0
	.end_amdhsa_kernel
	.section	.text._ZL24rocblas_dot_kernel_magsqIlLb0ELi512ELi8ELb1E16rocblas_bfloat16PKPKS0_fEviT5_lT_liPT6_PT4_,"axG",@progbits,_ZL24rocblas_dot_kernel_magsqIlLb0ELi512ELi8ELb1E16rocblas_bfloat16PKPKS0_fEviT5_lT_liPT6_PT4_,comdat
.Lfunc_end565:
	.size	_ZL24rocblas_dot_kernel_magsqIlLb0ELi512ELi8ELb1E16rocblas_bfloat16PKPKS0_fEviT5_lT_liPT6_PT4_, .Lfunc_end565-_ZL24rocblas_dot_kernel_magsqIlLb0ELi512ELi8ELb1E16rocblas_bfloat16PKPKS0_fEviT5_lT_liPT6_PT4_
                                        ; -- End function
	.section	.AMDGPU.csdata,"",@progbits
; Kernel info:
; codeLenInByte = 1016
; NumSgprs: 22
; NumVgprs: 9
; ScratchSize: 0
; MemoryBound: 0
; FloatMode: 240
; IeeeMode: 1
; LDSByteSize: 128 bytes/workgroup (compile time only)
; SGPRBlocks: 2
; VGPRBlocks: 1
; NumSGPRsForWavesPerEU: 22
; NumVGPRsForWavesPerEU: 9
; Occupancy: 16
; WaveLimiterHint : 0
; COMPUTE_PGM_RSRC2:SCRATCH_EN: 0
; COMPUTE_PGM_RSRC2:USER_SGPR: 14
; COMPUTE_PGM_RSRC2:TRAP_HANDLER: 0
; COMPUTE_PGM_RSRC2:TGID_X_EN: 1
; COMPUTE_PGM_RSRC2:TGID_Y_EN: 0
; COMPUTE_PGM_RSRC2:TGID_Z_EN: 1
; COMPUTE_PGM_RSRC2:TIDIG_COMP_CNT: 0
	.section	.text._ZL28rocblas_dot_batched_4_kernelIiLi32ELi4ELb1EddPKfEviT5_lT_lS2_lS3_liPT4_,"axG",@progbits,_ZL28rocblas_dot_batched_4_kernelIiLi32ELi4ELb1EddPKfEviT5_lT_lS2_lS3_liPT4_,comdat
	.globl	_ZL28rocblas_dot_batched_4_kernelIiLi32ELi4ELb1EddPKfEviT5_lT_lS2_lS3_liPT4_ ; -- Begin function _ZL28rocblas_dot_batched_4_kernelIiLi32ELi4ELb1EddPKfEviT5_lT_lS2_lS3_liPT4_
	.p2align	8
	.type	_ZL28rocblas_dot_batched_4_kernelIiLi32ELi4ELb1EddPKfEviT5_lT_lS2_lS3_liPT4_,@function
_ZL28rocblas_dot_batched_4_kernelIiLi32ELi4ELb1EddPKfEviT5_lT_lS2_lS3_liPT4_: ; @_ZL28rocblas_dot_batched_4_kernelIiLi32ELi4ELb1EddPKfEviT5_lT_lS2_lS3_liPT4_
; %bb.0:
	s_load_b32 s2, s[0:1], 0x48
	v_bfe_u32 v1, v0, 10, 10
	s_delay_alu instid0(VALU_DEP_1) | instskip(SKIP_1) | instid1(VALU_DEP_1)
	v_lshl_add_u32 v1, s15, 2, v1
	s_waitcnt lgkmcnt(0)
	v_cmp_gt_u32_e32 vcc_lo, s2, v1
	s_and_saveexec_b32 s2, vcc_lo
	s_cbranch_execz .LBB566_7
; %bb.1:
	s_clause 0x1
	s_load_b32 s12, s[0:1], 0x0
	s_load_b64 s[2:3], s[0:1], 0x50
	v_dual_mov_b32 v3, 0 :: v_dual_and_b32 v0, 0x3ff, v0
	v_mov_b32_e32 v2, 0
	v_mov_b32_e32 v4, 0
	s_mov_b32 s13, exec_lo
	s_waitcnt lgkmcnt(0)
	v_cmpx_gt_i32_e64 s12, v0
	s_cbranch_execz .LBB566_5
; %bb.2:
	s_clause 0x5
	s_load_b128 s[4:7], s[0:1], 0x20
	s_load_b64 s[14:15], s[0:1], 0x40
	s_load_b32 s16, s[0:1], 0x18
	s_load_b32 s18, s[0:1], 0x38
	s_load_b128 s[8:11], s[0:1], 0x8
	s_load_b64 s[0:1], s[0:1], 0x30
	s_waitcnt lgkmcnt(0)
	v_mad_u64_u32 v[5:6], null, s4, v1, 0
	v_mad_u64_u32 v[7:8], null, s14, v1, 0
	v_mad_i64_i32 v[9:10], null, s16, v0, 0
	s_ashr_i32 s17, s16, 31
	s_ashr_i32 s19, s18, 31
	s_delay_alu instid0(VALU_DEP_2) | instskip(NEXT) | instid1(VALU_DEP_2)
	v_mad_u64_u32 v[11:12], null, s5, v1, v[6:7]
	v_mad_u64_u32 v[12:13], null, s15, v1, v[8:9]
	v_mov_b32_e32 v3, 0
	v_mad_i64_i32 v[13:14], null, s18, v0, 0
	v_lshlrev_b64 v[9:10], 2, v[9:10]
	v_mov_b32_e32 v6, v11
	s_lshl_b64 s[4:5], s[10:11], 2
	v_mov_b32_e32 v8, v12
	s_add_u32 s8, s8, s4
	s_addc_u32 s9, s9, s5
	v_lshlrev_b64 v[5:6], 2, v[5:6]
	v_lshlrev_b64 v[11:12], 2, v[13:14]
	v_lshlrev_b64 v[7:8], 2, v[7:8]
	s_lshl_b64 s[0:1], s[0:1], 2
	s_lshl_b64 s[4:5], s[16:17], 7
	s_add_u32 s0, s6, s0
	v_add_co_u32 v5, vcc_lo, v9, v5
	v_add_co_ci_u32_e32 v6, vcc_lo, v10, v6, vcc_lo
	v_add_co_u32 v7, vcc_lo, v11, v7
	v_add_co_ci_u32_e32 v8, vcc_lo, v12, v8, vcc_lo
	s_delay_alu instid0(VALU_DEP_4) | instskip(NEXT) | instid1(VALU_DEP_4)
	v_add_co_u32 v5, vcc_lo, s8, v5
	v_add_co_ci_u32_e32 v6, vcc_lo, s9, v6, vcc_lo
	s_addc_u32 s1, s7, s1
	v_add_co_u32 v7, vcc_lo, s0, v7
	v_dual_mov_b32 v4, 0 :: v_dual_mov_b32 v9, v0
	v_add_co_ci_u32_e32 v8, vcc_lo, s1, v8, vcc_lo
	s_lshl_b64 s[6:7], s[18:19], 7
	s_mov_b32 s1, 0
	.p2align	6
.LBB566_3:                              ; =>This Inner Loop Header: Depth=1
	global_load_b32 v10, v[5:6], off
	global_load_b32 v12, v[7:8], off
	v_add_nc_u32_e32 v9, 32, v9
	v_add_co_u32 v5, vcc_lo, v5, s4
	v_add_co_ci_u32_e32 v6, vcc_lo, s5, v6, vcc_lo
	s_delay_alu instid0(VALU_DEP_3) | instskip(SKIP_1) | instid1(VALU_DEP_1)
	v_cmp_le_i32_e32 vcc_lo, s12, v9
	v_add_co_u32 v7, s0, v7, s6
	v_add_co_ci_u32_e64 v8, s0, s7, v8, s0
	s_or_b32 s1, vcc_lo, s1
	s_waitcnt vmcnt(1)
	v_cvt_f64_f32_e32 v[10:11], v10
	s_waitcnt vmcnt(0)
	v_cvt_f64_f32_e32 v[12:13], v12
	s_delay_alu instid0(VALU_DEP_1)
	v_fma_f64 v[3:4], v[10:11], v[12:13], v[3:4]
	s_and_not1_b32 exec_lo, exec_lo, s1
	s_cbranch_execnz .LBB566_3
; %bb.4:
	s_or_b32 exec_lo, exec_lo, s1
.LBB566_5:
	s_delay_alu instid0(SALU_CYCLE_1)
	s_or_b32 exec_lo, exec_lo, s13
	v_mbcnt_lo_u32_b32 v7, -1, 0
	s_barrier
	buffer_gl0_inv
	v_cmp_gt_u32_e32 vcc_lo, 16, v7
	v_cndmask_b32_e64 v5, 0, 1, vcc_lo
	v_cmp_gt_u32_e32 vcc_lo, 24, v7
	s_delay_alu instid0(VALU_DEP_2) | instskip(NEXT) | instid1(VALU_DEP_1)
	v_lshlrev_b32_e32 v5, 4, v5
	v_add_lshl_u32 v6, v5, v7, 2
	ds_bpermute_b32 v5, v6, v3
	ds_bpermute_b32 v6, v6, v4
	s_waitcnt lgkmcnt(0)
	v_add_f64 v[3:4], v[3:4], v[5:6]
	v_cndmask_b32_e64 v5, 0, 1, vcc_lo
	v_cmp_gt_u32_e32 vcc_lo, 28, v7
	s_delay_alu instid0(VALU_DEP_2) | instskip(NEXT) | instid1(VALU_DEP_1)
	v_lshlrev_b32_e32 v5, 3, v5
	v_add_lshl_u32 v6, v5, v7, 2
	ds_bpermute_b32 v5, v6, v3
	ds_bpermute_b32 v6, v6, v4
	s_waitcnt lgkmcnt(0)
	v_add_f64 v[3:4], v[3:4], v[5:6]
	;; [unrolled: 9-line block ×3, first 2 shown]
	v_cndmask_b32_e64 v5, 0, 1, vcc_lo
	v_cmp_ne_u32_e32 vcc_lo, 31, v7
	s_delay_alu instid0(VALU_DEP_2) | instskip(NEXT) | instid1(VALU_DEP_1)
	v_lshlrev_b32_e32 v5, 1, v5
	v_add_lshl_u32 v6, v5, v7, 2
	ds_bpermute_b32 v5, v6, v3
	ds_bpermute_b32 v6, v6, v4
	s_waitcnt lgkmcnt(0)
	v_add_f64 v[3:4], v[3:4], v[5:6]
	v_add_co_ci_u32_e32 v5, vcc_lo, 0, v7, vcc_lo
	v_cmp_eq_u32_e32 vcc_lo, 0, v0
	s_delay_alu instid0(VALU_DEP_2)
	v_lshlrev_b32_e32 v6, 2, v5
	ds_bpermute_b32 v5, v6, v3
	ds_bpermute_b32 v6, v6, v4
	s_and_b32 exec_lo, exec_lo, vcc_lo
	s_cbranch_execz .LBB566_7
; %bb.6:
	s_waitcnt lgkmcnt(0)
	v_add_f64 v[3:4], v[3:4], v[5:6]
	v_lshlrev_b64 v[0:1], 3, v[1:2]
	s_delay_alu instid0(VALU_DEP_1) | instskip(NEXT) | instid1(VALU_DEP_2)
	v_add_co_u32 v0, vcc_lo, s2, v0
	v_add_co_ci_u32_e32 v1, vcc_lo, s3, v1, vcc_lo
	global_store_b64 v[0:1], v[3:4], off
.LBB566_7:
	s_nop 0
	s_sendmsg sendmsg(MSG_DEALLOC_VGPRS)
	s_endpgm
	.section	.rodata,"a",@progbits
	.p2align	6, 0x0
	.amdhsa_kernel _ZL28rocblas_dot_batched_4_kernelIiLi32ELi4ELb1EddPKfEviT5_lT_lS2_lS3_liPT4_
		.amdhsa_group_segment_fixed_size 0
		.amdhsa_private_segment_fixed_size 0
		.amdhsa_kernarg_size 88
		.amdhsa_user_sgpr_count 15
		.amdhsa_user_sgpr_dispatch_ptr 0
		.amdhsa_user_sgpr_queue_ptr 0
		.amdhsa_user_sgpr_kernarg_segment_ptr 1
		.amdhsa_user_sgpr_dispatch_id 0
		.amdhsa_user_sgpr_private_segment_size 0
		.amdhsa_wavefront_size32 1
		.amdhsa_uses_dynamic_stack 0
		.amdhsa_enable_private_segment 0
		.amdhsa_system_sgpr_workgroup_id_x 1
		.amdhsa_system_sgpr_workgroup_id_y 0
		.amdhsa_system_sgpr_workgroup_id_z 0
		.amdhsa_system_sgpr_workgroup_info 0
		.amdhsa_system_vgpr_workitem_id 1
		.amdhsa_next_free_vgpr 15
		.amdhsa_next_free_sgpr 20
		.amdhsa_reserve_vcc 1
		.amdhsa_float_round_mode_32 0
		.amdhsa_float_round_mode_16_64 0
		.amdhsa_float_denorm_mode_32 3
		.amdhsa_float_denorm_mode_16_64 3
		.amdhsa_dx10_clamp 1
		.amdhsa_ieee_mode 1
		.amdhsa_fp16_overflow 0
		.amdhsa_workgroup_processor_mode 1
		.amdhsa_memory_ordered 1
		.amdhsa_forward_progress 0
		.amdhsa_shared_vgpr_count 0
		.amdhsa_exception_fp_ieee_invalid_op 0
		.amdhsa_exception_fp_denorm_src 0
		.amdhsa_exception_fp_ieee_div_zero 0
		.amdhsa_exception_fp_ieee_overflow 0
		.amdhsa_exception_fp_ieee_underflow 0
		.amdhsa_exception_fp_ieee_inexact 0
		.amdhsa_exception_int_div_zero 0
	.end_amdhsa_kernel
	.section	.text._ZL28rocblas_dot_batched_4_kernelIiLi32ELi4ELb1EddPKfEviT5_lT_lS2_lS3_liPT4_,"axG",@progbits,_ZL28rocblas_dot_batched_4_kernelIiLi32ELi4ELb1EddPKfEviT5_lT_lS2_lS3_liPT4_,comdat
.Lfunc_end566:
	.size	_ZL28rocblas_dot_batched_4_kernelIiLi32ELi4ELb1EddPKfEviT5_lT_lS2_lS3_liPT4_, .Lfunc_end566-_ZL28rocblas_dot_batched_4_kernelIiLi32ELi4ELb1EddPKfEviT5_lT_lS2_lS3_liPT4_
                                        ; -- End function
	.section	.AMDGPU.csdata,"",@progbits
; Kernel info:
; codeLenInByte = 812
; NumSgprs: 22
; NumVgprs: 15
; ScratchSize: 0
; MemoryBound: 0
; FloatMode: 240
; IeeeMode: 1
; LDSByteSize: 0 bytes/workgroup (compile time only)
; SGPRBlocks: 2
; VGPRBlocks: 1
; NumSGPRsForWavesPerEU: 22
; NumVGPRsForWavesPerEU: 15
; Occupancy: 16
; WaveLimiterHint : 0
; COMPUTE_PGM_RSRC2:SCRATCH_EN: 0
; COMPUTE_PGM_RSRC2:USER_SGPR: 15
; COMPUTE_PGM_RSRC2:TRAP_HANDLER: 0
; COMPUTE_PGM_RSRC2:TGID_X_EN: 1
; COMPUTE_PGM_RSRC2:TGID_Y_EN: 0
; COMPUTE_PGM_RSRC2:TGID_Z_EN: 0
; COMPUTE_PGM_RSRC2:TIDIG_COMP_CNT: 1
	.section	.text._ZL28rocblas_dot_batched_4_kernelIiLi64ELi4ELb1EddPKfEviT5_lT_lS2_lS3_liPT4_,"axG",@progbits,_ZL28rocblas_dot_batched_4_kernelIiLi64ELi4ELb1EddPKfEviT5_lT_lS2_lS3_liPT4_,comdat
	.globl	_ZL28rocblas_dot_batched_4_kernelIiLi64ELi4ELb1EddPKfEviT5_lT_lS2_lS3_liPT4_ ; -- Begin function _ZL28rocblas_dot_batched_4_kernelIiLi64ELi4ELb1EddPKfEviT5_lT_lS2_lS3_liPT4_
	.p2align	8
	.type	_ZL28rocblas_dot_batched_4_kernelIiLi64ELi4ELb1EddPKfEviT5_lT_lS2_lS3_liPT4_,@function
_ZL28rocblas_dot_batched_4_kernelIiLi64ELi4ELb1EddPKfEviT5_lT_lS2_lS3_liPT4_: ; @_ZL28rocblas_dot_batched_4_kernelIiLi64ELi4ELb1EddPKfEviT5_lT_lS2_lS3_liPT4_
; %bb.0:
	s_load_b32 s2, s[0:1], 0x48
	v_bfe_u32 v1, v0, 10, 10
	s_delay_alu instid0(VALU_DEP_1) | instskip(SKIP_1) | instid1(VALU_DEP_1)
	v_lshl_add_u32 v1, s15, 2, v1
	s_waitcnt lgkmcnt(0)
	v_cmp_gt_u32_e32 vcc_lo, s2, v1
	s_and_saveexec_b32 s2, vcc_lo
	s_cbranch_execz .LBB567_7
; %bb.1:
	s_clause 0x1
	s_load_b32 s12, s[0:1], 0x0
	s_load_b64 s[2:3], s[0:1], 0x50
	v_dual_mov_b32 v3, 0 :: v_dual_and_b32 v0, 0x3ff, v0
	v_mov_b32_e32 v2, 0
	v_mov_b32_e32 v4, 0
	s_mov_b32 s13, exec_lo
	s_waitcnt lgkmcnt(0)
	v_cmpx_gt_i32_e64 s12, v0
	s_cbranch_execz .LBB567_5
; %bb.2:
	s_clause 0x5
	s_load_b128 s[4:7], s[0:1], 0x20
	s_load_b64 s[14:15], s[0:1], 0x40
	s_load_b32 s16, s[0:1], 0x18
	s_load_b32 s18, s[0:1], 0x38
	s_load_b128 s[8:11], s[0:1], 0x8
	s_load_b64 s[0:1], s[0:1], 0x30
	s_waitcnt lgkmcnt(0)
	v_mad_u64_u32 v[5:6], null, s4, v1, 0
	v_mad_u64_u32 v[7:8], null, s14, v1, 0
	v_mad_i64_i32 v[9:10], null, s16, v0, 0
	s_ashr_i32 s17, s16, 31
	s_ashr_i32 s19, s18, 31
	s_delay_alu instid0(VALU_DEP_2) | instskip(NEXT) | instid1(VALU_DEP_2)
	v_mad_u64_u32 v[11:12], null, s5, v1, v[6:7]
	v_mad_u64_u32 v[12:13], null, s15, v1, v[8:9]
	v_mov_b32_e32 v3, 0
	v_mad_i64_i32 v[13:14], null, s18, v0, 0
	v_lshlrev_b64 v[9:10], 2, v[9:10]
	v_mov_b32_e32 v6, v11
	s_lshl_b64 s[4:5], s[10:11], 2
	v_mov_b32_e32 v8, v12
	s_add_u32 s8, s8, s4
	s_addc_u32 s9, s9, s5
	v_lshlrev_b64 v[5:6], 2, v[5:6]
	v_lshlrev_b64 v[11:12], 2, v[13:14]
	v_lshlrev_b64 v[7:8], 2, v[7:8]
	s_lshl_b64 s[0:1], s[0:1], 2
	s_lshl_b64 s[4:5], s[16:17], 8
	s_add_u32 s0, s6, s0
	v_add_co_u32 v5, vcc_lo, v9, v5
	v_add_co_ci_u32_e32 v6, vcc_lo, v10, v6, vcc_lo
	v_add_co_u32 v7, vcc_lo, v11, v7
	v_add_co_ci_u32_e32 v8, vcc_lo, v12, v8, vcc_lo
	s_delay_alu instid0(VALU_DEP_4) | instskip(NEXT) | instid1(VALU_DEP_4)
	v_add_co_u32 v5, vcc_lo, s8, v5
	v_add_co_ci_u32_e32 v6, vcc_lo, s9, v6, vcc_lo
	s_addc_u32 s1, s7, s1
	v_add_co_u32 v7, vcc_lo, s0, v7
	v_dual_mov_b32 v4, 0 :: v_dual_mov_b32 v9, v0
	v_add_co_ci_u32_e32 v8, vcc_lo, s1, v8, vcc_lo
	s_lshl_b64 s[6:7], s[18:19], 8
	s_mov_b32 s1, 0
	.p2align	6
.LBB567_3:                              ; =>This Inner Loop Header: Depth=1
	global_load_b32 v10, v[5:6], off
	global_load_b32 v12, v[7:8], off
	v_add_nc_u32_e32 v9, 64, v9
	v_add_co_u32 v5, vcc_lo, v5, s4
	v_add_co_ci_u32_e32 v6, vcc_lo, s5, v6, vcc_lo
	s_delay_alu instid0(VALU_DEP_3) | instskip(SKIP_1) | instid1(VALU_DEP_1)
	v_cmp_le_i32_e32 vcc_lo, s12, v9
	v_add_co_u32 v7, s0, v7, s6
	v_add_co_ci_u32_e64 v8, s0, s7, v8, s0
	s_or_b32 s1, vcc_lo, s1
	s_waitcnt vmcnt(1)
	v_cvt_f64_f32_e32 v[10:11], v10
	s_waitcnt vmcnt(0)
	v_cvt_f64_f32_e32 v[12:13], v12
	s_delay_alu instid0(VALU_DEP_1)
	v_fma_f64 v[3:4], v[10:11], v[12:13], v[3:4]
	s_and_not1_b32 exec_lo, exec_lo, s1
	s_cbranch_execnz .LBB567_3
; %bb.4:
	s_or_b32 exec_lo, exec_lo, s1
.LBB567_5:
	s_delay_alu instid0(SALU_CYCLE_1)
	s_or_b32 exec_lo, exec_lo, s13
	v_mbcnt_lo_u32_b32 v7, -1, 0
	s_barrier
	buffer_gl0_inv
	v_lshlrev_b32_e32 v6, 2, v7
	v_cmp_gt_u32_e32 vcc_lo, 16, v7
	ds_bpermute_b32 v5, v6, v3
	ds_bpermute_b32 v6, v6, v4
	s_waitcnt lgkmcnt(0)
	v_add_f64 v[3:4], v[3:4], v[5:6]
	v_cndmask_b32_e64 v5, 0, 1, vcc_lo
	v_cmp_gt_u32_e32 vcc_lo, 24, v7
	s_delay_alu instid0(VALU_DEP_2) | instskip(NEXT) | instid1(VALU_DEP_1)
	v_lshlrev_b32_e32 v5, 4, v5
	v_add_lshl_u32 v6, v5, v7, 2
	ds_bpermute_b32 v5, v6, v3
	ds_bpermute_b32 v6, v6, v4
	s_waitcnt lgkmcnt(0)
	v_add_f64 v[3:4], v[3:4], v[5:6]
	v_cndmask_b32_e64 v5, 0, 1, vcc_lo
	v_cmp_gt_u32_e32 vcc_lo, 28, v7
	s_delay_alu instid0(VALU_DEP_2) | instskip(NEXT) | instid1(VALU_DEP_1)
	v_lshlrev_b32_e32 v5, 3, v5
	v_add_lshl_u32 v6, v5, v7, 2
	;; [unrolled: 9-line block ×3, first 2 shown]
	ds_bpermute_b32 v5, v6, v3
	ds_bpermute_b32 v6, v6, v4
	s_waitcnt lgkmcnt(0)
	v_add_f64 v[3:4], v[3:4], v[5:6]
	v_cndmask_b32_e64 v5, 0, 1, vcc_lo
	v_cmp_ne_u32_e32 vcc_lo, 31, v7
	s_delay_alu instid0(VALU_DEP_2) | instskip(NEXT) | instid1(VALU_DEP_1)
	v_lshlrev_b32_e32 v5, 1, v5
	v_add_lshl_u32 v6, v5, v7, 2
	ds_bpermute_b32 v5, v6, v3
	ds_bpermute_b32 v6, v6, v4
	s_waitcnt lgkmcnt(0)
	v_add_f64 v[3:4], v[3:4], v[5:6]
	v_add_co_ci_u32_e32 v5, vcc_lo, 0, v7, vcc_lo
	v_cmp_eq_u32_e32 vcc_lo, 0, v0
	s_delay_alu instid0(VALU_DEP_2)
	v_lshlrev_b32_e32 v6, 2, v5
	ds_bpermute_b32 v5, v6, v3
	ds_bpermute_b32 v6, v6, v4
	s_and_b32 exec_lo, exec_lo, vcc_lo
	s_cbranch_execz .LBB567_7
; %bb.6:
	s_waitcnt lgkmcnt(0)
	v_add_f64 v[3:4], v[3:4], v[5:6]
	v_lshlrev_b64 v[0:1], 3, v[1:2]
	s_delay_alu instid0(VALU_DEP_1) | instskip(NEXT) | instid1(VALU_DEP_2)
	v_add_co_u32 v0, vcc_lo, s2, v0
	v_add_co_ci_u32_e32 v1, vcc_lo, s3, v1, vcc_lo
	global_store_b64 v[0:1], v[3:4], off
.LBB567_7:
	s_nop 0
	s_sendmsg sendmsg(MSG_DEALLOC_VGPRS)
	s_endpgm
	.section	.rodata,"a",@progbits
	.p2align	6, 0x0
	.amdhsa_kernel _ZL28rocblas_dot_batched_4_kernelIiLi64ELi4ELb1EddPKfEviT5_lT_lS2_lS3_liPT4_
		.amdhsa_group_segment_fixed_size 0
		.amdhsa_private_segment_fixed_size 0
		.amdhsa_kernarg_size 88
		.amdhsa_user_sgpr_count 15
		.amdhsa_user_sgpr_dispatch_ptr 0
		.amdhsa_user_sgpr_queue_ptr 0
		.amdhsa_user_sgpr_kernarg_segment_ptr 1
		.amdhsa_user_sgpr_dispatch_id 0
		.amdhsa_user_sgpr_private_segment_size 0
		.amdhsa_wavefront_size32 1
		.amdhsa_uses_dynamic_stack 0
		.amdhsa_enable_private_segment 0
		.amdhsa_system_sgpr_workgroup_id_x 1
		.amdhsa_system_sgpr_workgroup_id_y 0
		.amdhsa_system_sgpr_workgroup_id_z 0
		.amdhsa_system_sgpr_workgroup_info 0
		.amdhsa_system_vgpr_workitem_id 1
		.amdhsa_next_free_vgpr 15
		.amdhsa_next_free_sgpr 20
		.amdhsa_reserve_vcc 1
		.amdhsa_float_round_mode_32 0
		.amdhsa_float_round_mode_16_64 0
		.amdhsa_float_denorm_mode_32 3
		.amdhsa_float_denorm_mode_16_64 3
		.amdhsa_dx10_clamp 1
		.amdhsa_ieee_mode 1
		.amdhsa_fp16_overflow 0
		.amdhsa_workgroup_processor_mode 1
		.amdhsa_memory_ordered 1
		.amdhsa_forward_progress 0
		.amdhsa_shared_vgpr_count 0
		.amdhsa_exception_fp_ieee_invalid_op 0
		.amdhsa_exception_fp_denorm_src 0
		.amdhsa_exception_fp_ieee_div_zero 0
		.amdhsa_exception_fp_ieee_overflow 0
		.amdhsa_exception_fp_ieee_underflow 0
		.amdhsa_exception_fp_ieee_inexact 0
		.amdhsa_exception_int_div_zero 0
	.end_amdhsa_kernel
	.section	.text._ZL28rocblas_dot_batched_4_kernelIiLi64ELi4ELb1EddPKfEviT5_lT_lS2_lS3_liPT4_,"axG",@progbits,_ZL28rocblas_dot_batched_4_kernelIiLi64ELi4ELb1EddPKfEviT5_lT_lS2_lS3_liPT4_,comdat
.Lfunc_end567:
	.size	_ZL28rocblas_dot_batched_4_kernelIiLi64ELi4ELb1EddPKfEviT5_lT_lS2_lS3_liPT4_, .Lfunc_end567-_ZL28rocblas_dot_batched_4_kernelIiLi64ELi4ELb1EddPKfEviT5_lT_lS2_lS3_liPT4_
                                        ; -- End function
	.section	.AMDGPU.csdata,"",@progbits
; Kernel info:
; codeLenInByte = 844
; NumSgprs: 22
; NumVgprs: 15
; ScratchSize: 0
; MemoryBound: 0
; FloatMode: 240
; IeeeMode: 1
; LDSByteSize: 0 bytes/workgroup (compile time only)
; SGPRBlocks: 2
; VGPRBlocks: 1
; NumSGPRsForWavesPerEU: 22
; NumVGPRsForWavesPerEU: 15
; Occupancy: 16
; WaveLimiterHint : 0
; COMPUTE_PGM_RSRC2:SCRATCH_EN: 0
; COMPUTE_PGM_RSRC2:USER_SGPR: 15
; COMPUTE_PGM_RSRC2:TRAP_HANDLER: 0
; COMPUTE_PGM_RSRC2:TGID_X_EN: 1
; COMPUTE_PGM_RSRC2:TGID_Y_EN: 0
; COMPUTE_PGM_RSRC2:TGID_Z_EN: 0
; COMPUTE_PGM_RSRC2:TIDIG_COMP_CNT: 1
	.section	.text._ZL26rocblas_dot_kernel_inc1by2ILb1ELi1024ELi32ELb1EdPKfdEviT4_llS2_lliPT5_PT3_,"axG",@progbits,_ZL26rocblas_dot_kernel_inc1by2ILb1ELi1024ELi32ELb1EdPKfdEviT4_llS2_lliPT5_PT3_,comdat
	.globl	_ZL26rocblas_dot_kernel_inc1by2ILb1ELi1024ELi32ELb1EdPKfdEviT4_llS2_lliPT5_PT3_ ; -- Begin function _ZL26rocblas_dot_kernel_inc1by2ILb1ELi1024ELi32ELb1EdPKfdEviT4_llS2_lliPT5_PT3_
	.p2align	8
	.type	_ZL26rocblas_dot_kernel_inc1by2ILb1ELi1024ELi32ELb1EdPKfdEviT4_llS2_lliPT5_PT3_,@function
_ZL26rocblas_dot_kernel_inc1by2ILb1ELi1024ELi32ELb1EdPKfdEviT4_llS2_lliPT5_PT3_: ; @_ZL26rocblas_dot_kernel_inc1by2ILb1ELi1024ELi32ELb1EdPKfdEviT4_llS2_lliPT5_PT3_
; %bb.0:
	s_clause 0x1
	s_load_b32 s10, s[0:1], 0x0
	s_load_b64 s[2:3], s[0:1], 0x48
	v_mov_b32_e32 v1, 0
	v_mov_b32_e32 v2, 0
	s_mov_b32 s8, s15
	s_mov_b32 s9, 0
	s_mov_b32 s11, exec_lo
	s_waitcnt lgkmcnt(0)
	v_cmpx_gt_i32_e64 s10, v0
	s_cbranch_execz .LBB568_4
; %bb.1:
	s_clause 0x3
	s_load_b128 s[12:15], s[0:1], 0x28
	s_load_b128 s[4:7], s[0:1], 0x10
	s_load_b64 s[16:17], s[0:1], 0x20
	s_load_b64 s[0:1], s[0:1], 0x8
	v_lshlrev_b32_e32 v5, 2, v0
	v_mov_b32_e32 v1, 0
	v_mov_b32_e32 v2, 0
	v_or_b32_e32 v7, 0x400, v0
	s_waitcnt lgkmcnt(0)
	s_mul_i32 s15, s15, s8
	s_mul_hi_u32 s18, s14, s8
	s_mul_i32 s14, s14, s8
	s_add_i32 s15, s18, s15
	s_lshl_b64 s[12:13], s[12:13], 2
	s_lshl_b64 s[14:15], s[14:15], 2
	s_mul_i32 s7, s7, s8
	s_add_u32 s12, s14, s12
	s_mul_hi_u32 s18, s6, s8
	s_addc_u32 s13, s15, s13
	s_add_u32 s12, s16, s12
	s_mul_i32 s6, s6, s8
	s_addc_u32 s13, s17, s13
	s_add_i32 s7, s18, s7
	s_lshl_b64 s[4:5], s[4:5], 2
	s_lshl_b64 s[6:7], s[6:7], 2
	v_add_co_u32 v3, s12, s12, v5
	s_add_u32 s4, s6, s4
	s_addc_u32 s5, s7, s5
	s_add_u32 s0, s0, s4
	s_addc_u32 s1, s1, s5
	v_add_co_u32 v5, s0, s0, v5
	v_add_co_ci_u32_e64 v4, null, s13, 0, s12
	v_add_co_ci_u32_e64 v6, null, s1, 0, s0
	s_mov_b32 s1, s9
	s_mov_b32 s4, s9
	.p2align	6
.LBB568_2:                              ; =>This Inner Loop Header: Depth=1
	global_load_b32 v8, v[3:4], off
	global_load_b32 v10, v[5:6], off
	s_add_i32 s5, s4, 1
	v_cmp_le_i32_e32 vcc_lo, s10, v7
	v_add_co_u32 v3, s0, 0x1000, v3
	s_cmp_gt_u32 s4, 30
	v_add_co_ci_u32_e64 v4, s0, 0, v4, s0
	s_cselect_b32 s4, -1, 0
	v_add_co_u32 v5, s0, 0x1000, v5
	s_or_b32 s4, s4, vcc_lo
	v_add_nc_u32_e32 v7, 0x400, v7
	v_add_co_ci_u32_e64 v6, vcc_lo, 0, v6, s0
	s_and_b32 s0, exec_lo, s4
	s_mov_b32 s4, s5
	s_or_b32 s1, s0, s1
	s_waitcnt vmcnt(1)
	v_cvt_f64_f32_e32 v[8:9], v8
	s_waitcnt vmcnt(0)
	v_cvt_f64_f32_e32 v[10:11], v10
	s_delay_alu instid0(VALU_DEP_1)
	v_fma_f64 v[1:2], v[8:9], v[10:11], v[1:2]
	s_and_not1_b32 exec_lo, exec_lo, s1
	s_cbranch_execnz .LBB568_2
; %bb.3:
	s_or_b32 exec_lo, exec_lo, s1
.LBB568_4:
	s_delay_alu instid0(SALU_CYCLE_1) | instskip(SKIP_2) | instid1(VALU_DEP_2)
	s_or_b32 exec_lo, exec_lo, s11
	v_and_b32_e32 v11, 31, v0
	v_cmp_gt_u32_e32 vcc_lo, 32, v0
	v_lshlrev_b32_e32 v5, 3, v11
	s_and_saveexec_b32 s0, vcc_lo
	s_cbranch_execz .LBB568_6
; %bb.5:
	v_mov_b32_e32 v3, 0
	s_delay_alu instid0(VALU_DEP_1)
	v_mov_b32_e32 v4, v3
	ds_store_b64 v5, v[3:4]
.LBB568_6:
	s_or_b32 exec_lo, exec_lo, s0
	v_mbcnt_lo_u32_b32 v10, -1, 0
	s_mov_b32 s1, exec_lo
	s_waitcnt lgkmcnt(0)
	s_barrier
	buffer_gl0_inv
	v_cmp_gt_u32_e64 s0, 16, v10
	s_delay_alu instid0(VALU_DEP_1) | instskip(SKIP_1) | instid1(VALU_DEP_2)
	v_cndmask_b32_e64 v3, 0, 1, s0
	v_cmp_gt_u32_e64 s0, 24, v10
	v_lshlrev_b32_e32 v3, 4, v3
	s_delay_alu instid0(VALU_DEP_1)
	v_add_lshl_u32 v6, v3, v10, 2
	ds_bpermute_b32 v3, v6, v1
	ds_bpermute_b32 v4, v6, v2
	s_waitcnt lgkmcnt(0)
	v_add_f64 v[1:2], v[1:2], v[3:4]
	v_cndmask_b32_e64 v3, 0, 1, s0
	v_cmp_gt_u32_e64 s0, 28, v10
	s_delay_alu instid0(VALU_DEP_2) | instskip(NEXT) | instid1(VALU_DEP_1)
	v_lshlrev_b32_e32 v3, 3, v3
	v_add_lshl_u32 v7, v3, v10, 2
	ds_bpermute_b32 v3, v7, v1
	ds_bpermute_b32 v4, v7, v2
	s_waitcnt lgkmcnt(0)
	v_add_f64 v[1:2], v[1:2], v[3:4]
	v_cndmask_b32_e64 v3, 0, 1, s0
	v_cmp_gt_u32_e64 s0, 30, v10
	s_delay_alu instid0(VALU_DEP_2) | instskip(NEXT) | instid1(VALU_DEP_1)
	v_lshlrev_b32_e32 v3, 2, v3
	v_add_lshl_u32 v8, v3, v10, 2
	ds_bpermute_b32 v3, v8, v1
	ds_bpermute_b32 v4, v8, v2
	s_waitcnt lgkmcnt(0)
	v_add_f64 v[1:2], v[1:2], v[3:4]
	v_cndmask_b32_e64 v3, 0, 1, s0
	v_cmp_ne_u32_e64 s0, 31, v10
	s_delay_alu instid0(VALU_DEP_2) | instskip(NEXT) | instid1(VALU_DEP_1)
	v_lshlrev_b32_e32 v3, 1, v3
	v_add_lshl_u32 v9, v3, v10, 2
	ds_bpermute_b32 v3, v9, v1
	ds_bpermute_b32 v4, v9, v2
	s_waitcnt lgkmcnt(0)
	v_add_f64 v[1:2], v[1:2], v[3:4]
	v_add_co_ci_u32_e64 v3, s0, 0, v10, s0
	s_delay_alu instid0(VALU_DEP_1)
	v_lshlrev_b32_e32 v10, 2, v3
	ds_bpermute_b32 v3, v10, v1
	ds_bpermute_b32 v4, v10, v2
	v_cmpx_eq_u32_e32 0, v11
	s_cbranch_execz .LBB568_8
; %bb.7:
	s_waitcnt lgkmcnt(0)
	v_add_f64 v[1:2], v[1:2], v[3:4]
	v_lshrrev_b32_e32 v3, 2, v0
	s_delay_alu instid0(VALU_DEP_1)
	v_and_b32_e32 v3, 0xf8, v3
	ds_store_b64 v3, v[1:2]
.LBB568_8:
	s_or_b32 exec_lo, exec_lo, s1
	v_mov_b32_e32 v1, 0
	v_mov_b32_e32 v2, 0
	s_waitcnt lgkmcnt(0)
	s_barrier
	buffer_gl0_inv
	s_and_saveexec_b32 s0, vcc_lo
	s_cbranch_execz .LBB568_10
; %bb.9:
	ds_load_b64 v[1:2], v5
.LBB568_10:
	s_or_b32 exec_lo, exec_lo, s0
	s_and_saveexec_b32 s0, vcc_lo
	s_cbranch_execz .LBB568_12
; %bb.11:
	s_waitcnt lgkmcnt(0)
	ds_bpermute_b32 v3, v6, v1
	ds_bpermute_b32 v4, v6, v2
	s_waitcnt lgkmcnt(0)
	v_add_f64 v[1:2], v[1:2], v[3:4]
	ds_bpermute_b32 v3, v7, v1
	ds_bpermute_b32 v4, v7, v2
	s_waitcnt lgkmcnt(0)
	v_add_f64 v[1:2], v[1:2], v[3:4]
	;; [unrolled: 4-line block ×5, first 2 shown]
.LBB568_12:
	s_or_b32 exec_lo, exec_lo, s0
	s_delay_alu instid0(SALU_CYCLE_1)
	s_mov_b32 s0, exec_lo
	v_cmpx_eq_u32_e32 0, v0
	s_cbranch_execz .LBB568_14
; %bb.13:
	s_lshl_b64 s[0:1], s[8:9], 3
	v_mov_b32_e32 v0, 0
	s_add_u32 s0, s2, s0
	s_addc_u32 s1, s3, s1
	s_waitcnt lgkmcnt(0)
	global_store_b64 v0, v[1:2], s[0:1]
.LBB568_14:
	s_nop 0
	s_sendmsg sendmsg(MSG_DEALLOC_VGPRS)
	s_endpgm
	.section	.rodata,"a",@progbits
	.p2align	6, 0x0
	.amdhsa_kernel _ZL26rocblas_dot_kernel_inc1by2ILb1ELi1024ELi32ELb1EdPKfdEviT4_llS2_lliPT5_PT3_
		.amdhsa_group_segment_fixed_size 256
		.amdhsa_private_segment_fixed_size 0
		.amdhsa_kernarg_size 80
		.amdhsa_user_sgpr_count 14
		.amdhsa_user_sgpr_dispatch_ptr 0
		.amdhsa_user_sgpr_queue_ptr 0
		.amdhsa_user_sgpr_kernarg_segment_ptr 1
		.amdhsa_user_sgpr_dispatch_id 0
		.amdhsa_user_sgpr_private_segment_size 0
		.amdhsa_wavefront_size32 1
		.amdhsa_uses_dynamic_stack 0
		.amdhsa_enable_private_segment 0
		.amdhsa_system_sgpr_workgroup_id_x 1
		.amdhsa_system_sgpr_workgroup_id_y 0
		.amdhsa_system_sgpr_workgroup_id_z 1
		.amdhsa_system_sgpr_workgroup_info 0
		.amdhsa_system_vgpr_workitem_id 0
		.amdhsa_next_free_vgpr 12
		.amdhsa_next_free_sgpr 19
		.amdhsa_reserve_vcc 1
		.amdhsa_float_round_mode_32 0
		.amdhsa_float_round_mode_16_64 0
		.amdhsa_float_denorm_mode_32 3
		.amdhsa_float_denorm_mode_16_64 3
		.amdhsa_dx10_clamp 1
		.amdhsa_ieee_mode 1
		.amdhsa_fp16_overflow 0
		.amdhsa_workgroup_processor_mode 1
		.amdhsa_memory_ordered 1
		.amdhsa_forward_progress 0
		.amdhsa_shared_vgpr_count 0
		.amdhsa_exception_fp_ieee_invalid_op 0
		.amdhsa_exception_fp_denorm_src 0
		.amdhsa_exception_fp_ieee_div_zero 0
		.amdhsa_exception_fp_ieee_overflow 0
		.amdhsa_exception_fp_ieee_underflow 0
		.amdhsa_exception_fp_ieee_inexact 0
		.amdhsa_exception_int_div_zero 0
	.end_amdhsa_kernel
	.section	.text._ZL26rocblas_dot_kernel_inc1by2ILb1ELi1024ELi32ELb1EdPKfdEviT4_llS2_lliPT5_PT3_,"axG",@progbits,_ZL26rocblas_dot_kernel_inc1by2ILb1ELi1024ELi32ELb1EdPKfdEviT4_llS2_lliPT5_PT3_,comdat
.Lfunc_end568:
	.size	_ZL26rocblas_dot_kernel_inc1by2ILb1ELi1024ELi32ELb1EdPKfdEviT4_llS2_lliPT5_PT3_, .Lfunc_end568-_ZL26rocblas_dot_kernel_inc1by2ILb1ELi1024ELi32ELb1EdPKfdEviT4_llS2_lliPT5_PT3_
                                        ; -- End function
	.section	.AMDGPU.csdata,"",@progbits
; Kernel info:
; codeLenInByte = 1040
; NumSgprs: 21
; NumVgprs: 12
; ScratchSize: 0
; MemoryBound: 0
; FloatMode: 240
; IeeeMode: 1
; LDSByteSize: 256 bytes/workgroup (compile time only)
; SGPRBlocks: 2
; VGPRBlocks: 1
; NumSGPRsForWavesPerEU: 21
; NumVGPRsForWavesPerEU: 12
; Occupancy: 16
; WaveLimiterHint : 0
; COMPUTE_PGM_RSRC2:SCRATCH_EN: 0
; COMPUTE_PGM_RSRC2:USER_SGPR: 14
; COMPUTE_PGM_RSRC2:TRAP_HANDLER: 0
; COMPUTE_PGM_RSRC2:TGID_X_EN: 1
; COMPUTE_PGM_RSRC2:TGID_Y_EN: 0
; COMPUTE_PGM_RSRC2:TGID_Z_EN: 1
; COMPUTE_PGM_RSRC2:TIDIG_COMP_CNT: 0
	.section	.text._ZL18rocblas_dot_kernelIiLb1ELi1024ELi32ELb1EdPKfdEviT5_lT_lS2_lS3_liPT6_PT4_,"axG",@progbits,_ZL18rocblas_dot_kernelIiLb1ELi1024ELi32ELb1EdPKfdEviT5_lT_lS2_lS3_liPT6_PT4_,comdat
	.globl	_ZL18rocblas_dot_kernelIiLb1ELi1024ELi32ELb1EdPKfdEviT5_lT_lS2_lS3_liPT6_PT4_ ; -- Begin function _ZL18rocblas_dot_kernelIiLb1ELi1024ELi32ELb1EdPKfdEviT5_lT_lS2_lS3_liPT6_PT4_
	.p2align	8
	.type	_ZL18rocblas_dot_kernelIiLb1ELi1024ELi32ELb1EdPKfdEviT5_lT_lS2_lS3_liPT6_PT4_,@function
_ZL18rocblas_dot_kernelIiLb1ELi1024ELi32ELb1EdPKfdEviT5_lT_lS2_lS3_liPT6_PT4_: ; @_ZL18rocblas_dot_kernelIiLb1ELi1024ELi32ELb1EdPKfdEviT5_lT_lS2_lS3_liPT6_PT4_
; %bb.0:
	s_clause 0x1
	s_load_b32 s10, s[0:1], 0x0
	s_load_b64 s[2:3], s[0:1], 0x58
	v_mov_b32_e32 v1, 0
	v_mov_b32_e32 v2, 0
	s_mov_b32 s8, s15
	s_mov_b32 s9, 0
	s_mov_b32 s11, exec_lo
	s_waitcnt lgkmcnt(0)
	v_cmpx_gt_i32_e64 s10, v0
	s_cbranch_execz .LBB569_4
; %bb.1:
	s_clause 0x6
	s_load_b32 s20, s[0:1], 0x60
	s_load_b128 s[4:7], s[0:1], 0x20
	s_load_b32 s22, s[0:1], 0x18
	s_load_b128 s[12:15], s[0:1], 0x8
	s_load_b64 s[16:17], s[0:1], 0x40
	s_load_b32 s23, s[0:1], 0x38
	s_load_b64 s[18:19], s[0:1], 0x30
	s_waitcnt lgkmcnt(0)
	s_lshl_b32 s1, s20, 10
	s_mul_i32 s0, s5, s8
	v_mad_i64_i32 v[1:2], null, s22, v0, 0
	s_mul_hi_u32 s5, s4, s8
	s_mul_i32 s4, s4, s8
	v_mad_i64_i32 v[5:6], null, s23, v0, 0
	s_add_i32 s5, s5, s0
	s_lshl_b64 s[14:15], s[14:15], 2
	s_delay_alu instid0(VALU_DEP_2)
	v_lshlrev_b64 v[1:2], 2, v[1:2]
	s_lshl_b64 s[4:5], s[4:5], 2
	s_add_u32 s0, s12, s14
	s_addc_u32 s12, s13, s15
	s_mul_i32 s17, s17, s8
	s_mul_hi_u32 s24, s16, s8
	s_add_u32 s0, s0, s4
	s_mul_i32 s16, s16, s8
	s_mul_hi_i32 s21, s22, s1
	s_mul_i32 s20, s22, s1
	s_addc_u32 s12, s12, s5
	s_add_i32 s17, s24, s17
	v_add_co_u32 v3, vcc_lo, s0, v1
	s_lshl_b64 s[14:15], s[18:19], 2
	v_lshlrev_b64 v[5:6], 2, v[5:6]
	s_lshl_b64 s[4:5], s[20:21], 2
	v_add_co_ci_u32_e32 v4, vcc_lo, s12, v2, vcc_lo
	s_lshl_b64 s[12:13], s[16:17], 2
	s_add_u32 s0, s6, s14
	s_addc_u32 s6, s7, s15
	s_add_u32 s0, s0, s12
	s_addc_u32 s12, s6, s13
	v_add_co_u32 v5, vcc_lo, s0, v5
	v_mov_b32_e32 v1, 0
	v_or_b32_e32 v7, s1, v0
	v_mov_b32_e32 v2, 0
	v_add_co_ci_u32_e32 v6, vcc_lo, s12, v6, vcc_lo
	s_mul_hi_i32 s7, s23, s1
	s_mul_i32 s6, s23, s1
	s_mov_b32 s12, s9
	s_lshl_b64 s[6:7], s[6:7], 2
	s_mov_b32 s13, s9
	.p2align	6
.LBB569_2:                              ; =>This Inner Loop Header: Depth=1
	global_load_b32 v8, v[5:6], off
	global_load_b32 v10, v[3:4], off
	s_add_i32 s14, s13, 1
	v_cmp_le_i32_e32 vcc_lo, s10, v7
	v_add_co_u32 v3, s0, v3, s4
	s_cmp_gt_u32 s13, 30
	v_add_co_ci_u32_e64 v4, s0, s5, v4, s0
	s_cselect_b32 s13, -1, 0
	v_add_co_u32 v5, s0, v5, s6
	s_or_b32 s13, s13, vcc_lo
	v_add_nc_u32_e32 v7, s1, v7
	v_add_co_ci_u32_e64 v6, vcc_lo, s7, v6, s0
	s_and_b32 s0, exec_lo, s13
	s_mov_b32 s13, s14
	s_or_b32 s12, s0, s12
	s_waitcnt vmcnt(1)
	v_cvt_f64_f32_e32 v[8:9], v8
	s_waitcnt vmcnt(0)
	v_cvt_f64_f32_e32 v[10:11], v10
	s_delay_alu instid0(VALU_DEP_1)
	v_fma_f64 v[1:2], v[8:9], v[10:11], v[1:2]
	s_and_not1_b32 exec_lo, exec_lo, s12
	s_cbranch_execnz .LBB569_2
; %bb.3:
	s_or_b32 exec_lo, exec_lo, s12
.LBB569_4:
	s_delay_alu instid0(SALU_CYCLE_1) | instskip(SKIP_2) | instid1(VALU_DEP_2)
	s_or_b32 exec_lo, exec_lo, s11
	v_and_b32_e32 v11, 31, v0
	v_cmp_gt_u32_e32 vcc_lo, 32, v0
	v_lshlrev_b32_e32 v5, 3, v11
	s_and_saveexec_b32 s0, vcc_lo
	s_cbranch_execz .LBB569_6
; %bb.5:
	v_mov_b32_e32 v3, 0
	s_delay_alu instid0(VALU_DEP_1)
	v_mov_b32_e32 v4, v3
	ds_store_b64 v5, v[3:4]
.LBB569_6:
	s_or_b32 exec_lo, exec_lo, s0
	v_mbcnt_lo_u32_b32 v10, -1, 0
	s_mov_b32 s1, exec_lo
	s_waitcnt lgkmcnt(0)
	s_barrier
	buffer_gl0_inv
	v_cmp_gt_u32_e64 s0, 16, v10
	s_delay_alu instid0(VALU_DEP_1) | instskip(SKIP_1) | instid1(VALU_DEP_2)
	v_cndmask_b32_e64 v3, 0, 1, s0
	v_cmp_gt_u32_e64 s0, 24, v10
	v_lshlrev_b32_e32 v3, 4, v3
	s_delay_alu instid0(VALU_DEP_1)
	v_add_lshl_u32 v6, v3, v10, 2
	ds_bpermute_b32 v3, v6, v1
	ds_bpermute_b32 v4, v6, v2
	s_waitcnt lgkmcnt(0)
	v_add_f64 v[1:2], v[1:2], v[3:4]
	v_cndmask_b32_e64 v3, 0, 1, s0
	v_cmp_gt_u32_e64 s0, 28, v10
	s_delay_alu instid0(VALU_DEP_2) | instskip(NEXT) | instid1(VALU_DEP_1)
	v_lshlrev_b32_e32 v3, 3, v3
	v_add_lshl_u32 v7, v3, v10, 2
	ds_bpermute_b32 v3, v7, v1
	ds_bpermute_b32 v4, v7, v2
	s_waitcnt lgkmcnt(0)
	v_add_f64 v[1:2], v[1:2], v[3:4]
	v_cndmask_b32_e64 v3, 0, 1, s0
	v_cmp_gt_u32_e64 s0, 30, v10
	s_delay_alu instid0(VALU_DEP_2) | instskip(NEXT) | instid1(VALU_DEP_1)
	v_lshlrev_b32_e32 v3, 2, v3
	v_add_lshl_u32 v8, v3, v10, 2
	ds_bpermute_b32 v3, v8, v1
	ds_bpermute_b32 v4, v8, v2
	s_waitcnt lgkmcnt(0)
	v_add_f64 v[1:2], v[1:2], v[3:4]
	v_cndmask_b32_e64 v3, 0, 1, s0
	v_cmp_ne_u32_e64 s0, 31, v10
	s_delay_alu instid0(VALU_DEP_2) | instskip(NEXT) | instid1(VALU_DEP_1)
	v_lshlrev_b32_e32 v3, 1, v3
	v_add_lshl_u32 v9, v3, v10, 2
	ds_bpermute_b32 v3, v9, v1
	ds_bpermute_b32 v4, v9, v2
	s_waitcnt lgkmcnt(0)
	v_add_f64 v[1:2], v[1:2], v[3:4]
	v_add_co_ci_u32_e64 v3, s0, 0, v10, s0
	s_delay_alu instid0(VALU_DEP_1)
	v_lshlrev_b32_e32 v10, 2, v3
	ds_bpermute_b32 v3, v10, v1
	ds_bpermute_b32 v4, v10, v2
	v_cmpx_eq_u32_e32 0, v11
	s_cbranch_execz .LBB569_8
; %bb.7:
	s_waitcnt lgkmcnt(0)
	v_add_f64 v[1:2], v[1:2], v[3:4]
	v_lshrrev_b32_e32 v3, 2, v0
	s_delay_alu instid0(VALU_DEP_1)
	v_and_b32_e32 v3, 0xf8, v3
	ds_store_b64 v3, v[1:2]
.LBB569_8:
	s_or_b32 exec_lo, exec_lo, s1
	v_mov_b32_e32 v1, 0
	v_mov_b32_e32 v2, 0
	s_waitcnt lgkmcnt(0)
	s_barrier
	buffer_gl0_inv
	s_and_saveexec_b32 s0, vcc_lo
	s_cbranch_execz .LBB569_10
; %bb.9:
	ds_load_b64 v[1:2], v5
.LBB569_10:
	s_or_b32 exec_lo, exec_lo, s0
	s_and_saveexec_b32 s0, vcc_lo
	s_cbranch_execz .LBB569_12
; %bb.11:
	s_waitcnt lgkmcnt(0)
	ds_bpermute_b32 v3, v6, v1
	ds_bpermute_b32 v4, v6, v2
	s_waitcnt lgkmcnt(0)
	v_add_f64 v[1:2], v[1:2], v[3:4]
	ds_bpermute_b32 v3, v7, v1
	ds_bpermute_b32 v4, v7, v2
	s_waitcnt lgkmcnt(0)
	v_add_f64 v[1:2], v[1:2], v[3:4]
	;; [unrolled: 4-line block ×5, first 2 shown]
.LBB569_12:
	s_or_b32 exec_lo, exec_lo, s0
	s_delay_alu instid0(SALU_CYCLE_1)
	s_mov_b32 s0, exec_lo
	v_cmpx_eq_u32_e32 0, v0
	s_cbranch_execz .LBB569_14
; %bb.13:
	s_lshl_b64 s[0:1], s[8:9], 3
	v_mov_b32_e32 v0, 0
	s_add_u32 s0, s2, s0
	s_addc_u32 s1, s3, s1
	s_waitcnt lgkmcnt(0)
	global_store_b64 v0, v[1:2], s[0:1]
.LBB569_14:
	s_nop 0
	s_sendmsg sendmsg(MSG_DEALLOC_VGPRS)
	s_endpgm
	.section	.rodata,"a",@progbits
	.p2align	6, 0x0
	.amdhsa_kernel _ZL18rocblas_dot_kernelIiLb1ELi1024ELi32ELb1EdPKfdEviT5_lT_lS2_lS3_liPT6_PT4_
		.amdhsa_group_segment_fixed_size 256
		.amdhsa_private_segment_fixed_size 0
		.amdhsa_kernarg_size 352
		.amdhsa_user_sgpr_count 14
		.amdhsa_user_sgpr_dispatch_ptr 0
		.amdhsa_user_sgpr_queue_ptr 0
		.amdhsa_user_sgpr_kernarg_segment_ptr 1
		.amdhsa_user_sgpr_dispatch_id 0
		.amdhsa_user_sgpr_private_segment_size 0
		.amdhsa_wavefront_size32 1
		.amdhsa_uses_dynamic_stack 0
		.amdhsa_enable_private_segment 0
		.amdhsa_system_sgpr_workgroup_id_x 1
		.amdhsa_system_sgpr_workgroup_id_y 0
		.amdhsa_system_sgpr_workgroup_id_z 1
		.amdhsa_system_sgpr_workgroup_info 0
		.amdhsa_system_vgpr_workitem_id 0
		.amdhsa_next_free_vgpr 12
		.amdhsa_next_free_sgpr 25
		.amdhsa_reserve_vcc 1
		.amdhsa_float_round_mode_32 0
		.amdhsa_float_round_mode_16_64 0
		.amdhsa_float_denorm_mode_32 3
		.amdhsa_float_denorm_mode_16_64 3
		.amdhsa_dx10_clamp 1
		.amdhsa_ieee_mode 1
		.amdhsa_fp16_overflow 0
		.amdhsa_workgroup_processor_mode 1
		.amdhsa_memory_ordered 1
		.amdhsa_forward_progress 0
		.amdhsa_shared_vgpr_count 0
		.amdhsa_exception_fp_ieee_invalid_op 0
		.amdhsa_exception_fp_denorm_src 0
		.amdhsa_exception_fp_ieee_div_zero 0
		.amdhsa_exception_fp_ieee_overflow 0
		.amdhsa_exception_fp_ieee_underflow 0
		.amdhsa_exception_fp_ieee_inexact 0
		.amdhsa_exception_int_div_zero 0
	.end_amdhsa_kernel
	.section	.text._ZL18rocblas_dot_kernelIiLb1ELi1024ELi32ELb1EdPKfdEviT5_lT_lS2_lS3_liPT6_PT4_,"axG",@progbits,_ZL18rocblas_dot_kernelIiLb1ELi1024ELi32ELb1EdPKfdEviT5_lT_lS2_lS3_liPT6_PT4_,comdat
.Lfunc_end569:
	.size	_ZL18rocblas_dot_kernelIiLb1ELi1024ELi32ELb1EdPKfdEviT5_lT_lS2_lS3_liPT6_PT4_, .Lfunc_end569-_ZL18rocblas_dot_kernelIiLb1ELi1024ELi32ELb1EdPKfdEviT5_lT_lS2_lS3_liPT6_PT4_
                                        ; -- End function
	.section	.AMDGPU.csdata,"",@progbits
; Kernel info:
; codeLenInByte = 1100
; NumSgprs: 27
; NumVgprs: 12
; ScratchSize: 0
; MemoryBound: 0
; FloatMode: 240
; IeeeMode: 1
; LDSByteSize: 256 bytes/workgroup (compile time only)
; SGPRBlocks: 3
; VGPRBlocks: 1
; NumSGPRsForWavesPerEU: 27
; NumVGPRsForWavesPerEU: 12
; Occupancy: 16
; WaveLimiterHint : 0
; COMPUTE_PGM_RSRC2:SCRATCH_EN: 0
; COMPUTE_PGM_RSRC2:USER_SGPR: 14
; COMPUTE_PGM_RSRC2:TRAP_HANDLER: 0
; COMPUTE_PGM_RSRC2:TGID_X_EN: 1
; COMPUTE_PGM_RSRC2:TGID_Y_EN: 0
; COMPUTE_PGM_RSRC2:TGID_Z_EN: 1
; COMPUTE_PGM_RSRC2:TIDIG_COMP_CNT: 0
	.section	.text._ZL24rocblas_dot_kernel_magsqIiLb1ELi1024ELi32ELb1EdPKfdEviT5_lT_liPT6_PT4_,"axG",@progbits,_ZL24rocblas_dot_kernel_magsqIiLb1ELi1024ELi32ELb1EdPKfdEviT5_lT_liPT6_PT4_,comdat
	.globl	_ZL24rocblas_dot_kernel_magsqIiLb1ELi1024ELi32ELb1EdPKfdEviT5_lT_liPT6_PT4_ ; -- Begin function _ZL24rocblas_dot_kernel_magsqIiLb1ELi1024ELi32ELb1EdPKfdEviT5_lT_liPT6_PT4_
	.p2align	8
	.type	_ZL24rocblas_dot_kernel_magsqIiLb1ELi1024ELi32ELb1EdPKfdEviT5_lT_liPT6_PT4_,@function
_ZL24rocblas_dot_kernel_magsqIiLb1ELi1024ELi32ELb1EdPKfdEviT5_lT_liPT6_PT4_: ; @_ZL24rocblas_dot_kernel_magsqIiLb1ELi1024ELi32ELb1EdPKfdEviT5_lT_liPT6_PT4_
; %bb.0:
	s_clause 0x1
	s_load_b32 s8, s[0:1], 0x0
	s_load_b64 s[2:3], s[0:1], 0x38
	v_mov_b32_e32 v1, 0
	v_mov_b32_e32 v2, 0
	s_mov_b32 s4, s15
	s_mov_b32 s5, 0
	s_mov_b32 s9, exec_lo
	s_waitcnt lgkmcnt(0)
	v_cmpx_gt_i32_e64 s8, v0
	s_cbranch_execz .LBB570_4
; %bb.1:
	s_clause 0x3
	s_load_b32 s10, s[0:1], 0x40
	s_load_b64 s[6:7], s[0:1], 0x20
	s_load_b32 s16, s[0:1], 0x18
	s_load_b128 s[12:15], s[0:1], 0x8
	v_mov_b32_e32 v1, 0
	v_mov_b32_e32 v2, 0
	s_waitcnt lgkmcnt(0)
	s_lshl_b32 s1, s10, 10
	s_mul_i32 s0, s7, s4
	v_mad_i64_i32 v[3:4], null, s16, v0, 0
	s_mul_hi_u32 s7, s6, s4
	s_mul_i32 s6, s6, s4
	s_add_i32 s7, s7, s0
	s_lshl_b64 s[10:11], s[14:15], 2
	s_lshl_b64 s[6:7], s[6:7], 2
	s_add_u32 s0, s12, s10
	s_delay_alu instid0(VALU_DEP_1)
	v_lshlrev_b64 v[3:4], 2, v[3:4]
	s_addc_u32 s10, s13, s11
	s_add_u32 s0, s0, s6
	s_addc_u32 s6, s10, s7
	v_or_b32_e32 v5, s1, v0
	s_mul_hi_i32 s15, s16, s1
	v_add_co_u32 v3, vcc_lo, s0, v3
	v_add_co_ci_u32_e32 v4, vcc_lo, s6, v4, vcc_lo
	s_mul_i32 s14, s16, s1
	s_mov_b32 s10, s5
	s_lshl_b64 s[6:7], s[14:15], 2
	s_mov_b32 s11, s5
	.p2align	6
.LBB570_2:                              ; =>This Inner Loop Header: Depth=1
	global_load_b32 v6, v[3:4], off
	s_add_i32 s12, s11, 1
	v_cmp_le_i32_e32 vcc_lo, s8, v5
	s_cmp_gt_u32 s11, 30
	v_add_co_u32 v3, s0, v3, s6
	s_cselect_b32 s11, -1, 0
	v_add_nc_u32_e32 v5, s1, v5
	s_or_b32 s11, s11, vcc_lo
	v_add_co_ci_u32_e64 v4, vcc_lo, s7, v4, s0
	s_and_b32 s0, exec_lo, s11
	s_mov_b32 s11, s12
	s_or_b32 s10, s0, s10
	s_waitcnt vmcnt(0)
	v_cvt_f64_f32_e32 v[6:7], v6
	s_delay_alu instid0(VALU_DEP_1)
	v_fma_f64 v[1:2], v[6:7], v[6:7], v[1:2]
	s_and_not1_b32 exec_lo, exec_lo, s10
	s_cbranch_execnz .LBB570_2
; %bb.3:
	s_or_b32 exec_lo, exec_lo, s10
.LBB570_4:
	s_delay_alu instid0(SALU_CYCLE_1) | instskip(SKIP_2) | instid1(VALU_DEP_2)
	s_or_b32 exec_lo, exec_lo, s9
	v_and_b32_e32 v11, 31, v0
	v_cmp_gt_u32_e32 vcc_lo, 32, v0
	v_lshlrev_b32_e32 v5, 3, v11
	s_and_saveexec_b32 s0, vcc_lo
	s_cbranch_execz .LBB570_6
; %bb.5:
	v_mov_b32_e32 v3, 0
	s_delay_alu instid0(VALU_DEP_1)
	v_mov_b32_e32 v4, v3
	ds_store_b64 v5, v[3:4]
.LBB570_6:
	s_or_b32 exec_lo, exec_lo, s0
	v_mbcnt_lo_u32_b32 v10, -1, 0
	s_mov_b32 s1, exec_lo
	s_waitcnt lgkmcnt(0)
	s_barrier
	buffer_gl0_inv
	v_cmp_gt_u32_e64 s0, 16, v10
	s_delay_alu instid0(VALU_DEP_1) | instskip(SKIP_1) | instid1(VALU_DEP_2)
	v_cndmask_b32_e64 v3, 0, 1, s0
	v_cmp_gt_u32_e64 s0, 24, v10
	v_lshlrev_b32_e32 v3, 4, v3
	s_delay_alu instid0(VALU_DEP_1)
	v_add_lshl_u32 v6, v3, v10, 2
	ds_bpermute_b32 v3, v6, v1
	ds_bpermute_b32 v4, v6, v2
	s_waitcnt lgkmcnt(0)
	v_add_f64 v[1:2], v[1:2], v[3:4]
	v_cndmask_b32_e64 v3, 0, 1, s0
	v_cmp_gt_u32_e64 s0, 28, v10
	s_delay_alu instid0(VALU_DEP_2) | instskip(NEXT) | instid1(VALU_DEP_1)
	v_lshlrev_b32_e32 v3, 3, v3
	v_add_lshl_u32 v7, v3, v10, 2
	ds_bpermute_b32 v3, v7, v1
	ds_bpermute_b32 v4, v7, v2
	s_waitcnt lgkmcnt(0)
	v_add_f64 v[1:2], v[1:2], v[3:4]
	v_cndmask_b32_e64 v3, 0, 1, s0
	v_cmp_gt_u32_e64 s0, 30, v10
	s_delay_alu instid0(VALU_DEP_2) | instskip(NEXT) | instid1(VALU_DEP_1)
	v_lshlrev_b32_e32 v3, 2, v3
	v_add_lshl_u32 v8, v3, v10, 2
	ds_bpermute_b32 v3, v8, v1
	ds_bpermute_b32 v4, v8, v2
	s_waitcnt lgkmcnt(0)
	v_add_f64 v[1:2], v[1:2], v[3:4]
	v_cndmask_b32_e64 v3, 0, 1, s0
	v_cmp_ne_u32_e64 s0, 31, v10
	s_delay_alu instid0(VALU_DEP_2) | instskip(NEXT) | instid1(VALU_DEP_1)
	v_lshlrev_b32_e32 v3, 1, v3
	v_add_lshl_u32 v9, v3, v10, 2
	ds_bpermute_b32 v3, v9, v1
	ds_bpermute_b32 v4, v9, v2
	s_waitcnt lgkmcnt(0)
	v_add_f64 v[1:2], v[1:2], v[3:4]
	v_add_co_ci_u32_e64 v3, s0, 0, v10, s0
	s_delay_alu instid0(VALU_DEP_1)
	v_lshlrev_b32_e32 v10, 2, v3
	ds_bpermute_b32 v3, v10, v1
	ds_bpermute_b32 v4, v10, v2
	v_cmpx_eq_u32_e32 0, v11
	s_cbranch_execz .LBB570_8
; %bb.7:
	s_waitcnt lgkmcnt(0)
	v_add_f64 v[1:2], v[1:2], v[3:4]
	v_lshrrev_b32_e32 v3, 2, v0
	s_delay_alu instid0(VALU_DEP_1)
	v_and_b32_e32 v3, 0xf8, v3
	ds_store_b64 v3, v[1:2]
.LBB570_8:
	s_or_b32 exec_lo, exec_lo, s1
	v_mov_b32_e32 v1, 0
	v_mov_b32_e32 v2, 0
	s_waitcnt lgkmcnt(0)
	s_barrier
	buffer_gl0_inv
	s_and_saveexec_b32 s0, vcc_lo
	s_cbranch_execz .LBB570_10
; %bb.9:
	ds_load_b64 v[1:2], v5
.LBB570_10:
	s_or_b32 exec_lo, exec_lo, s0
	s_and_saveexec_b32 s0, vcc_lo
	s_cbranch_execz .LBB570_12
; %bb.11:
	s_waitcnt lgkmcnt(0)
	ds_bpermute_b32 v3, v6, v1
	ds_bpermute_b32 v4, v6, v2
	s_waitcnt lgkmcnt(0)
	v_add_f64 v[1:2], v[1:2], v[3:4]
	ds_bpermute_b32 v3, v7, v1
	ds_bpermute_b32 v4, v7, v2
	s_waitcnt lgkmcnt(0)
	v_add_f64 v[1:2], v[1:2], v[3:4]
	;; [unrolled: 4-line block ×5, first 2 shown]
.LBB570_12:
	s_or_b32 exec_lo, exec_lo, s0
	s_delay_alu instid0(SALU_CYCLE_1)
	s_mov_b32 s0, exec_lo
	v_cmpx_eq_u32_e32 0, v0
	s_cbranch_execz .LBB570_14
; %bb.13:
	s_lshl_b64 s[0:1], s[4:5], 3
	v_mov_b32_e32 v0, 0
	s_add_u32 s0, s2, s0
	s_addc_u32 s1, s3, s1
	s_waitcnt lgkmcnt(0)
	global_store_b64 v0, v[1:2], s[0:1]
.LBB570_14:
	s_nop 0
	s_sendmsg sendmsg(MSG_DEALLOC_VGPRS)
	s_endpgm
	.section	.rodata,"a",@progbits
	.p2align	6, 0x0
	.amdhsa_kernel _ZL24rocblas_dot_kernel_magsqIiLb1ELi1024ELi32ELb1EdPKfdEviT5_lT_liPT6_PT4_
		.amdhsa_group_segment_fixed_size 256
		.amdhsa_private_segment_fixed_size 0
		.amdhsa_kernarg_size 320
		.amdhsa_user_sgpr_count 14
		.amdhsa_user_sgpr_dispatch_ptr 0
		.amdhsa_user_sgpr_queue_ptr 0
		.amdhsa_user_sgpr_kernarg_segment_ptr 1
		.amdhsa_user_sgpr_dispatch_id 0
		.amdhsa_user_sgpr_private_segment_size 0
		.amdhsa_wavefront_size32 1
		.amdhsa_uses_dynamic_stack 0
		.amdhsa_enable_private_segment 0
		.amdhsa_system_sgpr_workgroup_id_x 1
		.amdhsa_system_sgpr_workgroup_id_y 0
		.amdhsa_system_sgpr_workgroup_id_z 1
		.amdhsa_system_sgpr_workgroup_info 0
		.amdhsa_system_vgpr_workitem_id 0
		.amdhsa_next_free_vgpr 12
		.amdhsa_next_free_sgpr 17
		.amdhsa_reserve_vcc 1
		.amdhsa_float_round_mode_32 0
		.amdhsa_float_round_mode_16_64 0
		.amdhsa_float_denorm_mode_32 3
		.amdhsa_float_denorm_mode_16_64 3
		.amdhsa_dx10_clamp 1
		.amdhsa_ieee_mode 1
		.amdhsa_fp16_overflow 0
		.amdhsa_workgroup_processor_mode 1
		.amdhsa_memory_ordered 1
		.amdhsa_forward_progress 0
		.amdhsa_shared_vgpr_count 0
		.amdhsa_exception_fp_ieee_invalid_op 0
		.amdhsa_exception_fp_denorm_src 0
		.amdhsa_exception_fp_ieee_div_zero 0
		.amdhsa_exception_fp_ieee_overflow 0
		.amdhsa_exception_fp_ieee_underflow 0
		.amdhsa_exception_fp_ieee_inexact 0
		.amdhsa_exception_int_div_zero 0
	.end_amdhsa_kernel
	.section	.text._ZL24rocblas_dot_kernel_magsqIiLb1ELi1024ELi32ELb1EdPKfdEviT5_lT_liPT6_PT4_,"axG",@progbits,_ZL24rocblas_dot_kernel_magsqIiLb1ELi1024ELi32ELb1EdPKfdEviT5_lT_liPT6_PT4_,comdat
.Lfunc_end570:
	.size	_ZL24rocblas_dot_kernel_magsqIiLb1ELi1024ELi32ELb1EdPKfdEviT5_lT_liPT6_PT4_, .Lfunc_end570-_ZL24rocblas_dot_kernel_magsqIiLb1ELi1024ELi32ELb1EdPKfdEviT5_lT_liPT6_PT4_
                                        ; -- End function
	.section	.AMDGPU.csdata,"",@progbits
; Kernel info:
; codeLenInByte = 964
; NumSgprs: 19
; NumVgprs: 12
; ScratchSize: 0
; MemoryBound: 0
; FloatMode: 240
; IeeeMode: 1
; LDSByteSize: 256 bytes/workgroup (compile time only)
; SGPRBlocks: 2
; VGPRBlocks: 1
; NumSGPRsForWavesPerEU: 19
; NumVGPRsForWavesPerEU: 12
; Occupancy: 16
; WaveLimiterHint : 0
; COMPUTE_PGM_RSRC2:SCRATCH_EN: 0
; COMPUTE_PGM_RSRC2:USER_SGPR: 14
; COMPUTE_PGM_RSRC2:TRAP_HANDLER: 0
; COMPUTE_PGM_RSRC2:TGID_X_EN: 1
; COMPUTE_PGM_RSRC2:TGID_Y_EN: 0
; COMPUTE_PGM_RSRC2:TGID_Z_EN: 1
; COMPUTE_PGM_RSRC2:TIDIG_COMP_CNT: 0
	.section	.text._ZL23rocblas_dot_kernel_inc1ILb0ELi512ELi2ELb1EdPKfdEviT4_llS2_lliPT5_PT3_,"axG",@progbits,_ZL23rocblas_dot_kernel_inc1ILb0ELi512ELi2ELb1EdPKfdEviT4_llS2_lliPT5_PT3_,comdat
	.globl	_ZL23rocblas_dot_kernel_inc1ILb0ELi512ELi2ELb1EdPKfdEviT4_llS2_lliPT5_PT3_ ; -- Begin function _ZL23rocblas_dot_kernel_inc1ILb0ELi512ELi2ELb1EdPKfdEviT4_llS2_lliPT5_PT3_
	.p2align	8
	.type	_ZL23rocblas_dot_kernel_inc1ILb0ELi512ELi2ELb1EdPKfdEviT4_llS2_lliPT5_PT3_,@function
_ZL23rocblas_dot_kernel_inc1ILb0ELi512ELi2ELb1EdPKfdEviT4_llS2_lliPT5_PT3_: ; @_ZL23rocblas_dot_kernel_inc1ILb0ELi512ELi2ELb1EdPKfdEviT4_llS2_lliPT5_PT3_
; %bb.0:
	s_clause 0x1
	s_load_b32 s10, s[0:1], 0x0
	s_load_b32 s3, s[0:1], 0x50
	v_mov_b32_e32 v1, 0
	v_lshl_or_b32 v3, s14, 9, v0
	v_mov_b32_e32 v2, 0
	s_mov_b32 s8, s15
	s_mov_b32 s9, 0
	s_mov_b32 s2, exec_lo
	s_waitcnt lgkmcnt(0)
	v_cmpx_gt_i32_e64 s10, v3
	s_cbranch_execz .LBB571_4
; %bb.1:
	s_clause 0x3
	s_load_b128 s[16:19], s[0:1], 0x10
	s_load_b128 s[4:7], s[0:1], 0x28
	s_load_b64 s[12:13], s[0:1], 0x8
	s_load_b64 s[20:21], s[0:1], 0x20
	v_ashrrev_i32_e32 v4, 31, v3
	s_delay_alu instid0(VALU_DEP_1)
	v_lshlrev_b64 v[1:2], 2, v[3:4]
	s_waitcnt lgkmcnt(0)
	s_mul_i32 s11, s8, s19
	s_mul_hi_u32 s15, s8, s18
	s_mul_i32 s18, s8, s18
	s_add_i32 s19, s15, s11
	s_mul_i32 s11, s8, s7
	s_lshl_b64 s[18:19], s[18:19], 2
	s_mul_hi_u32 s15, s8, s6
	s_add_u32 s7, s12, s18
	s_addc_u32 s18, s13, s19
	s_lshl_b64 s[12:13], s[16:17], 2
	s_mul_i32 s16, s8, s6
	s_add_u32 s6, s7, s12
	s_addc_u32 s7, s18, s13
	s_add_i32 s17, s15, s11
	s_delay_alu instid0(SALU_CYCLE_1) | instskip(NEXT) | instid1(SALU_CYCLE_1)
	s_lshl_b64 s[12:13], s[16:17], 2
	s_add_u32 s11, s20, s12
	s_addc_u32 s12, s21, s13
	s_lshl_b64 s[4:5], s[4:5], 2
	s_delay_alu instid0(SALU_CYCLE_1)
	s_add_u32 s4, s11, s4
	s_addc_u32 s5, s12, s5
	v_add_co_u32 v3, vcc_lo, s4, v1
	v_add_co_ci_u32_e32 v4, vcc_lo, s5, v2, vcc_lo
	v_add_co_u32 v1, vcc_lo, s6, v1
	v_add_co_ci_u32_e32 v2, vcc_lo, s7, v2, vcc_lo
	global_load_b32 v3, v[3:4], off
	global_load_b32 v4, v[1:2], off
	s_add_i32 s11, s14, s3
	s_waitcnt vmcnt(1)
	v_cvt_f64_f32_e32 v[1:2], v3
	s_waitcnt vmcnt(0)
	v_cvt_f64_f32_e32 v[3:4], v4
	s_delay_alu instid0(VALU_DEP_1) | instskip(SKIP_1) | instid1(VALU_DEP_1)
	v_fma_f64 v[1:2], v[1:2], v[3:4], 0
	v_lshl_or_b32 v3, s11, 9, v0
	v_cmp_gt_i32_e32 vcc_lo, s10, v3
	s_and_saveexec_b32 s10, vcc_lo
	s_cbranch_execz .LBB571_3
; %bb.2:
	v_ashrrev_i32_e32 v4, 31, v3
	s_delay_alu instid0(VALU_DEP_1) | instskip(NEXT) | instid1(VALU_DEP_1)
	v_lshlrev_b64 v[3:4], 2, v[3:4]
	v_add_co_u32 v5, vcc_lo, s4, v3
	s_delay_alu instid0(VALU_DEP_2)
	v_add_co_ci_u32_e32 v6, vcc_lo, s5, v4, vcc_lo
	v_add_co_u32 v3, vcc_lo, s6, v3
	v_add_co_ci_u32_e32 v4, vcc_lo, s7, v4, vcc_lo
	global_load_b32 v5, v[5:6], off
	global_load_b32 v6, v[3:4], off
	s_waitcnt vmcnt(1)
	v_cvt_f64_f32_e32 v[3:4], v5
	s_waitcnt vmcnt(0)
	v_cvt_f64_f32_e32 v[5:6], v6
	s_delay_alu instid0(VALU_DEP_1)
	v_fma_f64 v[1:2], v[3:4], v[5:6], v[1:2]
.LBB571_3:
	s_or_b32 exec_lo, exec_lo, s10
.LBB571_4:
	s_delay_alu instid0(SALU_CYCLE_1) | instskip(SKIP_2) | instid1(VALU_DEP_2)
	s_or_b32 exec_lo, exec_lo, s2
	v_and_b32_e32 v10, 31, v0
	v_cmp_gt_u32_e32 vcc_lo, 32, v0
	v_lshlrev_b32_e32 v5, 3, v10
	s_and_saveexec_b32 s2, vcc_lo
	s_cbranch_execz .LBB571_6
; %bb.5:
	v_mov_b32_e32 v3, 0
	s_delay_alu instid0(VALU_DEP_1)
	v_mov_b32_e32 v4, v3
	ds_store_b64 v5, v[3:4]
.LBB571_6:
	s_or_b32 exec_lo, exec_lo, s2
	v_mbcnt_lo_u32_b32 v9, -1, 0
	s_mov_b32 s4, exec_lo
	s_waitcnt lgkmcnt(0)
	s_barrier
	buffer_gl0_inv
	v_cmp_gt_u32_e64 s2, 16, v9
	s_delay_alu instid0(VALU_DEP_1) | instskip(SKIP_1) | instid1(VALU_DEP_2)
	v_cndmask_b32_e64 v3, 0, 1, s2
	v_cmp_gt_u32_e64 s2, 24, v9
	v_lshlrev_b32_e32 v3, 4, v3
	s_delay_alu instid0(VALU_DEP_1)
	v_add_lshl_u32 v4, v3, v9, 2
	ds_bpermute_b32 v3, v4, v1
	ds_bpermute_b32 v4, v4, v2
	s_waitcnt lgkmcnt(0)
	v_add_f64 v[1:2], v[1:2], v[3:4]
	v_cndmask_b32_e64 v3, 0, 1, s2
	v_cmp_gt_u32_e64 s2, 28, v9
	s_delay_alu instid0(VALU_DEP_2) | instskip(NEXT) | instid1(VALU_DEP_1)
	v_lshlrev_b32_e32 v3, 3, v3
	v_add_lshl_u32 v6, v3, v9, 2
	ds_bpermute_b32 v3, v6, v1
	ds_bpermute_b32 v4, v6, v2
	s_waitcnt lgkmcnt(0)
	v_add_f64 v[1:2], v[1:2], v[3:4]
	v_cndmask_b32_e64 v3, 0, 1, s2
	v_cmp_gt_u32_e64 s2, 30, v9
	s_delay_alu instid0(VALU_DEP_2) | instskip(NEXT) | instid1(VALU_DEP_1)
	v_lshlrev_b32_e32 v3, 2, v3
	v_add_lshl_u32 v7, v3, v9, 2
	ds_bpermute_b32 v3, v7, v1
	ds_bpermute_b32 v4, v7, v2
	s_waitcnt lgkmcnt(0)
	v_add_f64 v[1:2], v[1:2], v[3:4]
	v_cndmask_b32_e64 v3, 0, 1, s2
	v_cmp_ne_u32_e64 s2, 31, v9
	s_delay_alu instid0(VALU_DEP_2) | instskip(NEXT) | instid1(VALU_DEP_1)
	v_lshlrev_b32_e32 v3, 1, v3
	v_add_lshl_u32 v8, v3, v9, 2
	ds_bpermute_b32 v3, v8, v1
	ds_bpermute_b32 v4, v8, v2
	s_waitcnt lgkmcnt(0)
	v_add_f64 v[1:2], v[1:2], v[3:4]
	v_add_co_ci_u32_e64 v3, s2, 0, v9, s2
	s_delay_alu instid0(VALU_DEP_1)
	v_lshlrev_b32_e32 v9, 2, v3
	ds_bpermute_b32 v3, v9, v1
	ds_bpermute_b32 v4, v9, v2
	v_cmpx_eq_u32_e32 0, v10
	s_cbranch_execz .LBB571_8
; %bb.7:
	s_waitcnt lgkmcnt(0)
	v_add_f64 v[1:2], v[1:2], v[3:4]
	v_lshrrev_b32_e32 v3, 2, v0
	s_delay_alu instid0(VALU_DEP_1)
	v_and_b32_e32 v3, 0x78, v3
	ds_store_b64 v3, v[1:2]
.LBB571_8:
	s_or_b32 exec_lo, exec_lo, s4
	v_mov_b32_e32 v1, 0
	v_mov_b32_e32 v2, 0
	s_mov_b32 s4, exec_lo
	s_waitcnt lgkmcnt(0)
	s_barrier
	buffer_gl0_inv
	v_cmpx_gt_u32_e32 16, v0
	s_cbranch_execz .LBB571_10
; %bb.9:
	ds_load_b64 v[1:2], v5
.LBB571_10:
	s_or_b32 exec_lo, exec_lo, s4
	s_and_saveexec_b32 s2, vcc_lo
	s_cbranch_execz .LBB571_12
; %bb.11:
	s_waitcnt lgkmcnt(0)
	ds_bpermute_b32 v3, v6, v1
	ds_bpermute_b32 v4, v6, v2
	s_waitcnt lgkmcnt(0)
	v_add_f64 v[1:2], v[1:2], v[3:4]
	ds_bpermute_b32 v3, v7, v1
	ds_bpermute_b32 v4, v7, v2
	s_waitcnt lgkmcnt(0)
	v_add_f64 v[1:2], v[1:2], v[3:4]
	;; [unrolled: 4-line block ×4, first 2 shown]
.LBB571_12:
	s_or_b32 exec_lo, exec_lo, s2
	s_delay_alu instid0(SALU_CYCLE_1)
	s_mov_b32 s2, exec_lo
	v_cmpx_eq_u32_e32 0, v0
	s_cbranch_execz .LBB571_18
; %bb.13:
	s_cmp_lg_u32 s3, 1
	s_cbranch_scc0 .LBB571_15
; %bb.14:
	s_load_b64 s[4:5], s[0:1], 0x40
	s_mul_hi_u32 s7, s3, s8
	s_mul_i32 s6, s3, s8
	s_mov_b32 s15, 0
	s_lshl_b64 s[2:3], s[6:7], 3
	s_waitcnt lgkmcnt(0)
	s_add_u32 s4, s4, s2
	s_addc_u32 s5, s5, s3
	s_lshl_b64 s[2:3], s[14:15], 3
	s_delay_alu instid0(SALU_CYCLE_1)
	s_add_u32 s2, s4, s2
	s_addc_u32 s3, s5, s3
	s_cbranch_execz .LBB571_16
	s_branch .LBB571_17
.LBB571_15:
                                        ; implicit-def: $sgpr2_sgpr3
.LBB571_16:
	s_load_b64 s[0:1], s[0:1], 0x48
	s_lshl_b64 s[2:3], s[8:9], 3
	s_waitcnt lgkmcnt(0)
	s_add_u32 s2, s0, s2
	s_addc_u32 s3, s1, s3
.LBB571_17:
	v_mov_b32_e32 v0, 0
	s_waitcnt lgkmcnt(0)
	global_store_b64 v0, v[1:2], s[2:3]
.LBB571_18:
	s_nop 0
	s_sendmsg sendmsg(MSG_DEALLOC_VGPRS)
	s_endpgm
	.section	.rodata,"a",@progbits
	.p2align	6, 0x0
	.amdhsa_kernel _ZL23rocblas_dot_kernel_inc1ILb0ELi512ELi2ELb1EdPKfdEviT4_llS2_lliPT5_PT3_
		.amdhsa_group_segment_fixed_size 256
		.amdhsa_private_segment_fixed_size 0
		.amdhsa_kernarg_size 336
		.amdhsa_user_sgpr_count 14
		.amdhsa_user_sgpr_dispatch_ptr 0
		.amdhsa_user_sgpr_queue_ptr 0
		.amdhsa_user_sgpr_kernarg_segment_ptr 1
		.amdhsa_user_sgpr_dispatch_id 0
		.amdhsa_user_sgpr_private_segment_size 0
		.amdhsa_wavefront_size32 1
		.amdhsa_uses_dynamic_stack 0
		.amdhsa_enable_private_segment 0
		.amdhsa_system_sgpr_workgroup_id_x 1
		.amdhsa_system_sgpr_workgroup_id_y 0
		.amdhsa_system_sgpr_workgroup_id_z 1
		.amdhsa_system_sgpr_workgroup_info 0
		.amdhsa_system_vgpr_workitem_id 0
		.amdhsa_next_free_vgpr 11
		.amdhsa_next_free_sgpr 22
		.amdhsa_reserve_vcc 1
		.amdhsa_float_round_mode_32 0
		.amdhsa_float_round_mode_16_64 0
		.amdhsa_float_denorm_mode_32 3
		.amdhsa_float_denorm_mode_16_64 3
		.amdhsa_dx10_clamp 1
		.amdhsa_ieee_mode 1
		.amdhsa_fp16_overflow 0
		.amdhsa_workgroup_processor_mode 1
		.amdhsa_memory_ordered 1
		.amdhsa_forward_progress 0
		.amdhsa_shared_vgpr_count 0
		.amdhsa_exception_fp_ieee_invalid_op 0
		.amdhsa_exception_fp_denorm_src 0
		.amdhsa_exception_fp_ieee_div_zero 0
		.amdhsa_exception_fp_ieee_overflow 0
		.amdhsa_exception_fp_ieee_underflow 0
		.amdhsa_exception_fp_ieee_inexact 0
		.amdhsa_exception_int_div_zero 0
	.end_amdhsa_kernel
	.section	.text._ZL23rocblas_dot_kernel_inc1ILb0ELi512ELi2ELb1EdPKfdEviT4_llS2_lliPT5_PT3_,"axG",@progbits,_ZL23rocblas_dot_kernel_inc1ILb0ELi512ELi2ELb1EdPKfdEviT4_llS2_lliPT5_PT3_,comdat
.Lfunc_end571:
	.size	_ZL23rocblas_dot_kernel_inc1ILb0ELi512ELi2ELb1EdPKfdEviT4_llS2_lliPT5_PT3_, .Lfunc_end571-_ZL23rocblas_dot_kernel_inc1ILb0ELi512ELi2ELb1EdPKfdEviT4_llS2_lliPT5_PT3_
                                        ; -- End function
	.section	.AMDGPU.csdata,"",@progbits
; Kernel info:
; codeLenInByte = 1116
; NumSgprs: 24
; NumVgprs: 11
; ScratchSize: 0
; MemoryBound: 0
; FloatMode: 240
; IeeeMode: 1
; LDSByteSize: 256 bytes/workgroup (compile time only)
; SGPRBlocks: 2
; VGPRBlocks: 1
; NumSGPRsForWavesPerEU: 24
; NumVGPRsForWavesPerEU: 11
; Occupancy: 16
; WaveLimiterHint : 0
; COMPUTE_PGM_RSRC2:SCRATCH_EN: 0
; COMPUTE_PGM_RSRC2:USER_SGPR: 14
; COMPUTE_PGM_RSRC2:TRAP_HANDLER: 0
; COMPUTE_PGM_RSRC2:TGID_X_EN: 1
; COMPUTE_PGM_RSRC2:TGID_Y_EN: 0
; COMPUTE_PGM_RSRC2:TGID_Z_EN: 1
; COMPUTE_PGM_RSRC2:TIDIG_COMP_CNT: 0
	.section	.text._ZL18rocblas_dot_kernelIiLb0ELi512ELi2ELb1EdPKfdEviT5_lT_lS2_lS3_liPT6_PT4_,"axG",@progbits,_ZL18rocblas_dot_kernelIiLb0ELi512ELi2ELb1EdPKfdEviT5_lT_lS2_lS3_liPT6_PT4_,comdat
	.globl	_ZL18rocblas_dot_kernelIiLb0ELi512ELi2ELb1EdPKfdEviT5_lT_lS2_lS3_liPT6_PT4_ ; -- Begin function _ZL18rocblas_dot_kernelIiLb0ELi512ELi2ELb1EdPKfdEviT5_lT_lS2_lS3_liPT6_PT4_
	.p2align	8
	.type	_ZL18rocblas_dot_kernelIiLb0ELi512ELi2ELb1EdPKfdEviT5_lT_lS2_lS3_liPT6_PT4_,@function
_ZL18rocblas_dot_kernelIiLb0ELi512ELi2ELb1EdPKfdEviT5_lT_lS2_lS3_liPT6_PT4_: ; @_ZL18rocblas_dot_kernelIiLb0ELi512ELi2ELb1EdPKfdEviT5_lT_lS2_lS3_liPT6_PT4_
; %bb.0:
	s_clause 0x1
	s_load_b32 s10, s[0:1], 0x0
	s_load_b32 s3, s[0:1], 0x60
	v_mov_b32_e32 v1, 0
	v_lshl_or_b32 v3, s14, 9, v0
	v_mov_b32_e32 v2, 0
	s_mov_b32 s8, s15
	s_mov_b32 s9, 0
	s_mov_b32 s2, exec_lo
	s_waitcnt lgkmcnt(0)
	v_cmpx_gt_i32_e64 s10, v3
	s_cbranch_execz .LBB572_4
; %bb.1:
	s_clause 0x5
	s_load_b128 s[4:7], s[0:1], 0x20
	s_load_b64 s[20:21], s[0:1], 0x40
	s_load_b32 s12, s[0:1], 0x38
	s_load_b128 s[16:19], s[0:1], 0x8
	s_load_b32 s11, s[0:1], 0x18
	s_load_b64 s[22:23], s[0:1], 0x30
	s_waitcnt lgkmcnt(0)
	s_mul_i32 s5, s8, s5
	s_mul_hi_u32 s13, s8, s4
	s_mul_i32 s4, s8, s4
	s_add_i32 s5, s13, s5
	v_mad_i64_i32 v[1:2], null, v3, s12, 0
	s_lshl_b64 s[4:5], s[4:5], 2
	s_mul_i32 s15, s8, s21
	s_add_u32 s13, s16, s4
	s_addc_u32 s16, s17, s5
	s_lshl_b64 s[4:5], s[18:19], 2
	s_mul_hi_u32 s21, s8, s20
	v_mad_i64_i32 v[4:5], null, v3, s11, 0
	s_add_u32 s4, s13, s4
	s_mul_i32 s20, s8, s20
	s_addc_u32 s5, s16, s5
	s_add_i32 s21, s21, s15
	v_lshlrev_b64 v[1:2], 2, v[1:2]
	s_lshl_b64 s[16:17], s[20:21], 2
	s_delay_alu instid0(VALU_DEP_2) | instskip(SKIP_3) | instid1(SALU_CYCLE_1)
	v_lshlrev_b64 v[3:4], 2, v[4:5]
	s_add_u32 s13, s6, s16
	s_addc_u32 s15, s7, s17
	s_lshl_b64 s[6:7], s[22:23], 2
	s_add_u32 s6, s13, s6
	s_addc_u32 s7, s15, s7
	v_add_co_u32 v1, vcc_lo, s6, v1
	v_add_co_ci_u32_e32 v2, vcc_lo, s7, v2, vcc_lo
	v_add_co_u32 v3, vcc_lo, s4, v3
	v_add_co_ci_u32_e32 v4, vcc_lo, s5, v4, vcc_lo
	global_load_b32 v1, v[1:2], off
	global_load_b32 v3, v[3:4], off
	s_add_i32 s13, s14, s3
	s_waitcnt vmcnt(1)
	v_cvt_f64_f32_e32 v[1:2], v1
	s_waitcnt vmcnt(0)
	v_cvt_f64_f32_e32 v[3:4], v3
	s_delay_alu instid0(VALU_DEP_1) | instskip(SKIP_1) | instid1(VALU_DEP_1)
	v_fma_f64 v[1:2], v[1:2], v[3:4], 0
	v_lshl_or_b32 v3, s13, 9, v0
	v_cmp_gt_i32_e32 vcc_lo, s10, v3
	s_and_saveexec_b32 s10, vcc_lo
	s_cbranch_execz .LBB572_3
; %bb.2:
	v_mad_i64_i32 v[4:5], null, v3, s12, 0
	v_mad_i64_i32 v[6:7], null, v3, s11, 0
	s_delay_alu instid0(VALU_DEP_2) | instskip(NEXT) | instid1(VALU_DEP_2)
	v_lshlrev_b64 v[3:4], 2, v[4:5]
	v_lshlrev_b64 v[5:6], 2, v[6:7]
	s_delay_alu instid0(VALU_DEP_2) | instskip(NEXT) | instid1(VALU_DEP_3)
	v_add_co_u32 v3, vcc_lo, s6, v3
	v_add_co_ci_u32_e32 v4, vcc_lo, s7, v4, vcc_lo
	s_delay_alu instid0(VALU_DEP_3) | instskip(NEXT) | instid1(VALU_DEP_4)
	v_add_co_u32 v5, vcc_lo, s4, v5
	v_add_co_ci_u32_e32 v6, vcc_lo, s5, v6, vcc_lo
	global_load_b32 v3, v[3:4], off
	global_load_b32 v5, v[5:6], off
	s_waitcnt vmcnt(1)
	v_cvt_f64_f32_e32 v[3:4], v3
	s_waitcnt vmcnt(0)
	v_cvt_f64_f32_e32 v[5:6], v5
	s_delay_alu instid0(VALU_DEP_1)
	v_fma_f64 v[1:2], v[3:4], v[5:6], v[1:2]
.LBB572_3:
	s_or_b32 exec_lo, exec_lo, s10
.LBB572_4:
	s_delay_alu instid0(SALU_CYCLE_1) | instskip(SKIP_2) | instid1(VALU_DEP_2)
	s_or_b32 exec_lo, exec_lo, s2
	v_and_b32_e32 v10, 31, v0
	v_cmp_gt_u32_e32 vcc_lo, 32, v0
	v_lshlrev_b32_e32 v5, 3, v10
	s_and_saveexec_b32 s2, vcc_lo
	s_cbranch_execz .LBB572_6
; %bb.5:
	v_mov_b32_e32 v3, 0
	s_delay_alu instid0(VALU_DEP_1)
	v_mov_b32_e32 v4, v3
	ds_store_b64 v5, v[3:4]
.LBB572_6:
	s_or_b32 exec_lo, exec_lo, s2
	v_mbcnt_lo_u32_b32 v9, -1, 0
	s_mov_b32 s4, exec_lo
	s_waitcnt lgkmcnt(0)
	s_barrier
	buffer_gl0_inv
	v_cmp_gt_u32_e64 s2, 16, v9
	s_delay_alu instid0(VALU_DEP_1) | instskip(SKIP_1) | instid1(VALU_DEP_2)
	v_cndmask_b32_e64 v3, 0, 1, s2
	v_cmp_gt_u32_e64 s2, 24, v9
	v_lshlrev_b32_e32 v3, 4, v3
	s_delay_alu instid0(VALU_DEP_1)
	v_add_lshl_u32 v4, v3, v9, 2
	ds_bpermute_b32 v3, v4, v1
	ds_bpermute_b32 v4, v4, v2
	s_waitcnt lgkmcnt(0)
	v_add_f64 v[1:2], v[1:2], v[3:4]
	v_cndmask_b32_e64 v3, 0, 1, s2
	v_cmp_gt_u32_e64 s2, 28, v9
	s_delay_alu instid0(VALU_DEP_2) | instskip(NEXT) | instid1(VALU_DEP_1)
	v_lshlrev_b32_e32 v3, 3, v3
	v_add_lshl_u32 v6, v3, v9, 2
	ds_bpermute_b32 v3, v6, v1
	ds_bpermute_b32 v4, v6, v2
	s_waitcnt lgkmcnt(0)
	v_add_f64 v[1:2], v[1:2], v[3:4]
	v_cndmask_b32_e64 v3, 0, 1, s2
	v_cmp_gt_u32_e64 s2, 30, v9
	s_delay_alu instid0(VALU_DEP_2) | instskip(NEXT) | instid1(VALU_DEP_1)
	v_lshlrev_b32_e32 v3, 2, v3
	v_add_lshl_u32 v7, v3, v9, 2
	ds_bpermute_b32 v3, v7, v1
	ds_bpermute_b32 v4, v7, v2
	s_waitcnt lgkmcnt(0)
	v_add_f64 v[1:2], v[1:2], v[3:4]
	v_cndmask_b32_e64 v3, 0, 1, s2
	v_cmp_ne_u32_e64 s2, 31, v9
	s_delay_alu instid0(VALU_DEP_2) | instskip(NEXT) | instid1(VALU_DEP_1)
	v_lshlrev_b32_e32 v3, 1, v3
	v_add_lshl_u32 v8, v3, v9, 2
	ds_bpermute_b32 v3, v8, v1
	ds_bpermute_b32 v4, v8, v2
	s_waitcnt lgkmcnt(0)
	v_add_f64 v[1:2], v[1:2], v[3:4]
	v_add_co_ci_u32_e64 v3, s2, 0, v9, s2
	s_delay_alu instid0(VALU_DEP_1)
	v_lshlrev_b32_e32 v9, 2, v3
	ds_bpermute_b32 v3, v9, v1
	ds_bpermute_b32 v4, v9, v2
	v_cmpx_eq_u32_e32 0, v10
	s_cbranch_execz .LBB572_8
; %bb.7:
	s_waitcnt lgkmcnt(0)
	v_add_f64 v[1:2], v[1:2], v[3:4]
	v_lshrrev_b32_e32 v3, 2, v0
	s_delay_alu instid0(VALU_DEP_1)
	v_and_b32_e32 v3, 0x78, v3
	ds_store_b64 v3, v[1:2]
.LBB572_8:
	s_or_b32 exec_lo, exec_lo, s4
	v_mov_b32_e32 v1, 0
	v_mov_b32_e32 v2, 0
	s_mov_b32 s4, exec_lo
	s_waitcnt lgkmcnt(0)
	s_barrier
	buffer_gl0_inv
	v_cmpx_gt_u32_e32 16, v0
	s_cbranch_execz .LBB572_10
; %bb.9:
	ds_load_b64 v[1:2], v5
.LBB572_10:
	s_or_b32 exec_lo, exec_lo, s4
	s_and_saveexec_b32 s2, vcc_lo
	s_cbranch_execz .LBB572_12
; %bb.11:
	s_waitcnt lgkmcnt(0)
	ds_bpermute_b32 v3, v6, v1
	ds_bpermute_b32 v4, v6, v2
	s_waitcnt lgkmcnt(0)
	v_add_f64 v[1:2], v[1:2], v[3:4]
	ds_bpermute_b32 v3, v7, v1
	ds_bpermute_b32 v4, v7, v2
	s_waitcnt lgkmcnt(0)
	v_add_f64 v[1:2], v[1:2], v[3:4]
	;; [unrolled: 4-line block ×4, first 2 shown]
.LBB572_12:
	s_or_b32 exec_lo, exec_lo, s2
	s_delay_alu instid0(SALU_CYCLE_1)
	s_mov_b32 s2, exec_lo
	v_cmpx_eq_u32_e32 0, v0
	s_cbranch_execz .LBB572_18
; %bb.13:
	s_cmp_lg_u32 s3, 1
	s_cbranch_scc0 .LBB572_15
; %bb.14:
	s_load_b64 s[4:5], s[0:1], 0x50
	s_mul_hi_u32 s7, s3, s8
	s_mul_i32 s6, s3, s8
	s_mov_b32 s15, 0
	s_lshl_b64 s[2:3], s[6:7], 3
	s_waitcnt lgkmcnt(0)
	s_add_u32 s4, s4, s2
	s_addc_u32 s5, s5, s3
	s_lshl_b64 s[2:3], s[14:15], 3
	s_delay_alu instid0(SALU_CYCLE_1)
	s_add_u32 s2, s4, s2
	s_addc_u32 s3, s5, s3
	s_cbranch_execz .LBB572_16
	s_branch .LBB572_17
.LBB572_15:
                                        ; implicit-def: $sgpr2_sgpr3
.LBB572_16:
	s_load_b64 s[0:1], s[0:1], 0x58
	s_lshl_b64 s[2:3], s[8:9], 3
	s_waitcnt lgkmcnt(0)
	s_add_u32 s2, s0, s2
	s_addc_u32 s3, s1, s3
.LBB572_17:
	v_mov_b32_e32 v0, 0
	s_waitcnt lgkmcnt(0)
	global_store_b64 v0, v[1:2], s[2:3]
.LBB572_18:
	s_nop 0
	s_sendmsg sendmsg(MSG_DEALLOC_VGPRS)
	s_endpgm
	.section	.rodata,"a",@progbits
	.p2align	6, 0x0
	.amdhsa_kernel _ZL18rocblas_dot_kernelIiLb0ELi512ELi2ELb1EdPKfdEviT5_lT_lS2_lS3_liPT6_PT4_
		.amdhsa_group_segment_fixed_size 256
		.amdhsa_private_segment_fixed_size 0
		.amdhsa_kernarg_size 352
		.amdhsa_user_sgpr_count 14
		.amdhsa_user_sgpr_dispatch_ptr 0
		.amdhsa_user_sgpr_queue_ptr 0
		.amdhsa_user_sgpr_kernarg_segment_ptr 1
		.amdhsa_user_sgpr_dispatch_id 0
		.amdhsa_user_sgpr_private_segment_size 0
		.amdhsa_wavefront_size32 1
		.amdhsa_uses_dynamic_stack 0
		.amdhsa_enable_private_segment 0
		.amdhsa_system_sgpr_workgroup_id_x 1
		.amdhsa_system_sgpr_workgroup_id_y 0
		.amdhsa_system_sgpr_workgroup_id_z 1
		.amdhsa_system_sgpr_workgroup_info 0
		.amdhsa_system_vgpr_workitem_id 0
		.amdhsa_next_free_vgpr 11
		.amdhsa_next_free_sgpr 24
		.amdhsa_reserve_vcc 1
		.amdhsa_float_round_mode_32 0
		.amdhsa_float_round_mode_16_64 0
		.amdhsa_float_denorm_mode_32 3
		.amdhsa_float_denorm_mode_16_64 3
		.amdhsa_dx10_clamp 1
		.amdhsa_ieee_mode 1
		.amdhsa_fp16_overflow 0
		.amdhsa_workgroup_processor_mode 1
		.amdhsa_memory_ordered 1
		.amdhsa_forward_progress 0
		.amdhsa_shared_vgpr_count 0
		.amdhsa_exception_fp_ieee_invalid_op 0
		.amdhsa_exception_fp_denorm_src 0
		.amdhsa_exception_fp_ieee_div_zero 0
		.amdhsa_exception_fp_ieee_overflow 0
		.amdhsa_exception_fp_ieee_underflow 0
		.amdhsa_exception_fp_ieee_inexact 0
		.amdhsa_exception_int_div_zero 0
	.end_amdhsa_kernel
	.section	.text._ZL18rocblas_dot_kernelIiLb0ELi512ELi2ELb1EdPKfdEviT5_lT_lS2_lS3_liPT6_PT4_,"axG",@progbits,_ZL18rocblas_dot_kernelIiLb0ELi512ELi2ELb1EdPKfdEviT5_lT_lS2_lS3_liPT6_PT4_,comdat
.Lfunc_end572:
	.size	_ZL18rocblas_dot_kernelIiLb0ELi512ELi2ELb1EdPKfdEviT5_lT_lS2_lS3_liPT6_PT4_, .Lfunc_end572-_ZL18rocblas_dot_kernelIiLb0ELi512ELi2ELb1EdPKfdEviT5_lT_lS2_lS3_liPT6_PT4_
                                        ; -- End function
	.section	.AMDGPU.csdata,"",@progbits
; Kernel info:
; codeLenInByte = 1168
; NumSgprs: 26
; NumVgprs: 11
; ScratchSize: 0
; MemoryBound: 0
; FloatMode: 240
; IeeeMode: 1
; LDSByteSize: 256 bytes/workgroup (compile time only)
; SGPRBlocks: 3
; VGPRBlocks: 1
; NumSGPRsForWavesPerEU: 26
; NumVGPRsForWavesPerEU: 11
; Occupancy: 16
; WaveLimiterHint : 0
; COMPUTE_PGM_RSRC2:SCRATCH_EN: 0
; COMPUTE_PGM_RSRC2:USER_SGPR: 14
; COMPUTE_PGM_RSRC2:TRAP_HANDLER: 0
; COMPUTE_PGM_RSRC2:TGID_X_EN: 1
; COMPUTE_PGM_RSRC2:TGID_Y_EN: 0
; COMPUTE_PGM_RSRC2:TGID_Z_EN: 1
; COMPUTE_PGM_RSRC2:TIDIG_COMP_CNT: 0
	.section	.text._ZL24rocblas_dot_kernel_magsqIiLb0ELi512ELi2ELb1EdPKfdEviT5_lT_liPT6_PT4_,"axG",@progbits,_ZL24rocblas_dot_kernel_magsqIiLb0ELi512ELi2ELb1EdPKfdEviT5_lT_liPT6_PT4_,comdat
	.globl	_ZL24rocblas_dot_kernel_magsqIiLb0ELi512ELi2ELb1EdPKfdEviT5_lT_liPT6_PT4_ ; -- Begin function _ZL24rocblas_dot_kernel_magsqIiLb0ELi512ELi2ELb1EdPKfdEviT5_lT_liPT6_PT4_
	.p2align	8
	.type	_ZL24rocblas_dot_kernel_magsqIiLb0ELi512ELi2ELb1EdPKfdEviT5_lT_liPT6_PT4_,@function
_ZL24rocblas_dot_kernel_magsqIiLb0ELi512ELi2ELb1EdPKfdEviT5_lT_liPT6_PT4_: ; @_ZL24rocblas_dot_kernel_magsqIiLb0ELi512ELi2ELb1EdPKfdEviT5_lT_liPT6_PT4_
; %bb.0:
	s_clause 0x1
	s_load_b32 s6, s[0:1], 0x0
	s_load_b32 s3, s[0:1], 0x40
	v_mov_b32_e32 v1, 0
	v_lshl_or_b32 v3, s14, 9, v0
	v_mov_b32_e32 v2, 0
	s_mov_b32 s4, s15
	s_mov_b32 s5, 0
	s_mov_b32 s2, exec_lo
	s_waitcnt lgkmcnt(0)
	v_cmpx_gt_i32_e64 s6, v3
	s_cbranch_execz .LBB573_4
; %bb.1:
	s_clause 0x2
	s_load_b64 s[12:13], s[0:1], 0x20
	s_load_b32 s7, s[0:1], 0x18
	s_load_b128 s[8:11], s[0:1], 0x8
	s_waitcnt lgkmcnt(0)
	s_mul_i32 s13, s4, s13
	v_mad_i64_i32 v[1:2], null, v3, s7, 0
	s_mul_hi_u32 s15, s4, s12
	s_mul_i32 s12, s4, s12
	s_add_i32 s13, s15, s13
	s_delay_alu instid0(SALU_CYCLE_1) | instskip(NEXT) | instid1(SALU_CYCLE_1)
	s_lshl_b64 s[12:13], s[12:13], 2
	s_add_u32 s12, s8, s12
	s_delay_alu instid0(VALU_DEP_1) | instskip(SKIP_2) | instid1(SALU_CYCLE_1)
	v_lshlrev_b64 v[1:2], 2, v[1:2]
	s_addc_u32 s13, s9, s13
	s_lshl_b64 s[8:9], s[10:11], 2
	s_add_u32 s8, s12, s8
	s_addc_u32 s9, s13, s9
	s_delay_alu instid0(VALU_DEP_1) | instskip(SKIP_2) | instid1(SALU_CYCLE_1)
	v_add_co_u32 v1, vcc_lo, s8, v1
	v_add_co_ci_u32_e32 v2, vcc_lo, s9, v2, vcc_lo
	s_add_i32 s10, s14, s3
	v_lshl_or_b32 v3, s10, 9, v0
	global_load_b32 v1, v[1:2], off
	v_cmp_gt_i32_e32 vcc_lo, s6, v3
	s_waitcnt vmcnt(0)
	v_cvt_f64_f32_e32 v[1:2], v1
	s_delay_alu instid0(VALU_DEP_1)
	v_mul_f64 v[1:2], v[1:2], v[1:2]
	s_and_saveexec_b32 s6, vcc_lo
	s_cbranch_execz .LBB573_3
; %bb.2:
	v_mad_i64_i32 v[4:5], null, v3, s7, 0
	s_delay_alu instid0(VALU_DEP_1) | instskip(NEXT) | instid1(VALU_DEP_1)
	v_lshlrev_b64 v[3:4], 2, v[4:5]
	v_add_co_u32 v3, vcc_lo, s8, v3
	s_delay_alu instid0(VALU_DEP_2) | instskip(SKIP_3) | instid1(VALU_DEP_1)
	v_add_co_ci_u32_e32 v4, vcc_lo, s9, v4, vcc_lo
	global_load_b32 v3, v[3:4], off
	s_waitcnt vmcnt(0)
	v_cvt_f64_f32_e32 v[3:4], v3
	v_fma_f64 v[1:2], v[3:4], v[3:4], v[1:2]
.LBB573_3:
	s_or_b32 exec_lo, exec_lo, s6
.LBB573_4:
	s_delay_alu instid0(SALU_CYCLE_1) | instskip(SKIP_2) | instid1(VALU_DEP_2)
	s_or_b32 exec_lo, exec_lo, s2
	v_and_b32_e32 v10, 31, v0
	v_cmp_gt_u32_e32 vcc_lo, 32, v0
	v_lshlrev_b32_e32 v5, 3, v10
	s_and_saveexec_b32 s2, vcc_lo
	s_cbranch_execz .LBB573_6
; %bb.5:
	v_mov_b32_e32 v3, 0
	s_delay_alu instid0(VALU_DEP_1)
	v_mov_b32_e32 v4, v3
	ds_store_b64 v5, v[3:4]
.LBB573_6:
	s_or_b32 exec_lo, exec_lo, s2
	v_mbcnt_lo_u32_b32 v9, -1, 0
	s_mov_b32 s6, exec_lo
	s_waitcnt lgkmcnt(0)
	s_barrier
	buffer_gl0_inv
	v_cmp_gt_u32_e64 s2, 16, v9
	s_delay_alu instid0(VALU_DEP_1) | instskip(SKIP_1) | instid1(VALU_DEP_2)
	v_cndmask_b32_e64 v3, 0, 1, s2
	v_cmp_gt_u32_e64 s2, 24, v9
	v_lshlrev_b32_e32 v3, 4, v3
	s_delay_alu instid0(VALU_DEP_1)
	v_add_lshl_u32 v4, v3, v9, 2
	ds_bpermute_b32 v3, v4, v1
	ds_bpermute_b32 v4, v4, v2
	s_waitcnt lgkmcnt(0)
	v_add_f64 v[1:2], v[1:2], v[3:4]
	v_cndmask_b32_e64 v3, 0, 1, s2
	v_cmp_gt_u32_e64 s2, 28, v9
	s_delay_alu instid0(VALU_DEP_2) | instskip(NEXT) | instid1(VALU_DEP_1)
	v_lshlrev_b32_e32 v3, 3, v3
	v_add_lshl_u32 v6, v3, v9, 2
	ds_bpermute_b32 v3, v6, v1
	ds_bpermute_b32 v4, v6, v2
	s_waitcnt lgkmcnt(0)
	v_add_f64 v[1:2], v[1:2], v[3:4]
	v_cndmask_b32_e64 v3, 0, 1, s2
	v_cmp_gt_u32_e64 s2, 30, v9
	s_delay_alu instid0(VALU_DEP_2) | instskip(NEXT) | instid1(VALU_DEP_1)
	v_lshlrev_b32_e32 v3, 2, v3
	v_add_lshl_u32 v7, v3, v9, 2
	ds_bpermute_b32 v3, v7, v1
	ds_bpermute_b32 v4, v7, v2
	s_waitcnt lgkmcnt(0)
	v_add_f64 v[1:2], v[1:2], v[3:4]
	v_cndmask_b32_e64 v3, 0, 1, s2
	v_cmp_ne_u32_e64 s2, 31, v9
	s_delay_alu instid0(VALU_DEP_2) | instskip(NEXT) | instid1(VALU_DEP_1)
	v_lshlrev_b32_e32 v3, 1, v3
	v_add_lshl_u32 v8, v3, v9, 2
	ds_bpermute_b32 v3, v8, v1
	ds_bpermute_b32 v4, v8, v2
	s_waitcnt lgkmcnt(0)
	v_add_f64 v[1:2], v[1:2], v[3:4]
	v_add_co_ci_u32_e64 v3, s2, 0, v9, s2
	s_delay_alu instid0(VALU_DEP_1)
	v_lshlrev_b32_e32 v9, 2, v3
	ds_bpermute_b32 v3, v9, v1
	ds_bpermute_b32 v4, v9, v2
	v_cmpx_eq_u32_e32 0, v10
	s_cbranch_execz .LBB573_8
; %bb.7:
	s_waitcnt lgkmcnt(0)
	v_add_f64 v[1:2], v[1:2], v[3:4]
	v_lshrrev_b32_e32 v3, 2, v0
	s_delay_alu instid0(VALU_DEP_1)
	v_and_b32_e32 v3, 0x78, v3
	ds_store_b64 v3, v[1:2]
.LBB573_8:
	s_or_b32 exec_lo, exec_lo, s6
	v_mov_b32_e32 v1, 0
	v_mov_b32_e32 v2, 0
	s_mov_b32 s6, exec_lo
	s_waitcnt lgkmcnt(0)
	s_barrier
	buffer_gl0_inv
	v_cmpx_gt_u32_e32 16, v0
	s_cbranch_execz .LBB573_10
; %bb.9:
	ds_load_b64 v[1:2], v5
.LBB573_10:
	s_or_b32 exec_lo, exec_lo, s6
	s_and_saveexec_b32 s2, vcc_lo
	s_cbranch_execz .LBB573_12
; %bb.11:
	s_waitcnt lgkmcnt(0)
	ds_bpermute_b32 v3, v6, v1
	ds_bpermute_b32 v4, v6, v2
	s_waitcnt lgkmcnt(0)
	v_add_f64 v[1:2], v[1:2], v[3:4]
	ds_bpermute_b32 v3, v7, v1
	ds_bpermute_b32 v4, v7, v2
	s_waitcnt lgkmcnt(0)
	v_add_f64 v[1:2], v[1:2], v[3:4]
	;; [unrolled: 4-line block ×4, first 2 shown]
.LBB573_12:
	s_or_b32 exec_lo, exec_lo, s2
	s_delay_alu instid0(SALU_CYCLE_1)
	s_mov_b32 s2, exec_lo
	v_cmpx_eq_u32_e32 0, v0
	s_cbranch_execz .LBB573_18
; %bb.13:
	s_cmp_lg_u32 s3, 1
	s_cbranch_scc0 .LBB573_15
; %bb.14:
	s_load_b64 s[6:7], s[0:1], 0x30
	s_mul_hi_u32 s9, s3, s4
	s_mul_i32 s8, s3, s4
	s_mov_b32 s15, 0
	s_lshl_b64 s[2:3], s[8:9], 3
	s_waitcnt lgkmcnt(0)
	s_add_u32 s6, s6, s2
	s_addc_u32 s7, s7, s3
	s_lshl_b64 s[2:3], s[14:15], 3
	s_delay_alu instid0(SALU_CYCLE_1)
	s_add_u32 s2, s6, s2
	s_addc_u32 s3, s7, s3
	s_cbranch_execz .LBB573_16
	s_branch .LBB573_17
.LBB573_15:
                                        ; implicit-def: $sgpr2_sgpr3
.LBB573_16:
	s_load_b64 s[0:1], s[0:1], 0x38
	s_lshl_b64 s[2:3], s[4:5], 3
	s_waitcnt lgkmcnt(0)
	s_add_u32 s2, s0, s2
	s_addc_u32 s3, s1, s3
.LBB573_17:
	v_mov_b32_e32 v0, 0
	s_waitcnt lgkmcnt(0)
	global_store_b64 v0, v[1:2], s[2:3]
.LBB573_18:
	s_nop 0
	s_sendmsg sendmsg(MSG_DEALLOC_VGPRS)
	s_endpgm
	.section	.rodata,"a",@progbits
	.p2align	6, 0x0
	.amdhsa_kernel _ZL24rocblas_dot_kernel_magsqIiLb0ELi512ELi2ELb1EdPKfdEviT5_lT_liPT6_PT4_
		.amdhsa_group_segment_fixed_size 256
		.amdhsa_private_segment_fixed_size 0
		.amdhsa_kernarg_size 320
		.amdhsa_user_sgpr_count 14
		.amdhsa_user_sgpr_dispatch_ptr 0
		.amdhsa_user_sgpr_queue_ptr 0
		.amdhsa_user_sgpr_kernarg_segment_ptr 1
		.amdhsa_user_sgpr_dispatch_id 0
		.amdhsa_user_sgpr_private_segment_size 0
		.amdhsa_wavefront_size32 1
		.amdhsa_uses_dynamic_stack 0
		.amdhsa_enable_private_segment 0
		.amdhsa_system_sgpr_workgroup_id_x 1
		.amdhsa_system_sgpr_workgroup_id_y 0
		.amdhsa_system_sgpr_workgroup_id_z 1
		.amdhsa_system_sgpr_workgroup_info 0
		.amdhsa_system_vgpr_workitem_id 0
		.amdhsa_next_free_vgpr 11
		.amdhsa_next_free_sgpr 16
		.amdhsa_reserve_vcc 1
		.amdhsa_float_round_mode_32 0
		.amdhsa_float_round_mode_16_64 0
		.amdhsa_float_denorm_mode_32 3
		.amdhsa_float_denorm_mode_16_64 3
		.amdhsa_dx10_clamp 1
		.amdhsa_ieee_mode 1
		.amdhsa_fp16_overflow 0
		.amdhsa_workgroup_processor_mode 1
		.amdhsa_memory_ordered 1
		.amdhsa_forward_progress 0
		.amdhsa_shared_vgpr_count 0
		.amdhsa_exception_fp_ieee_invalid_op 0
		.amdhsa_exception_fp_denorm_src 0
		.amdhsa_exception_fp_ieee_div_zero 0
		.amdhsa_exception_fp_ieee_overflow 0
		.amdhsa_exception_fp_ieee_underflow 0
		.amdhsa_exception_fp_ieee_inexact 0
		.amdhsa_exception_int_div_zero 0
	.end_amdhsa_kernel
	.section	.text._ZL24rocblas_dot_kernel_magsqIiLb0ELi512ELi2ELb1EdPKfdEviT5_lT_liPT6_PT4_,"axG",@progbits,_ZL24rocblas_dot_kernel_magsqIiLb0ELi512ELi2ELb1EdPKfdEviT5_lT_liPT6_PT4_,comdat
.Lfunc_end573:
	.size	_ZL24rocblas_dot_kernel_magsqIiLb0ELi512ELi2ELb1EdPKfdEviT5_lT_liPT6_PT4_, .Lfunc_end573-_ZL24rocblas_dot_kernel_magsqIiLb0ELi512ELi2ELb1EdPKfdEviT5_lT_liPT6_PT4_
                                        ; -- End function
	.section	.AMDGPU.csdata,"",@progbits
; Kernel info:
; codeLenInByte = 1016
; NumSgprs: 18
; NumVgprs: 11
; ScratchSize: 0
; MemoryBound: 0
; FloatMode: 240
; IeeeMode: 1
; LDSByteSize: 256 bytes/workgroup (compile time only)
; SGPRBlocks: 2
; VGPRBlocks: 1
; NumSGPRsForWavesPerEU: 18
; NumVGPRsForWavesPerEU: 11
; Occupancy: 16
; WaveLimiterHint : 0
; COMPUTE_PGM_RSRC2:SCRATCH_EN: 0
; COMPUTE_PGM_RSRC2:USER_SGPR: 14
; COMPUTE_PGM_RSRC2:TRAP_HANDLER: 0
; COMPUTE_PGM_RSRC2:TGID_X_EN: 1
; COMPUTE_PGM_RSRC2:TGID_Y_EN: 0
; COMPUTE_PGM_RSRC2:TGID_Z_EN: 1
; COMPUTE_PGM_RSRC2:TIDIG_COMP_CNT: 0
	.section	.text._ZL28rocblas_dot_batched_4_kernelIlLi32ELi4ELb1EddPKfEviT5_lT_lS2_lS3_liPT4_,"axG",@progbits,_ZL28rocblas_dot_batched_4_kernelIlLi32ELi4ELb1EddPKfEviT5_lT_lS2_lS3_liPT4_,comdat
	.globl	_ZL28rocblas_dot_batched_4_kernelIlLi32ELi4ELb1EddPKfEviT5_lT_lS2_lS3_liPT4_ ; -- Begin function _ZL28rocblas_dot_batched_4_kernelIlLi32ELi4ELb1EddPKfEviT5_lT_lS2_lS3_liPT4_
	.p2align	8
	.type	_ZL28rocblas_dot_batched_4_kernelIlLi32ELi4ELb1EddPKfEviT5_lT_lS2_lS3_liPT4_,@function
_ZL28rocblas_dot_batched_4_kernelIlLi32ELi4ELb1EddPKfEviT5_lT_lS2_lS3_liPT4_: ; @_ZL28rocblas_dot_batched_4_kernelIlLi32ELi4ELb1EddPKfEviT5_lT_lS2_lS3_liPT4_
; %bb.0:
	s_load_b32 s2, s[0:1], 0x48
	v_bfe_u32 v1, v0, 10, 10
	s_delay_alu instid0(VALU_DEP_1) | instskip(SKIP_1) | instid1(VALU_DEP_1)
	v_lshl_add_u32 v1, s15, 2, v1
	s_waitcnt lgkmcnt(0)
	v_cmp_gt_u32_e32 vcc_lo, s2, v1
	s_and_saveexec_b32 s2, vcc_lo
	s_cbranch_execz .LBB574_7
; %bb.1:
	s_clause 0x1
	s_load_b32 s16, s[0:1], 0x0
	s_load_b64 s[2:3], s[0:1], 0x50
	v_dual_mov_b32 v3, 0 :: v_dual_and_b32 v0, 0x3ff, v0
	v_mov_b32_e32 v2, 0
	v_mov_b32_e32 v4, 0
	s_mov_b32 s17, exec_lo
	s_waitcnt lgkmcnt(0)
	v_cmpx_gt_i32_e64 s16, v0
	s_cbranch_execz .LBB574_5
; %bb.2:
	s_clause 0x3
	s_load_b128 s[12:15], s[0:1], 0x10
	s_load_b256 s[4:11], s[0:1], 0x20
	s_load_b64 s[18:19], s[0:1], 0x40
	s_load_b64 s[0:1], s[0:1], 0x8
	s_waitcnt lgkmcnt(0)
	v_mad_u64_u32 v[5:6], null, s14, v0, 0
	v_mad_u64_u32 v[7:8], null, s4, v1, 0
	;; [unrolled: 1-line block ×4, first 2 shown]
	s_lshl_b64 s[12:13], s[12:13], 2
	s_delay_alu instid0(VALU_DEP_3) | instskip(NEXT) | instid1(VALU_DEP_3)
	v_mad_u64_u32 v[13:14], null, s15, v0, v[6:7]
	v_mad_u64_u32 v[14:15], null, s5, v1, v[8:9]
	s_delay_alu instid0(VALU_DEP_3) | instskip(SKIP_2) | instid1(VALU_DEP_4)
	v_mad_u64_u32 v[15:16], null, s11, v0, v[10:11]
	v_mov_b32_e32 v3, 0
	s_add_u32 s12, s0, s12
	v_mov_b32_e32 v6, v13
	v_mad_u64_u32 v[16:17], null, s19, v1, v[12:13]
	v_mov_b32_e32 v8, v14
	v_mov_b32_e32 v10, v15
	s_delay_alu instid0(VALU_DEP_4)
	v_lshlrev_b64 v[5:6], 2, v[5:6]
	s_addc_u32 s13, s1, s13
	s_lshl_b64 s[0:1], s[8:9], 2
	v_lshlrev_b64 v[7:8], 2, v[7:8]
	v_mov_b32_e32 v12, v16
	v_lshlrev_b64 v[9:10], 2, v[9:10]
	s_lshl_b64 s[4:5], s[14:15], 7
	s_add_u32 s0, s6, s0
	s_addc_u32 s1, s7, s1
	v_lshlrev_b64 v[11:12], 2, v[11:12]
	v_add_co_u32 v5, vcc_lo, v5, v7
	v_add_co_ci_u32_e32 v6, vcc_lo, v6, v8, vcc_lo
	v_mov_b32_e32 v4, 0
	s_delay_alu instid0(VALU_DEP_4)
	v_add_co_u32 v7, vcc_lo, v9, v11
	v_mov_b32_e32 v9, v0
	v_add_co_ci_u32_e32 v8, vcc_lo, v10, v12, vcc_lo
	v_add_co_u32 v5, vcc_lo, s12, v5
	v_add_co_ci_u32_e32 v6, vcc_lo, s13, v6, vcc_lo
	v_add_co_u32 v7, vcc_lo, s0, v7
	s_delay_alu instid0(VALU_DEP_4)
	v_add_co_ci_u32_e32 v8, vcc_lo, s1, v8, vcc_lo
	s_lshl_b64 s[6:7], s[10:11], 7
	s_mov_b32 s1, 0
	.p2align	6
.LBB574_3:                              ; =>This Inner Loop Header: Depth=1
	global_load_b32 v10, v[5:6], off
	global_load_b32 v12, v[7:8], off
	v_add_nc_u32_e32 v9, 32, v9
	v_add_co_u32 v5, vcc_lo, v5, s4
	v_add_co_ci_u32_e32 v6, vcc_lo, s5, v6, vcc_lo
	s_delay_alu instid0(VALU_DEP_3) | instskip(SKIP_1) | instid1(VALU_DEP_1)
	v_cmp_le_i32_e32 vcc_lo, s16, v9
	v_add_co_u32 v7, s0, v7, s6
	v_add_co_ci_u32_e64 v8, s0, s7, v8, s0
	s_or_b32 s1, vcc_lo, s1
	s_waitcnt vmcnt(1)
	v_cvt_f64_f32_e32 v[10:11], v10
	s_waitcnt vmcnt(0)
	v_cvt_f64_f32_e32 v[12:13], v12
	s_delay_alu instid0(VALU_DEP_1)
	v_fma_f64 v[3:4], v[10:11], v[12:13], v[3:4]
	s_and_not1_b32 exec_lo, exec_lo, s1
	s_cbranch_execnz .LBB574_3
; %bb.4:
	s_or_b32 exec_lo, exec_lo, s1
.LBB574_5:
	s_delay_alu instid0(SALU_CYCLE_1)
	s_or_b32 exec_lo, exec_lo, s17
	v_mbcnt_lo_u32_b32 v7, -1, 0
	s_barrier
	buffer_gl0_inv
	v_cmp_gt_u32_e32 vcc_lo, 16, v7
	v_cndmask_b32_e64 v5, 0, 1, vcc_lo
	v_cmp_gt_u32_e32 vcc_lo, 24, v7
	s_delay_alu instid0(VALU_DEP_2) | instskip(NEXT) | instid1(VALU_DEP_1)
	v_lshlrev_b32_e32 v5, 4, v5
	v_add_lshl_u32 v6, v5, v7, 2
	ds_bpermute_b32 v5, v6, v3
	ds_bpermute_b32 v6, v6, v4
	s_waitcnt lgkmcnt(0)
	v_add_f64 v[3:4], v[3:4], v[5:6]
	v_cndmask_b32_e64 v5, 0, 1, vcc_lo
	v_cmp_gt_u32_e32 vcc_lo, 28, v7
	s_delay_alu instid0(VALU_DEP_2) | instskip(NEXT) | instid1(VALU_DEP_1)
	v_lshlrev_b32_e32 v5, 3, v5
	v_add_lshl_u32 v6, v5, v7, 2
	ds_bpermute_b32 v5, v6, v3
	ds_bpermute_b32 v6, v6, v4
	s_waitcnt lgkmcnt(0)
	v_add_f64 v[3:4], v[3:4], v[5:6]
	v_cndmask_b32_e64 v5, 0, 1, vcc_lo
	v_cmp_gt_u32_e32 vcc_lo, 30, v7
	s_delay_alu instid0(VALU_DEP_2) | instskip(NEXT) | instid1(VALU_DEP_1)
	v_lshlrev_b32_e32 v5, 2, v5
	v_add_lshl_u32 v6, v5, v7, 2
	ds_bpermute_b32 v5, v6, v3
	ds_bpermute_b32 v6, v6, v4
	s_waitcnt lgkmcnt(0)
	v_add_f64 v[3:4], v[3:4], v[5:6]
	v_cndmask_b32_e64 v5, 0, 1, vcc_lo
	v_cmp_ne_u32_e32 vcc_lo, 31, v7
	s_delay_alu instid0(VALU_DEP_2) | instskip(NEXT) | instid1(VALU_DEP_1)
	v_lshlrev_b32_e32 v5, 1, v5
	v_add_lshl_u32 v6, v5, v7, 2
	ds_bpermute_b32 v5, v6, v3
	ds_bpermute_b32 v6, v6, v4
	s_waitcnt lgkmcnt(0)
	v_add_f64 v[3:4], v[3:4], v[5:6]
	v_add_co_ci_u32_e32 v5, vcc_lo, 0, v7, vcc_lo
	v_cmp_eq_u32_e32 vcc_lo, 0, v0
	s_delay_alu instid0(VALU_DEP_2)
	v_lshlrev_b32_e32 v6, 2, v5
	ds_bpermute_b32 v5, v6, v3
	ds_bpermute_b32 v6, v6, v4
	s_and_b32 exec_lo, exec_lo, vcc_lo
	s_cbranch_execz .LBB574_7
; %bb.6:
	s_waitcnt lgkmcnt(0)
	v_add_f64 v[3:4], v[3:4], v[5:6]
	v_lshlrev_b64 v[0:1], 3, v[1:2]
	s_delay_alu instid0(VALU_DEP_1) | instskip(NEXT) | instid1(VALU_DEP_2)
	v_add_co_u32 v0, vcc_lo, s2, v0
	v_add_co_ci_u32_e32 v1, vcc_lo, s3, v1, vcc_lo
	global_store_b64 v[0:1], v[3:4], off
.LBB574_7:
	s_nop 0
	s_sendmsg sendmsg(MSG_DEALLOC_VGPRS)
	s_endpgm
	.section	.rodata,"a",@progbits
	.p2align	6, 0x0
	.amdhsa_kernel _ZL28rocblas_dot_batched_4_kernelIlLi32ELi4ELb1EddPKfEviT5_lT_lS2_lS3_liPT4_
		.amdhsa_group_segment_fixed_size 0
		.amdhsa_private_segment_fixed_size 0
		.amdhsa_kernarg_size 88
		.amdhsa_user_sgpr_count 15
		.amdhsa_user_sgpr_dispatch_ptr 0
		.amdhsa_user_sgpr_queue_ptr 0
		.amdhsa_user_sgpr_kernarg_segment_ptr 1
		.amdhsa_user_sgpr_dispatch_id 0
		.amdhsa_user_sgpr_private_segment_size 0
		.amdhsa_wavefront_size32 1
		.amdhsa_uses_dynamic_stack 0
		.amdhsa_enable_private_segment 0
		.amdhsa_system_sgpr_workgroup_id_x 1
		.amdhsa_system_sgpr_workgroup_id_y 0
		.amdhsa_system_sgpr_workgroup_id_z 0
		.amdhsa_system_sgpr_workgroup_info 0
		.amdhsa_system_vgpr_workitem_id 1
		.amdhsa_next_free_vgpr 18
		.amdhsa_next_free_sgpr 20
		.amdhsa_reserve_vcc 1
		.amdhsa_float_round_mode_32 0
		.amdhsa_float_round_mode_16_64 0
		.amdhsa_float_denorm_mode_32 3
		.amdhsa_float_denorm_mode_16_64 3
		.amdhsa_dx10_clamp 1
		.amdhsa_ieee_mode 1
		.amdhsa_fp16_overflow 0
		.amdhsa_workgroup_processor_mode 1
		.amdhsa_memory_ordered 1
		.amdhsa_forward_progress 0
		.amdhsa_shared_vgpr_count 0
		.amdhsa_exception_fp_ieee_invalid_op 0
		.amdhsa_exception_fp_denorm_src 0
		.amdhsa_exception_fp_ieee_div_zero 0
		.amdhsa_exception_fp_ieee_overflow 0
		.amdhsa_exception_fp_ieee_underflow 0
		.amdhsa_exception_fp_ieee_inexact 0
		.amdhsa_exception_int_div_zero 0
	.end_amdhsa_kernel
	.section	.text._ZL28rocblas_dot_batched_4_kernelIlLi32ELi4ELb1EddPKfEviT5_lT_lS2_lS3_liPT4_,"axG",@progbits,_ZL28rocblas_dot_batched_4_kernelIlLi32ELi4ELb1EddPKfEviT5_lT_lS2_lS3_liPT4_,comdat
.Lfunc_end574:
	.size	_ZL28rocblas_dot_batched_4_kernelIlLi32ELi4ELb1EddPKfEviT5_lT_lS2_lS3_liPT4_, .Lfunc_end574-_ZL28rocblas_dot_batched_4_kernelIlLi32ELi4ELb1EddPKfEviT5_lT_lS2_lS3_liPT4_
                                        ; -- End function
	.section	.AMDGPU.csdata,"",@progbits
; Kernel info:
; codeLenInByte = 824
; NumSgprs: 22
; NumVgprs: 18
; ScratchSize: 0
; MemoryBound: 0
; FloatMode: 240
; IeeeMode: 1
; LDSByteSize: 0 bytes/workgroup (compile time only)
; SGPRBlocks: 2
; VGPRBlocks: 2
; NumSGPRsForWavesPerEU: 22
; NumVGPRsForWavesPerEU: 18
; Occupancy: 16
; WaveLimiterHint : 0
; COMPUTE_PGM_RSRC2:SCRATCH_EN: 0
; COMPUTE_PGM_RSRC2:USER_SGPR: 15
; COMPUTE_PGM_RSRC2:TRAP_HANDLER: 0
; COMPUTE_PGM_RSRC2:TGID_X_EN: 1
; COMPUTE_PGM_RSRC2:TGID_Y_EN: 0
; COMPUTE_PGM_RSRC2:TGID_Z_EN: 0
; COMPUTE_PGM_RSRC2:TIDIG_COMP_CNT: 1
	.section	.text._ZL28rocblas_dot_batched_4_kernelIlLi64ELi4ELb1EddPKfEviT5_lT_lS2_lS3_liPT4_,"axG",@progbits,_ZL28rocblas_dot_batched_4_kernelIlLi64ELi4ELb1EddPKfEviT5_lT_lS2_lS3_liPT4_,comdat
	.globl	_ZL28rocblas_dot_batched_4_kernelIlLi64ELi4ELb1EddPKfEviT5_lT_lS2_lS3_liPT4_ ; -- Begin function _ZL28rocblas_dot_batched_4_kernelIlLi64ELi4ELb1EddPKfEviT5_lT_lS2_lS3_liPT4_
	.p2align	8
	.type	_ZL28rocblas_dot_batched_4_kernelIlLi64ELi4ELb1EddPKfEviT5_lT_lS2_lS3_liPT4_,@function
_ZL28rocblas_dot_batched_4_kernelIlLi64ELi4ELb1EddPKfEviT5_lT_lS2_lS3_liPT4_: ; @_ZL28rocblas_dot_batched_4_kernelIlLi64ELi4ELb1EddPKfEviT5_lT_lS2_lS3_liPT4_
; %bb.0:
	s_load_b32 s2, s[0:1], 0x48
	v_bfe_u32 v1, v0, 10, 10
	s_delay_alu instid0(VALU_DEP_1) | instskip(SKIP_1) | instid1(VALU_DEP_1)
	v_lshl_add_u32 v1, s15, 2, v1
	s_waitcnt lgkmcnt(0)
	v_cmp_gt_u32_e32 vcc_lo, s2, v1
	s_and_saveexec_b32 s2, vcc_lo
	s_cbranch_execz .LBB575_7
; %bb.1:
	s_clause 0x1
	s_load_b32 s16, s[0:1], 0x0
	s_load_b64 s[2:3], s[0:1], 0x50
	v_dual_mov_b32 v3, 0 :: v_dual_and_b32 v0, 0x3ff, v0
	v_mov_b32_e32 v2, 0
	v_mov_b32_e32 v4, 0
	s_mov_b32 s17, exec_lo
	s_waitcnt lgkmcnt(0)
	v_cmpx_gt_i32_e64 s16, v0
	s_cbranch_execz .LBB575_5
; %bb.2:
	s_clause 0x3
	s_load_b128 s[12:15], s[0:1], 0x10
	s_load_b256 s[4:11], s[0:1], 0x20
	s_load_b64 s[18:19], s[0:1], 0x40
	s_load_b64 s[0:1], s[0:1], 0x8
	s_waitcnt lgkmcnt(0)
	v_mad_u64_u32 v[5:6], null, s14, v0, 0
	v_mad_u64_u32 v[7:8], null, s4, v1, 0
	v_mad_u64_u32 v[9:10], null, s10, v0, 0
	v_mad_u64_u32 v[11:12], null, s18, v1, 0
	s_lshl_b64 s[12:13], s[12:13], 2
	s_delay_alu instid0(VALU_DEP_3) | instskip(NEXT) | instid1(VALU_DEP_3)
	v_mad_u64_u32 v[13:14], null, s15, v0, v[6:7]
	v_mad_u64_u32 v[14:15], null, s5, v1, v[8:9]
	s_delay_alu instid0(VALU_DEP_3) | instskip(SKIP_2) | instid1(VALU_DEP_4)
	v_mad_u64_u32 v[15:16], null, s11, v0, v[10:11]
	v_mov_b32_e32 v3, 0
	s_add_u32 s12, s0, s12
	v_mov_b32_e32 v6, v13
	v_mad_u64_u32 v[16:17], null, s19, v1, v[12:13]
	v_mov_b32_e32 v8, v14
	v_mov_b32_e32 v10, v15
	s_delay_alu instid0(VALU_DEP_4)
	v_lshlrev_b64 v[5:6], 2, v[5:6]
	s_addc_u32 s13, s1, s13
	s_lshl_b64 s[0:1], s[8:9], 2
	v_lshlrev_b64 v[7:8], 2, v[7:8]
	v_mov_b32_e32 v12, v16
	v_lshlrev_b64 v[9:10], 2, v[9:10]
	s_lshl_b64 s[4:5], s[14:15], 8
	s_add_u32 s0, s6, s0
	s_addc_u32 s1, s7, s1
	v_lshlrev_b64 v[11:12], 2, v[11:12]
	v_add_co_u32 v5, vcc_lo, v5, v7
	v_add_co_ci_u32_e32 v6, vcc_lo, v6, v8, vcc_lo
	v_mov_b32_e32 v4, 0
	s_delay_alu instid0(VALU_DEP_4)
	v_add_co_u32 v7, vcc_lo, v9, v11
	v_mov_b32_e32 v9, v0
	v_add_co_ci_u32_e32 v8, vcc_lo, v10, v12, vcc_lo
	v_add_co_u32 v5, vcc_lo, s12, v5
	v_add_co_ci_u32_e32 v6, vcc_lo, s13, v6, vcc_lo
	v_add_co_u32 v7, vcc_lo, s0, v7
	s_delay_alu instid0(VALU_DEP_4)
	v_add_co_ci_u32_e32 v8, vcc_lo, s1, v8, vcc_lo
	s_lshl_b64 s[6:7], s[10:11], 8
	s_mov_b32 s1, 0
	.p2align	6
.LBB575_3:                              ; =>This Inner Loop Header: Depth=1
	global_load_b32 v10, v[5:6], off
	global_load_b32 v12, v[7:8], off
	v_add_nc_u32_e32 v9, 64, v9
	v_add_co_u32 v5, vcc_lo, v5, s4
	v_add_co_ci_u32_e32 v6, vcc_lo, s5, v6, vcc_lo
	s_delay_alu instid0(VALU_DEP_3) | instskip(SKIP_1) | instid1(VALU_DEP_1)
	v_cmp_le_i32_e32 vcc_lo, s16, v9
	v_add_co_u32 v7, s0, v7, s6
	v_add_co_ci_u32_e64 v8, s0, s7, v8, s0
	s_or_b32 s1, vcc_lo, s1
	s_waitcnt vmcnt(1)
	v_cvt_f64_f32_e32 v[10:11], v10
	s_waitcnt vmcnt(0)
	v_cvt_f64_f32_e32 v[12:13], v12
	s_delay_alu instid0(VALU_DEP_1)
	v_fma_f64 v[3:4], v[10:11], v[12:13], v[3:4]
	s_and_not1_b32 exec_lo, exec_lo, s1
	s_cbranch_execnz .LBB575_3
; %bb.4:
	s_or_b32 exec_lo, exec_lo, s1
.LBB575_5:
	s_delay_alu instid0(SALU_CYCLE_1)
	s_or_b32 exec_lo, exec_lo, s17
	v_mbcnt_lo_u32_b32 v7, -1, 0
	s_barrier
	buffer_gl0_inv
	v_lshlrev_b32_e32 v6, 2, v7
	v_cmp_gt_u32_e32 vcc_lo, 16, v7
	ds_bpermute_b32 v5, v6, v3
	ds_bpermute_b32 v6, v6, v4
	s_waitcnt lgkmcnt(0)
	v_add_f64 v[3:4], v[3:4], v[5:6]
	v_cndmask_b32_e64 v5, 0, 1, vcc_lo
	v_cmp_gt_u32_e32 vcc_lo, 24, v7
	s_delay_alu instid0(VALU_DEP_2) | instskip(NEXT) | instid1(VALU_DEP_1)
	v_lshlrev_b32_e32 v5, 4, v5
	v_add_lshl_u32 v6, v5, v7, 2
	ds_bpermute_b32 v5, v6, v3
	ds_bpermute_b32 v6, v6, v4
	s_waitcnt lgkmcnt(0)
	v_add_f64 v[3:4], v[3:4], v[5:6]
	v_cndmask_b32_e64 v5, 0, 1, vcc_lo
	v_cmp_gt_u32_e32 vcc_lo, 28, v7
	s_delay_alu instid0(VALU_DEP_2) | instskip(NEXT) | instid1(VALU_DEP_1)
	v_lshlrev_b32_e32 v5, 3, v5
	v_add_lshl_u32 v6, v5, v7, 2
	;; [unrolled: 9-line block ×3, first 2 shown]
	ds_bpermute_b32 v5, v6, v3
	ds_bpermute_b32 v6, v6, v4
	s_waitcnt lgkmcnt(0)
	v_add_f64 v[3:4], v[3:4], v[5:6]
	v_cndmask_b32_e64 v5, 0, 1, vcc_lo
	v_cmp_ne_u32_e32 vcc_lo, 31, v7
	s_delay_alu instid0(VALU_DEP_2) | instskip(NEXT) | instid1(VALU_DEP_1)
	v_lshlrev_b32_e32 v5, 1, v5
	v_add_lshl_u32 v6, v5, v7, 2
	ds_bpermute_b32 v5, v6, v3
	ds_bpermute_b32 v6, v6, v4
	s_waitcnt lgkmcnt(0)
	v_add_f64 v[3:4], v[3:4], v[5:6]
	v_add_co_ci_u32_e32 v5, vcc_lo, 0, v7, vcc_lo
	v_cmp_eq_u32_e32 vcc_lo, 0, v0
	s_delay_alu instid0(VALU_DEP_2)
	v_lshlrev_b32_e32 v6, 2, v5
	ds_bpermute_b32 v5, v6, v3
	ds_bpermute_b32 v6, v6, v4
	s_and_b32 exec_lo, exec_lo, vcc_lo
	s_cbranch_execz .LBB575_7
; %bb.6:
	s_waitcnt lgkmcnt(0)
	v_add_f64 v[3:4], v[3:4], v[5:6]
	v_lshlrev_b64 v[0:1], 3, v[1:2]
	s_delay_alu instid0(VALU_DEP_1) | instskip(NEXT) | instid1(VALU_DEP_2)
	v_add_co_u32 v0, vcc_lo, s2, v0
	v_add_co_ci_u32_e32 v1, vcc_lo, s3, v1, vcc_lo
	global_store_b64 v[0:1], v[3:4], off
.LBB575_7:
	s_nop 0
	s_sendmsg sendmsg(MSG_DEALLOC_VGPRS)
	s_endpgm
	.section	.rodata,"a",@progbits
	.p2align	6, 0x0
	.amdhsa_kernel _ZL28rocblas_dot_batched_4_kernelIlLi64ELi4ELb1EddPKfEviT5_lT_lS2_lS3_liPT4_
		.amdhsa_group_segment_fixed_size 0
		.amdhsa_private_segment_fixed_size 0
		.amdhsa_kernarg_size 88
		.amdhsa_user_sgpr_count 15
		.amdhsa_user_sgpr_dispatch_ptr 0
		.amdhsa_user_sgpr_queue_ptr 0
		.amdhsa_user_sgpr_kernarg_segment_ptr 1
		.amdhsa_user_sgpr_dispatch_id 0
		.amdhsa_user_sgpr_private_segment_size 0
		.amdhsa_wavefront_size32 1
		.amdhsa_uses_dynamic_stack 0
		.amdhsa_enable_private_segment 0
		.amdhsa_system_sgpr_workgroup_id_x 1
		.amdhsa_system_sgpr_workgroup_id_y 0
		.amdhsa_system_sgpr_workgroup_id_z 0
		.amdhsa_system_sgpr_workgroup_info 0
		.amdhsa_system_vgpr_workitem_id 1
		.amdhsa_next_free_vgpr 18
		.amdhsa_next_free_sgpr 20
		.amdhsa_reserve_vcc 1
		.amdhsa_float_round_mode_32 0
		.amdhsa_float_round_mode_16_64 0
		.amdhsa_float_denorm_mode_32 3
		.amdhsa_float_denorm_mode_16_64 3
		.amdhsa_dx10_clamp 1
		.amdhsa_ieee_mode 1
		.amdhsa_fp16_overflow 0
		.amdhsa_workgroup_processor_mode 1
		.amdhsa_memory_ordered 1
		.amdhsa_forward_progress 0
		.amdhsa_shared_vgpr_count 0
		.amdhsa_exception_fp_ieee_invalid_op 0
		.amdhsa_exception_fp_denorm_src 0
		.amdhsa_exception_fp_ieee_div_zero 0
		.amdhsa_exception_fp_ieee_overflow 0
		.amdhsa_exception_fp_ieee_underflow 0
		.amdhsa_exception_fp_ieee_inexact 0
		.amdhsa_exception_int_div_zero 0
	.end_amdhsa_kernel
	.section	.text._ZL28rocblas_dot_batched_4_kernelIlLi64ELi4ELb1EddPKfEviT5_lT_lS2_lS3_liPT4_,"axG",@progbits,_ZL28rocblas_dot_batched_4_kernelIlLi64ELi4ELb1EddPKfEviT5_lT_lS2_lS3_liPT4_,comdat
.Lfunc_end575:
	.size	_ZL28rocblas_dot_batched_4_kernelIlLi64ELi4ELb1EddPKfEviT5_lT_lS2_lS3_liPT4_, .Lfunc_end575-_ZL28rocblas_dot_batched_4_kernelIlLi64ELi4ELb1EddPKfEviT5_lT_lS2_lS3_liPT4_
                                        ; -- End function
	.section	.AMDGPU.csdata,"",@progbits
; Kernel info:
; codeLenInByte = 856
; NumSgprs: 22
; NumVgprs: 18
; ScratchSize: 0
; MemoryBound: 0
; FloatMode: 240
; IeeeMode: 1
; LDSByteSize: 0 bytes/workgroup (compile time only)
; SGPRBlocks: 2
; VGPRBlocks: 2
; NumSGPRsForWavesPerEU: 22
; NumVGPRsForWavesPerEU: 18
; Occupancy: 16
; WaveLimiterHint : 0
; COMPUTE_PGM_RSRC2:SCRATCH_EN: 0
; COMPUTE_PGM_RSRC2:USER_SGPR: 15
; COMPUTE_PGM_RSRC2:TRAP_HANDLER: 0
; COMPUTE_PGM_RSRC2:TGID_X_EN: 1
; COMPUTE_PGM_RSRC2:TGID_Y_EN: 0
; COMPUTE_PGM_RSRC2:TGID_Z_EN: 0
; COMPUTE_PGM_RSRC2:TIDIG_COMP_CNT: 1
	.section	.text._ZL18rocblas_dot_kernelIlLb1ELi1024ELi32ELb1EdPKfdEviT5_lT_lS2_lS3_liPT6_PT4_,"axG",@progbits,_ZL18rocblas_dot_kernelIlLb1ELi1024ELi32ELb1EdPKfdEviT5_lT_lS2_lS3_liPT6_PT4_,comdat
	.globl	_ZL18rocblas_dot_kernelIlLb1ELi1024ELi32ELb1EdPKfdEviT5_lT_lS2_lS3_liPT6_PT4_ ; -- Begin function _ZL18rocblas_dot_kernelIlLb1ELi1024ELi32ELb1EdPKfdEviT5_lT_lS2_lS3_liPT6_PT4_
	.p2align	8
	.type	_ZL18rocblas_dot_kernelIlLb1ELi1024ELi32ELb1EdPKfdEviT5_lT_lS2_lS3_liPT6_PT4_,@function
_ZL18rocblas_dot_kernelIlLb1ELi1024ELi32ELb1EdPKfdEviT5_lT_lS2_lS3_liPT6_PT4_: ; @_ZL18rocblas_dot_kernelIlLb1ELi1024ELi32ELb1EdPKfdEviT5_lT_lS2_lS3_liPT6_PT4_
; %bb.0:
	s_clause 0x1
	s_load_b32 s18, s[0:1], 0x0
	s_load_b64 s[2:3], s[0:1], 0x58
	v_mov_b32_e32 v1, 0
	v_mov_b32_e32 v2, 0
	s_mov_b32 s16, s15
	s_mov_b32 s17, 0
	s_mov_b32 s19, exec_lo
	s_waitcnt lgkmcnt(0)
	v_cmpx_gt_i32_e64 s18, v0
	s_cbranch_execz .LBB576_4
; %bb.1:
	s_clause 0x4
	s_load_b32 s24, s[0:1], 0x60
	s_load_b256 s[4:11], s[0:1], 0x20
	s_load_b128 s[12:15], s[0:1], 0x10
	s_load_b64 s[20:21], s[0:1], 0x40
	s_load_b64 s[22:23], s[0:1], 0x8
	s_waitcnt lgkmcnt(0)
	s_lshl_b32 s1, s24, 10
	v_mad_u64_u32 v[3:4], null, s10, v0, 0
	v_mad_u64_u32 v[1:2], null, s14, v0, 0
	s_mul_i32 s0, s5, s16
	s_mul_hi_u32 s5, s4, s16
	s_mul_i32 s4, s4, s16
	s_add_i32 s5, s5, s0
	s_lshl_b64 s[12:13], s[12:13], 2
	s_lshl_b64 s[4:5], s[4:5], 2
	s_delay_alu instid0(VALU_DEP_1)
	v_mad_u64_u32 v[5:6], null, s15, v0, v[2:3]
	s_add_u32 s12, s22, s12
	s_addc_u32 s13, s23, s13
	s_add_u32 s22, s12, s4
	s_addc_u32 s23, s13, s5
	s_ashr_i32 s27, s1, 31
	s_mul_hi_u32 s0, s14, s1
	s_delay_alu instid0(VALU_DEP_1)
	v_mad_u64_u32 v[8:9], null, s11, v0, v[4:5]
	v_mov_b32_e32 v2, v5
	s_mul_i32 s4, s14, s27
	s_mul_i32 s21, s21, s16
	s_mul_hi_u32 s25, s20, s16
	s_mul_i32 s26, s15, s1
	s_add_i32 s0, s0, s4
	s_delay_alu instid0(VALU_DEP_2)
	v_mov_b32_e32 v4, v8
	v_lshlrev_b64 v[1:2], 2, v[1:2]
	s_mul_i32 s20, s20, s16
	s_mul_i32 s24, s14, s1
	s_add_i32 s21, s25, s21
	s_add_i32 s25, s0, s26
	s_lshl_b64 s[8:9], s[8:9], 2
	v_lshlrev_b64 v[5:6], 2, v[3:4]
	s_lshl_b64 s[12:13], s[20:21], 2
	s_lshl_b64 s[4:5], s[24:25], 2
	s_add_u32 s0, s6, s8
	s_addc_u32 s6, s7, s9
	v_add_co_u32 v3, vcc_lo, s22, v1
	s_add_u32 s0, s0, s12
	s_mul_i32 s7, s10, s27
	s_mul_hi_u32 s8, s10, s1
	v_add_co_ci_u32_e32 v4, vcc_lo, s23, v2, vcc_lo
	v_mov_b32_e32 v1, 0
	s_addc_u32 s9, s6, s13
	v_add_co_u32 v5, vcc_lo, s0, v5
	s_add_i32 s6, s8, s7
	s_mul_i32 s7, s11, s1
	v_or_b32_e32 v7, s1, v0
	v_mov_b32_e32 v2, 0
	v_add_co_ci_u32_e32 v6, vcc_lo, s9, v6, vcc_lo
	s_add_i32 s7, s6, s7
	s_mul_i32 s6, s10, s1
	s_mov_b32 s8, s17
	s_lshl_b64 s[6:7], s[6:7], 2
	s_mov_b32 s9, s17
	.p2align	6
.LBB576_2:                              ; =>This Inner Loop Header: Depth=1
	global_load_b32 v8, v[5:6], off
	global_load_b32 v10, v[3:4], off
	s_add_i32 s10, s9, 1
	v_cmp_le_i32_e32 vcc_lo, s18, v7
	v_add_co_u32 v3, s0, v3, s4
	s_cmp_gt_u32 s9, 30
	v_add_co_ci_u32_e64 v4, s0, s5, v4, s0
	s_cselect_b32 s9, -1, 0
	v_add_co_u32 v5, s0, v5, s6
	s_or_b32 s9, s9, vcc_lo
	v_add_nc_u32_e32 v7, s1, v7
	v_add_co_ci_u32_e64 v6, vcc_lo, s7, v6, s0
	s_and_b32 s0, exec_lo, s9
	s_mov_b32 s9, s10
	s_or_b32 s8, s0, s8
	s_waitcnt vmcnt(1)
	v_cvt_f64_f32_e32 v[8:9], v8
	s_waitcnt vmcnt(0)
	v_cvt_f64_f32_e32 v[10:11], v10
	s_delay_alu instid0(VALU_DEP_1)
	v_fma_f64 v[1:2], v[8:9], v[10:11], v[1:2]
	s_and_not1_b32 exec_lo, exec_lo, s8
	s_cbranch_execnz .LBB576_2
; %bb.3:
	s_or_b32 exec_lo, exec_lo, s8
.LBB576_4:
	s_delay_alu instid0(SALU_CYCLE_1) | instskip(SKIP_2) | instid1(VALU_DEP_2)
	s_or_b32 exec_lo, exec_lo, s19
	v_and_b32_e32 v11, 31, v0
	v_cmp_gt_u32_e32 vcc_lo, 32, v0
	v_lshlrev_b32_e32 v5, 3, v11
	s_and_saveexec_b32 s0, vcc_lo
	s_cbranch_execz .LBB576_6
; %bb.5:
	v_mov_b32_e32 v3, 0
	s_delay_alu instid0(VALU_DEP_1)
	v_mov_b32_e32 v4, v3
	ds_store_b64 v5, v[3:4]
.LBB576_6:
	s_or_b32 exec_lo, exec_lo, s0
	v_mbcnt_lo_u32_b32 v10, -1, 0
	s_mov_b32 s1, exec_lo
	s_waitcnt lgkmcnt(0)
	s_barrier
	buffer_gl0_inv
	v_cmp_gt_u32_e64 s0, 16, v10
	s_delay_alu instid0(VALU_DEP_1) | instskip(SKIP_1) | instid1(VALU_DEP_2)
	v_cndmask_b32_e64 v3, 0, 1, s0
	v_cmp_gt_u32_e64 s0, 24, v10
	v_lshlrev_b32_e32 v3, 4, v3
	s_delay_alu instid0(VALU_DEP_1)
	v_add_lshl_u32 v6, v3, v10, 2
	ds_bpermute_b32 v3, v6, v1
	ds_bpermute_b32 v4, v6, v2
	s_waitcnt lgkmcnt(0)
	v_add_f64 v[1:2], v[1:2], v[3:4]
	v_cndmask_b32_e64 v3, 0, 1, s0
	v_cmp_gt_u32_e64 s0, 28, v10
	s_delay_alu instid0(VALU_DEP_2) | instskip(NEXT) | instid1(VALU_DEP_1)
	v_lshlrev_b32_e32 v3, 3, v3
	v_add_lshl_u32 v7, v3, v10, 2
	ds_bpermute_b32 v3, v7, v1
	ds_bpermute_b32 v4, v7, v2
	s_waitcnt lgkmcnt(0)
	v_add_f64 v[1:2], v[1:2], v[3:4]
	v_cndmask_b32_e64 v3, 0, 1, s0
	v_cmp_gt_u32_e64 s0, 30, v10
	s_delay_alu instid0(VALU_DEP_2) | instskip(NEXT) | instid1(VALU_DEP_1)
	v_lshlrev_b32_e32 v3, 2, v3
	v_add_lshl_u32 v8, v3, v10, 2
	ds_bpermute_b32 v3, v8, v1
	ds_bpermute_b32 v4, v8, v2
	s_waitcnt lgkmcnt(0)
	v_add_f64 v[1:2], v[1:2], v[3:4]
	v_cndmask_b32_e64 v3, 0, 1, s0
	v_cmp_ne_u32_e64 s0, 31, v10
	s_delay_alu instid0(VALU_DEP_2) | instskip(NEXT) | instid1(VALU_DEP_1)
	v_lshlrev_b32_e32 v3, 1, v3
	v_add_lshl_u32 v9, v3, v10, 2
	ds_bpermute_b32 v3, v9, v1
	ds_bpermute_b32 v4, v9, v2
	s_waitcnt lgkmcnt(0)
	v_add_f64 v[1:2], v[1:2], v[3:4]
	v_add_co_ci_u32_e64 v3, s0, 0, v10, s0
	s_delay_alu instid0(VALU_DEP_1)
	v_lshlrev_b32_e32 v10, 2, v3
	ds_bpermute_b32 v3, v10, v1
	ds_bpermute_b32 v4, v10, v2
	v_cmpx_eq_u32_e32 0, v11
	s_cbranch_execz .LBB576_8
; %bb.7:
	s_waitcnt lgkmcnt(0)
	v_add_f64 v[1:2], v[1:2], v[3:4]
	v_lshrrev_b32_e32 v3, 2, v0
	s_delay_alu instid0(VALU_DEP_1)
	v_and_b32_e32 v3, 0xf8, v3
	ds_store_b64 v3, v[1:2]
.LBB576_8:
	s_or_b32 exec_lo, exec_lo, s1
	v_mov_b32_e32 v1, 0
	v_mov_b32_e32 v2, 0
	s_waitcnt lgkmcnt(0)
	s_barrier
	buffer_gl0_inv
	s_and_saveexec_b32 s0, vcc_lo
	s_cbranch_execz .LBB576_10
; %bb.9:
	ds_load_b64 v[1:2], v5
.LBB576_10:
	s_or_b32 exec_lo, exec_lo, s0
	s_and_saveexec_b32 s0, vcc_lo
	s_cbranch_execz .LBB576_12
; %bb.11:
	s_waitcnt lgkmcnt(0)
	ds_bpermute_b32 v3, v6, v1
	ds_bpermute_b32 v4, v6, v2
	s_waitcnt lgkmcnt(0)
	v_add_f64 v[1:2], v[1:2], v[3:4]
	ds_bpermute_b32 v3, v7, v1
	ds_bpermute_b32 v4, v7, v2
	s_waitcnt lgkmcnt(0)
	v_add_f64 v[1:2], v[1:2], v[3:4]
	;; [unrolled: 4-line block ×5, first 2 shown]
.LBB576_12:
	s_or_b32 exec_lo, exec_lo, s0
	s_delay_alu instid0(SALU_CYCLE_1)
	s_mov_b32 s0, exec_lo
	v_cmpx_eq_u32_e32 0, v0
	s_cbranch_execz .LBB576_14
; %bb.13:
	s_lshl_b64 s[0:1], s[16:17], 3
	v_mov_b32_e32 v0, 0
	s_add_u32 s0, s2, s0
	s_addc_u32 s1, s3, s1
	s_waitcnt lgkmcnt(0)
	global_store_b64 v0, v[1:2], s[0:1]
.LBB576_14:
	s_nop 0
	s_sendmsg sendmsg(MSG_DEALLOC_VGPRS)
	s_endpgm
	.section	.rodata,"a",@progbits
	.p2align	6, 0x0
	.amdhsa_kernel _ZL18rocblas_dot_kernelIlLb1ELi1024ELi32ELb1EdPKfdEviT5_lT_lS2_lS3_liPT6_PT4_
		.amdhsa_group_segment_fixed_size 256
		.amdhsa_private_segment_fixed_size 0
		.amdhsa_kernarg_size 352
		.amdhsa_user_sgpr_count 14
		.amdhsa_user_sgpr_dispatch_ptr 0
		.amdhsa_user_sgpr_queue_ptr 0
		.amdhsa_user_sgpr_kernarg_segment_ptr 1
		.amdhsa_user_sgpr_dispatch_id 0
		.amdhsa_user_sgpr_private_segment_size 0
		.amdhsa_wavefront_size32 1
		.amdhsa_uses_dynamic_stack 0
		.amdhsa_enable_private_segment 0
		.amdhsa_system_sgpr_workgroup_id_x 1
		.amdhsa_system_sgpr_workgroup_id_y 0
		.amdhsa_system_sgpr_workgroup_id_z 1
		.amdhsa_system_sgpr_workgroup_info 0
		.amdhsa_system_vgpr_workitem_id 0
		.amdhsa_next_free_vgpr 12
		.amdhsa_next_free_sgpr 28
		.amdhsa_reserve_vcc 1
		.amdhsa_float_round_mode_32 0
		.amdhsa_float_round_mode_16_64 0
		.amdhsa_float_denorm_mode_32 3
		.amdhsa_float_denorm_mode_16_64 3
		.amdhsa_dx10_clamp 1
		.amdhsa_ieee_mode 1
		.amdhsa_fp16_overflow 0
		.amdhsa_workgroup_processor_mode 1
		.amdhsa_memory_ordered 1
		.amdhsa_forward_progress 0
		.amdhsa_shared_vgpr_count 0
		.amdhsa_exception_fp_ieee_invalid_op 0
		.amdhsa_exception_fp_denorm_src 0
		.amdhsa_exception_fp_ieee_div_zero 0
		.amdhsa_exception_fp_ieee_overflow 0
		.amdhsa_exception_fp_ieee_underflow 0
		.amdhsa_exception_fp_ieee_inexact 0
		.amdhsa_exception_int_div_zero 0
	.end_amdhsa_kernel
	.section	.text._ZL18rocblas_dot_kernelIlLb1ELi1024ELi32ELb1EdPKfdEviT5_lT_lS2_lS3_liPT6_PT4_,"axG",@progbits,_ZL18rocblas_dot_kernelIlLb1ELi1024ELi32ELb1EdPKfdEviT5_lT_lS2_lS3_liPT6_PT4_,comdat
.Lfunc_end576:
	.size	_ZL18rocblas_dot_kernelIlLb1ELi1024ELi32ELb1EdPKfdEviT5_lT_lS2_lS3_liPT6_PT4_, .Lfunc_end576-_ZL18rocblas_dot_kernelIlLb1ELi1024ELi32ELb1EdPKfdEviT5_lT_lS2_lS3_liPT6_PT4_
                                        ; -- End function
	.section	.AMDGPU.csdata,"",@progbits
; Kernel info:
; codeLenInByte = 1152
; NumSgprs: 30
; NumVgprs: 12
; ScratchSize: 0
; MemoryBound: 0
; FloatMode: 240
; IeeeMode: 1
; LDSByteSize: 256 bytes/workgroup (compile time only)
; SGPRBlocks: 3
; VGPRBlocks: 1
; NumSGPRsForWavesPerEU: 30
; NumVGPRsForWavesPerEU: 12
; Occupancy: 16
; WaveLimiterHint : 0
; COMPUTE_PGM_RSRC2:SCRATCH_EN: 0
; COMPUTE_PGM_RSRC2:USER_SGPR: 14
; COMPUTE_PGM_RSRC2:TRAP_HANDLER: 0
; COMPUTE_PGM_RSRC2:TGID_X_EN: 1
; COMPUTE_PGM_RSRC2:TGID_Y_EN: 0
; COMPUTE_PGM_RSRC2:TGID_Z_EN: 1
; COMPUTE_PGM_RSRC2:TIDIG_COMP_CNT: 0
	.section	.text._ZL24rocblas_dot_kernel_magsqIlLb1ELi1024ELi32ELb1EdPKfdEviT5_lT_liPT6_PT4_,"axG",@progbits,_ZL24rocblas_dot_kernel_magsqIlLb1ELi1024ELi32ELb1EdPKfdEviT5_lT_liPT6_PT4_,comdat
	.globl	_ZL24rocblas_dot_kernel_magsqIlLb1ELi1024ELi32ELb1EdPKfdEviT5_lT_liPT6_PT4_ ; -- Begin function _ZL24rocblas_dot_kernel_magsqIlLb1ELi1024ELi32ELb1EdPKfdEviT5_lT_liPT6_PT4_
	.p2align	8
	.type	_ZL24rocblas_dot_kernel_magsqIlLb1ELi1024ELi32ELb1EdPKfdEviT5_lT_liPT6_PT4_,@function
_ZL24rocblas_dot_kernel_magsqIlLb1ELi1024ELi32ELb1EdPKfdEviT5_lT_liPT6_PT4_: ; @_ZL24rocblas_dot_kernel_magsqIlLb1ELi1024ELi32ELb1EdPKfdEviT5_lT_liPT6_PT4_
; %bb.0:
	s_clause 0x1
	s_load_b32 s10, s[0:1], 0x0
	s_load_b64 s[2:3], s[0:1], 0x38
	v_mov_b32_e32 v1, 0
	v_mov_b32_e32 v2, 0
	s_mov_b32 s8, s15
	s_mov_b32 s9, 0
	s_mov_b32 s11, exec_lo
	s_waitcnt lgkmcnt(0)
	v_cmpx_gt_i32_e64 s10, v0
	s_cbranch_execz .LBB577_4
; %bb.1:
	s_clause 0x3
	s_load_b128 s[4:7], s[0:1], 0x10
	s_load_b32 s16, s[0:1], 0x40
	s_load_b64 s[12:13], s[0:1], 0x20
	s_load_b64 s[14:15], s[0:1], 0x8
	s_waitcnt lgkmcnt(0)
	v_mad_u64_u32 v[3:4], null, s6, v0, 0
	s_mul_i32 s0, s13, s8
	s_mul_hi_u32 s13, s12, s8
	s_mul_i32 s12, s12, s8
	s_add_i32 s13, s13, s0
	s_lshl_b64 s[4:5], s[4:5], 2
	s_lshl_b32 s1, s16, 10
	s_delay_alu instid0(VALU_DEP_1)
	v_mad_u64_u32 v[6:7], null, s7, v0, v[4:5]
	v_mov_b32_e32 v1, 0
	s_lshl_b64 s[12:13], s[12:13], 2
	s_add_u32 s0, s14, s4
	s_addc_u32 s4, s15, s5
	s_add_u32 s0, s0, s12
	s_addc_u32 s12, s4, s13
	s_delay_alu instid0(VALU_DEP_2)
	v_mov_b32_e32 v4, v6
	s_ashr_i32 s4, s1, 31
	s_mul_hi_u32 s5, s6, s1
	s_mul_i32 s4, s6, s4
	s_mul_i32 s7, s7, s1
	v_lshlrev_b64 v[3:4], 2, v[3:4]
	s_add_i32 s5, s5, s4
	v_mov_b32_e32 v2, 0
	v_or_b32_e32 v5, s1, v0
	s_mul_i32 s4, s6, s1
	s_add_i32 s5, s5, s7
	v_add_co_u32 v3, vcc_lo, s0, v3
	v_add_co_ci_u32_e32 v4, vcc_lo, s12, v4, vcc_lo
	s_lshl_b64 s[4:5], s[4:5], 2
	s_mov_b32 s6, s9
	s_mov_b32 s7, s9
	.p2align	6
.LBB577_2:                              ; =>This Inner Loop Header: Depth=1
	global_load_b32 v6, v[3:4], off
	s_add_i32 s12, s7, 1
	v_cmp_le_i32_e32 vcc_lo, s10, v5
	s_cmp_gt_u32 s7, 30
	v_add_co_u32 v3, s0, v3, s4
	s_cselect_b32 s7, -1, 0
	v_add_nc_u32_e32 v5, s1, v5
	s_or_b32 s7, s7, vcc_lo
	v_add_co_ci_u32_e64 v4, vcc_lo, s5, v4, s0
	s_and_b32 s0, exec_lo, s7
	s_mov_b32 s7, s12
	s_or_b32 s6, s0, s6
	s_waitcnt vmcnt(0)
	v_cvt_f64_f32_e32 v[6:7], v6
	s_delay_alu instid0(VALU_DEP_1)
	v_fma_f64 v[1:2], v[6:7], v[6:7], v[1:2]
	s_and_not1_b32 exec_lo, exec_lo, s6
	s_cbranch_execnz .LBB577_2
; %bb.3:
	s_or_b32 exec_lo, exec_lo, s6
.LBB577_4:
	s_delay_alu instid0(SALU_CYCLE_1) | instskip(SKIP_2) | instid1(VALU_DEP_2)
	s_or_b32 exec_lo, exec_lo, s11
	v_and_b32_e32 v11, 31, v0
	v_cmp_gt_u32_e32 vcc_lo, 32, v0
	v_lshlrev_b32_e32 v5, 3, v11
	s_and_saveexec_b32 s0, vcc_lo
	s_cbranch_execz .LBB577_6
; %bb.5:
	v_mov_b32_e32 v3, 0
	s_delay_alu instid0(VALU_DEP_1)
	v_mov_b32_e32 v4, v3
	ds_store_b64 v5, v[3:4]
.LBB577_6:
	s_or_b32 exec_lo, exec_lo, s0
	v_mbcnt_lo_u32_b32 v10, -1, 0
	s_mov_b32 s1, exec_lo
	s_waitcnt lgkmcnt(0)
	s_barrier
	buffer_gl0_inv
	v_cmp_gt_u32_e64 s0, 16, v10
	s_delay_alu instid0(VALU_DEP_1) | instskip(SKIP_1) | instid1(VALU_DEP_2)
	v_cndmask_b32_e64 v3, 0, 1, s0
	v_cmp_gt_u32_e64 s0, 24, v10
	v_lshlrev_b32_e32 v3, 4, v3
	s_delay_alu instid0(VALU_DEP_1)
	v_add_lshl_u32 v6, v3, v10, 2
	ds_bpermute_b32 v3, v6, v1
	ds_bpermute_b32 v4, v6, v2
	s_waitcnt lgkmcnt(0)
	v_add_f64 v[1:2], v[1:2], v[3:4]
	v_cndmask_b32_e64 v3, 0, 1, s0
	v_cmp_gt_u32_e64 s0, 28, v10
	s_delay_alu instid0(VALU_DEP_2) | instskip(NEXT) | instid1(VALU_DEP_1)
	v_lshlrev_b32_e32 v3, 3, v3
	v_add_lshl_u32 v7, v3, v10, 2
	ds_bpermute_b32 v3, v7, v1
	ds_bpermute_b32 v4, v7, v2
	s_waitcnt lgkmcnt(0)
	v_add_f64 v[1:2], v[1:2], v[3:4]
	v_cndmask_b32_e64 v3, 0, 1, s0
	v_cmp_gt_u32_e64 s0, 30, v10
	s_delay_alu instid0(VALU_DEP_2) | instskip(NEXT) | instid1(VALU_DEP_1)
	v_lshlrev_b32_e32 v3, 2, v3
	v_add_lshl_u32 v8, v3, v10, 2
	ds_bpermute_b32 v3, v8, v1
	ds_bpermute_b32 v4, v8, v2
	s_waitcnt lgkmcnt(0)
	v_add_f64 v[1:2], v[1:2], v[3:4]
	v_cndmask_b32_e64 v3, 0, 1, s0
	v_cmp_ne_u32_e64 s0, 31, v10
	s_delay_alu instid0(VALU_DEP_2) | instskip(NEXT) | instid1(VALU_DEP_1)
	v_lshlrev_b32_e32 v3, 1, v3
	v_add_lshl_u32 v9, v3, v10, 2
	ds_bpermute_b32 v3, v9, v1
	ds_bpermute_b32 v4, v9, v2
	s_waitcnt lgkmcnt(0)
	v_add_f64 v[1:2], v[1:2], v[3:4]
	v_add_co_ci_u32_e64 v3, s0, 0, v10, s0
	s_delay_alu instid0(VALU_DEP_1)
	v_lshlrev_b32_e32 v10, 2, v3
	ds_bpermute_b32 v3, v10, v1
	ds_bpermute_b32 v4, v10, v2
	v_cmpx_eq_u32_e32 0, v11
	s_cbranch_execz .LBB577_8
; %bb.7:
	s_waitcnt lgkmcnt(0)
	v_add_f64 v[1:2], v[1:2], v[3:4]
	v_lshrrev_b32_e32 v3, 2, v0
	s_delay_alu instid0(VALU_DEP_1)
	v_and_b32_e32 v3, 0xf8, v3
	ds_store_b64 v3, v[1:2]
.LBB577_8:
	s_or_b32 exec_lo, exec_lo, s1
	v_mov_b32_e32 v1, 0
	v_mov_b32_e32 v2, 0
	s_waitcnt lgkmcnt(0)
	s_barrier
	buffer_gl0_inv
	s_and_saveexec_b32 s0, vcc_lo
	s_cbranch_execz .LBB577_10
; %bb.9:
	ds_load_b64 v[1:2], v5
.LBB577_10:
	s_or_b32 exec_lo, exec_lo, s0
	s_and_saveexec_b32 s0, vcc_lo
	s_cbranch_execz .LBB577_12
; %bb.11:
	s_waitcnt lgkmcnt(0)
	ds_bpermute_b32 v3, v6, v1
	ds_bpermute_b32 v4, v6, v2
	s_waitcnt lgkmcnt(0)
	v_add_f64 v[1:2], v[1:2], v[3:4]
	ds_bpermute_b32 v3, v7, v1
	ds_bpermute_b32 v4, v7, v2
	s_waitcnt lgkmcnt(0)
	v_add_f64 v[1:2], v[1:2], v[3:4]
	;; [unrolled: 4-line block ×5, first 2 shown]
.LBB577_12:
	s_or_b32 exec_lo, exec_lo, s0
	s_delay_alu instid0(SALU_CYCLE_1)
	s_mov_b32 s0, exec_lo
	v_cmpx_eq_u32_e32 0, v0
	s_cbranch_execz .LBB577_14
; %bb.13:
	s_lshl_b64 s[0:1], s[8:9], 3
	v_mov_b32_e32 v0, 0
	s_add_u32 s0, s2, s0
	s_addc_u32 s1, s3, s1
	s_waitcnt lgkmcnt(0)
	global_store_b64 v0, v[1:2], s[0:1]
.LBB577_14:
	s_nop 0
	s_sendmsg sendmsg(MSG_DEALLOC_VGPRS)
	s_endpgm
	.section	.rodata,"a",@progbits
	.p2align	6, 0x0
	.amdhsa_kernel _ZL24rocblas_dot_kernel_magsqIlLb1ELi1024ELi32ELb1EdPKfdEviT5_lT_liPT6_PT4_
		.amdhsa_group_segment_fixed_size 256
		.amdhsa_private_segment_fixed_size 0
		.amdhsa_kernarg_size 320
		.amdhsa_user_sgpr_count 14
		.amdhsa_user_sgpr_dispatch_ptr 0
		.amdhsa_user_sgpr_queue_ptr 0
		.amdhsa_user_sgpr_kernarg_segment_ptr 1
		.amdhsa_user_sgpr_dispatch_id 0
		.amdhsa_user_sgpr_private_segment_size 0
		.amdhsa_wavefront_size32 1
		.amdhsa_uses_dynamic_stack 0
		.amdhsa_enable_private_segment 0
		.amdhsa_system_sgpr_workgroup_id_x 1
		.amdhsa_system_sgpr_workgroup_id_y 0
		.amdhsa_system_sgpr_workgroup_id_z 1
		.amdhsa_system_sgpr_workgroup_info 0
		.amdhsa_system_vgpr_workitem_id 0
		.amdhsa_next_free_vgpr 12
		.amdhsa_next_free_sgpr 17
		.amdhsa_reserve_vcc 1
		.amdhsa_float_round_mode_32 0
		.amdhsa_float_round_mode_16_64 0
		.amdhsa_float_denorm_mode_32 3
		.amdhsa_float_denorm_mode_16_64 3
		.amdhsa_dx10_clamp 1
		.amdhsa_ieee_mode 1
		.amdhsa_fp16_overflow 0
		.amdhsa_workgroup_processor_mode 1
		.amdhsa_memory_ordered 1
		.amdhsa_forward_progress 0
		.amdhsa_shared_vgpr_count 0
		.amdhsa_exception_fp_ieee_invalid_op 0
		.amdhsa_exception_fp_denorm_src 0
		.amdhsa_exception_fp_ieee_div_zero 0
		.amdhsa_exception_fp_ieee_overflow 0
		.amdhsa_exception_fp_ieee_underflow 0
		.amdhsa_exception_fp_ieee_inexact 0
		.amdhsa_exception_int_div_zero 0
	.end_amdhsa_kernel
	.section	.text._ZL24rocblas_dot_kernel_magsqIlLb1ELi1024ELi32ELb1EdPKfdEviT5_lT_liPT6_PT4_,"axG",@progbits,_ZL24rocblas_dot_kernel_magsqIlLb1ELi1024ELi32ELb1EdPKfdEviT5_lT_liPT6_PT4_,comdat
.Lfunc_end577:
	.size	_ZL24rocblas_dot_kernel_magsqIlLb1ELi1024ELi32ELb1EdPKfdEviT5_lT_liPT6_PT4_, .Lfunc_end577-_ZL24rocblas_dot_kernel_magsqIlLb1ELi1024ELi32ELb1EdPKfdEviT5_lT_liPT6_PT4_
                                        ; -- End function
	.section	.AMDGPU.csdata,"",@progbits
; Kernel info:
; codeLenInByte = 1000
; NumSgprs: 19
; NumVgprs: 12
; ScratchSize: 0
; MemoryBound: 0
; FloatMode: 240
; IeeeMode: 1
; LDSByteSize: 256 bytes/workgroup (compile time only)
; SGPRBlocks: 2
; VGPRBlocks: 1
; NumSGPRsForWavesPerEU: 19
; NumVGPRsForWavesPerEU: 12
; Occupancy: 16
; WaveLimiterHint : 0
; COMPUTE_PGM_RSRC2:SCRATCH_EN: 0
; COMPUTE_PGM_RSRC2:USER_SGPR: 14
; COMPUTE_PGM_RSRC2:TRAP_HANDLER: 0
; COMPUTE_PGM_RSRC2:TGID_X_EN: 1
; COMPUTE_PGM_RSRC2:TGID_Y_EN: 0
; COMPUTE_PGM_RSRC2:TGID_Z_EN: 1
; COMPUTE_PGM_RSRC2:TIDIG_COMP_CNT: 0
	.section	.text._ZL18rocblas_dot_kernelIlLb0ELi512ELi2ELb1EdPKfdEviT5_lT_lS2_lS3_liPT6_PT4_,"axG",@progbits,_ZL18rocblas_dot_kernelIlLb0ELi512ELi2ELb1EdPKfdEviT5_lT_lS2_lS3_liPT6_PT4_,comdat
	.globl	_ZL18rocblas_dot_kernelIlLb0ELi512ELi2ELb1EdPKfdEviT5_lT_lS2_lS3_liPT6_PT4_ ; -- Begin function _ZL18rocblas_dot_kernelIlLb0ELi512ELi2ELb1EdPKfdEviT5_lT_lS2_lS3_liPT6_PT4_
	.p2align	8
	.type	_ZL18rocblas_dot_kernelIlLb0ELi512ELi2ELb1EdPKfdEviT5_lT_lS2_lS3_liPT6_PT4_,@function
_ZL18rocblas_dot_kernelIlLb0ELi512ELi2ELb1EdPKfdEviT5_lT_lS2_lS3_liPT6_PT4_: ; @_ZL18rocblas_dot_kernelIlLb0ELi512ELi2ELb1EdPKfdEviT5_lT_lS2_lS3_liPT6_PT4_
; %bb.0:
	s_mov_b32 s12, s15
	s_clause 0x1
	s_load_b32 s15, s[0:1], 0x0
	s_load_b32 s3, s[0:1], 0x60
	v_mov_b32_e32 v1, 0
	v_lshl_or_b32 v3, s14, 9, v0
	v_mov_b32_e32 v2, 0
	s_mov_b32 s13, 0
	s_mov_b32 s2, exec_lo
	s_waitcnt lgkmcnt(0)
	v_cmpx_gt_i32_e64 s15, v3
	s_cbranch_execz .LBB578_4
; %bb.1:
	s_clause 0x3
	s_load_b256 s[4:11], s[0:1], 0x20
	s_load_b64 s[20:21], s[0:1], 0x40
	s_load_b128 s[16:19], s[0:1], 0x10
	s_load_b64 s[22:23], s[0:1], 0x8
	v_ashrrev_i32_e32 v4, 31, v3
	s_waitcnt lgkmcnt(0)
	s_mul_i32 s5, s12, s5
	s_mul_hi_u32 s24, s12, s4
	v_mul_lo_u32 v6, v3, s11
	v_mul_lo_u32 v7, v4, s10
	v_mad_u64_u32 v[1:2], null, v3, s10, 0
	s_mul_i32 s4, s12, s4
	s_add_i32 s5, s24, s5
	v_mul_lo_u32 v8, v3, s19
	v_mul_lo_u32 v9, v4, s18
	v_mad_u64_u32 v[4:5], null, v3, s18, 0
	s_lshl_b64 s[4:5], s[4:5], 2
	s_mul_i32 s21, s12, s21
	s_add_u32 s22, s22, s4
	s_addc_u32 s23, s23, s5
	s_lshl_b64 s[4:5], s[16:17], 2
	s_mul_hi_u32 s25, s12, s20
	v_add3_u32 v2, v2, v6, v7
	s_add_u32 s4, s22, s4
	s_mul_i32 s20, s12, s20
	s_addc_u32 s5, s23, s5
	s_add_i32 s21, s25, s21
	v_add3_u32 v5, v5, v8, v9
	s_lshl_b64 s[16:17], s[20:21], 2
	v_lshlrev_b64 v[1:2], 2, v[1:2]
	s_add_u32 s16, s6, s16
	s_addc_u32 s17, s7, s17
	s_lshl_b64 s[6:7], s[8:9], 2
	v_lshlrev_b64 v[3:4], 2, v[4:5]
	s_add_u32 s6, s16, s6
	s_addc_u32 s7, s17, s7
	v_add_co_u32 v1, vcc_lo, s6, v1
	v_add_co_ci_u32_e32 v2, vcc_lo, s7, v2, vcc_lo
	s_delay_alu instid0(VALU_DEP_3)
	v_add_co_u32 v3, vcc_lo, s4, v3
	v_add_co_ci_u32_e32 v4, vcc_lo, s5, v4, vcc_lo
	global_load_b32 v1, v[1:2], off
	global_load_b32 v3, v[3:4], off
	s_add_i32 s8, s14, s3
	s_waitcnt vmcnt(1)
	v_cvt_f64_f32_e32 v[1:2], v1
	s_waitcnt vmcnt(0)
	v_cvt_f64_f32_e32 v[3:4], v3
	s_delay_alu instid0(VALU_DEP_1) | instskip(SKIP_2) | instid1(VALU_DEP_1)
	v_fma_f64 v[1:2], v[1:2], v[3:4], 0
	v_lshl_or_b32 v3, s8, 9, v0
	s_mov_b32 s8, exec_lo
	v_cmpx_gt_i32_e64 s15, v3
	s_cbranch_execz .LBB578_3
; %bb.2:
	v_ashrrev_i32_e32 v8, 31, v3
	v_mul_lo_u32 v9, v3, s11
	v_mad_u64_u32 v[4:5], null, v3, s10, 0
	v_mul_lo_u32 v11, v3, s19
	s_delay_alu instid0(VALU_DEP_4) | instskip(SKIP_2) | instid1(VALU_DEP_3)
	v_mul_lo_u32 v10, v8, s10
	v_mad_u64_u32 v[6:7], null, v3, s18, 0
	v_mul_lo_u32 v3, v8, s18
	v_add3_u32 v5, v5, v9, v10
	s_delay_alu instid0(VALU_DEP_2) | instskip(NEXT) | instid1(VALU_DEP_2)
	v_add3_u32 v7, v7, v11, v3
	v_lshlrev_b64 v[3:4], 2, v[4:5]
	s_delay_alu instid0(VALU_DEP_2) | instskip(NEXT) | instid1(VALU_DEP_2)
	v_lshlrev_b64 v[5:6], 2, v[6:7]
	v_add_co_u32 v3, vcc_lo, s6, v3
	s_delay_alu instid0(VALU_DEP_3) | instskip(NEXT) | instid1(VALU_DEP_3)
	v_add_co_ci_u32_e32 v4, vcc_lo, s7, v4, vcc_lo
	v_add_co_u32 v5, vcc_lo, s4, v5
	s_delay_alu instid0(VALU_DEP_4)
	v_add_co_ci_u32_e32 v6, vcc_lo, s5, v6, vcc_lo
	global_load_b32 v3, v[3:4], off
	global_load_b32 v5, v[5:6], off
	s_waitcnt vmcnt(1)
	v_cvt_f64_f32_e32 v[3:4], v3
	s_waitcnt vmcnt(0)
	v_cvt_f64_f32_e32 v[5:6], v5
	s_delay_alu instid0(VALU_DEP_1)
	v_fma_f64 v[1:2], v[3:4], v[5:6], v[1:2]
.LBB578_3:
	s_or_b32 exec_lo, exec_lo, s8
.LBB578_4:
	s_delay_alu instid0(SALU_CYCLE_1) | instskip(SKIP_2) | instid1(VALU_DEP_2)
	s_or_b32 exec_lo, exec_lo, s2
	v_and_b32_e32 v10, 31, v0
	v_cmp_gt_u32_e32 vcc_lo, 32, v0
	v_lshlrev_b32_e32 v5, 3, v10
	s_and_saveexec_b32 s2, vcc_lo
	s_cbranch_execz .LBB578_6
; %bb.5:
	v_mov_b32_e32 v3, 0
	s_delay_alu instid0(VALU_DEP_1)
	v_mov_b32_e32 v4, v3
	ds_store_b64 v5, v[3:4]
.LBB578_6:
	s_or_b32 exec_lo, exec_lo, s2
	v_mbcnt_lo_u32_b32 v9, -1, 0
	s_mov_b32 s4, exec_lo
	s_waitcnt lgkmcnt(0)
	s_barrier
	buffer_gl0_inv
	v_cmp_gt_u32_e64 s2, 16, v9
	s_delay_alu instid0(VALU_DEP_1) | instskip(SKIP_1) | instid1(VALU_DEP_2)
	v_cndmask_b32_e64 v3, 0, 1, s2
	v_cmp_gt_u32_e64 s2, 24, v9
	v_lshlrev_b32_e32 v3, 4, v3
	s_delay_alu instid0(VALU_DEP_1)
	v_add_lshl_u32 v4, v3, v9, 2
	ds_bpermute_b32 v3, v4, v1
	ds_bpermute_b32 v4, v4, v2
	s_waitcnt lgkmcnt(0)
	v_add_f64 v[1:2], v[1:2], v[3:4]
	v_cndmask_b32_e64 v3, 0, 1, s2
	v_cmp_gt_u32_e64 s2, 28, v9
	s_delay_alu instid0(VALU_DEP_2) | instskip(NEXT) | instid1(VALU_DEP_1)
	v_lshlrev_b32_e32 v3, 3, v3
	v_add_lshl_u32 v6, v3, v9, 2
	ds_bpermute_b32 v3, v6, v1
	ds_bpermute_b32 v4, v6, v2
	s_waitcnt lgkmcnt(0)
	v_add_f64 v[1:2], v[1:2], v[3:4]
	v_cndmask_b32_e64 v3, 0, 1, s2
	v_cmp_gt_u32_e64 s2, 30, v9
	s_delay_alu instid0(VALU_DEP_2) | instskip(NEXT) | instid1(VALU_DEP_1)
	v_lshlrev_b32_e32 v3, 2, v3
	v_add_lshl_u32 v7, v3, v9, 2
	ds_bpermute_b32 v3, v7, v1
	ds_bpermute_b32 v4, v7, v2
	s_waitcnt lgkmcnt(0)
	v_add_f64 v[1:2], v[1:2], v[3:4]
	v_cndmask_b32_e64 v3, 0, 1, s2
	v_cmp_ne_u32_e64 s2, 31, v9
	s_delay_alu instid0(VALU_DEP_2) | instskip(NEXT) | instid1(VALU_DEP_1)
	v_lshlrev_b32_e32 v3, 1, v3
	v_add_lshl_u32 v8, v3, v9, 2
	ds_bpermute_b32 v3, v8, v1
	ds_bpermute_b32 v4, v8, v2
	s_waitcnt lgkmcnt(0)
	v_add_f64 v[1:2], v[1:2], v[3:4]
	v_add_co_ci_u32_e64 v3, s2, 0, v9, s2
	s_delay_alu instid0(VALU_DEP_1)
	v_lshlrev_b32_e32 v9, 2, v3
	ds_bpermute_b32 v3, v9, v1
	ds_bpermute_b32 v4, v9, v2
	v_cmpx_eq_u32_e32 0, v10
	s_cbranch_execz .LBB578_8
; %bb.7:
	s_waitcnt lgkmcnt(0)
	v_add_f64 v[1:2], v[1:2], v[3:4]
	v_lshrrev_b32_e32 v3, 2, v0
	s_delay_alu instid0(VALU_DEP_1)
	v_and_b32_e32 v3, 0x78, v3
	ds_store_b64 v3, v[1:2]
.LBB578_8:
	s_or_b32 exec_lo, exec_lo, s4
	v_mov_b32_e32 v1, 0
	v_mov_b32_e32 v2, 0
	s_mov_b32 s4, exec_lo
	s_waitcnt lgkmcnt(0)
	s_barrier
	buffer_gl0_inv
	v_cmpx_gt_u32_e32 16, v0
	s_cbranch_execz .LBB578_10
; %bb.9:
	ds_load_b64 v[1:2], v5
.LBB578_10:
	s_or_b32 exec_lo, exec_lo, s4
	s_and_saveexec_b32 s2, vcc_lo
	s_cbranch_execz .LBB578_12
; %bb.11:
	s_waitcnt lgkmcnt(0)
	ds_bpermute_b32 v3, v6, v1
	ds_bpermute_b32 v4, v6, v2
	s_waitcnt lgkmcnt(0)
	v_add_f64 v[1:2], v[1:2], v[3:4]
	ds_bpermute_b32 v3, v7, v1
	ds_bpermute_b32 v4, v7, v2
	s_waitcnt lgkmcnt(0)
	v_add_f64 v[1:2], v[1:2], v[3:4]
	;; [unrolled: 4-line block ×4, first 2 shown]
.LBB578_12:
	s_or_b32 exec_lo, exec_lo, s2
	s_delay_alu instid0(SALU_CYCLE_1)
	s_mov_b32 s2, exec_lo
	v_cmpx_eq_u32_e32 0, v0
	s_cbranch_execz .LBB578_18
; %bb.13:
	s_cmp_lg_u32 s3, 1
	s_cbranch_scc0 .LBB578_15
; %bb.14:
	s_load_b64 s[4:5], s[0:1], 0x50
	s_mul_hi_u32 s7, s3, s12
	s_mul_i32 s6, s3, s12
	s_mov_b32 s15, 0
	s_lshl_b64 s[2:3], s[6:7], 3
	s_waitcnt lgkmcnt(0)
	s_add_u32 s4, s4, s2
	s_addc_u32 s5, s5, s3
	s_lshl_b64 s[2:3], s[14:15], 3
	s_delay_alu instid0(SALU_CYCLE_1)
	s_add_u32 s2, s4, s2
	s_addc_u32 s3, s5, s3
	s_cbranch_execz .LBB578_16
	s_branch .LBB578_17
.LBB578_15:
                                        ; implicit-def: $sgpr2_sgpr3
.LBB578_16:
	s_load_b64 s[0:1], s[0:1], 0x58
	s_lshl_b64 s[2:3], s[12:13], 3
	s_waitcnt lgkmcnt(0)
	s_add_u32 s2, s0, s2
	s_addc_u32 s3, s1, s3
.LBB578_17:
	v_mov_b32_e32 v0, 0
	s_waitcnt lgkmcnt(0)
	global_store_b64 v0, v[1:2], s[2:3]
.LBB578_18:
	s_nop 0
	s_sendmsg sendmsg(MSG_DEALLOC_VGPRS)
	s_endpgm
	.section	.rodata,"a",@progbits
	.p2align	6, 0x0
	.amdhsa_kernel _ZL18rocblas_dot_kernelIlLb0ELi512ELi2ELb1EdPKfdEviT5_lT_lS2_lS3_liPT6_PT4_
		.amdhsa_group_segment_fixed_size 256
		.amdhsa_private_segment_fixed_size 0
		.amdhsa_kernarg_size 352
		.amdhsa_user_sgpr_count 14
		.amdhsa_user_sgpr_dispatch_ptr 0
		.amdhsa_user_sgpr_queue_ptr 0
		.amdhsa_user_sgpr_kernarg_segment_ptr 1
		.amdhsa_user_sgpr_dispatch_id 0
		.amdhsa_user_sgpr_private_segment_size 0
		.amdhsa_wavefront_size32 1
		.amdhsa_uses_dynamic_stack 0
		.amdhsa_enable_private_segment 0
		.amdhsa_system_sgpr_workgroup_id_x 1
		.amdhsa_system_sgpr_workgroup_id_y 0
		.amdhsa_system_sgpr_workgroup_id_z 1
		.amdhsa_system_sgpr_workgroup_info 0
		.amdhsa_system_vgpr_workitem_id 0
		.amdhsa_next_free_vgpr 12
		.amdhsa_next_free_sgpr 26
		.amdhsa_reserve_vcc 1
		.amdhsa_float_round_mode_32 0
		.amdhsa_float_round_mode_16_64 0
		.amdhsa_float_denorm_mode_32 3
		.amdhsa_float_denorm_mode_16_64 3
		.amdhsa_dx10_clamp 1
		.amdhsa_ieee_mode 1
		.amdhsa_fp16_overflow 0
		.amdhsa_workgroup_processor_mode 1
		.amdhsa_memory_ordered 1
		.amdhsa_forward_progress 0
		.amdhsa_shared_vgpr_count 0
		.amdhsa_exception_fp_ieee_invalid_op 0
		.amdhsa_exception_fp_denorm_src 0
		.amdhsa_exception_fp_ieee_div_zero 0
		.amdhsa_exception_fp_ieee_overflow 0
		.amdhsa_exception_fp_ieee_underflow 0
		.amdhsa_exception_fp_ieee_inexact 0
		.amdhsa_exception_int_div_zero 0
	.end_amdhsa_kernel
	.section	.text._ZL18rocblas_dot_kernelIlLb0ELi512ELi2ELb1EdPKfdEviT5_lT_lS2_lS3_liPT6_PT4_,"axG",@progbits,_ZL18rocblas_dot_kernelIlLb0ELi512ELi2ELb1EdPKfdEviT5_lT_lS2_lS3_liPT6_PT4_,comdat
.Lfunc_end578:
	.size	_ZL18rocblas_dot_kernelIlLb0ELi512ELi2ELb1EdPKfdEviT5_lT_lS2_lS3_liPT6_PT4_, .Lfunc_end578-_ZL18rocblas_dot_kernelIlLb0ELi512ELi2ELb1EdPKfdEviT5_lT_lS2_lS3_liPT6_PT4_
                                        ; -- End function
	.section	.AMDGPU.csdata,"",@progbits
; Kernel info:
; codeLenInByte = 1268
; NumSgprs: 28
; NumVgprs: 12
; ScratchSize: 0
; MemoryBound: 0
; FloatMode: 240
; IeeeMode: 1
; LDSByteSize: 256 bytes/workgroup (compile time only)
; SGPRBlocks: 3
; VGPRBlocks: 1
; NumSGPRsForWavesPerEU: 28
; NumVGPRsForWavesPerEU: 12
; Occupancy: 16
; WaveLimiterHint : 0
; COMPUTE_PGM_RSRC2:SCRATCH_EN: 0
; COMPUTE_PGM_RSRC2:USER_SGPR: 14
; COMPUTE_PGM_RSRC2:TRAP_HANDLER: 0
; COMPUTE_PGM_RSRC2:TGID_X_EN: 1
; COMPUTE_PGM_RSRC2:TGID_Y_EN: 0
; COMPUTE_PGM_RSRC2:TGID_Z_EN: 1
; COMPUTE_PGM_RSRC2:TIDIG_COMP_CNT: 0
	.section	.text._ZL24rocblas_dot_kernel_magsqIlLb0ELi512ELi2ELb1EdPKfdEviT5_lT_liPT6_PT4_,"axG",@progbits,_ZL24rocblas_dot_kernel_magsqIlLb0ELi512ELi2ELb1EdPKfdEviT5_lT_liPT6_PT4_,comdat
	.globl	_ZL24rocblas_dot_kernel_magsqIlLb0ELi512ELi2ELb1EdPKfdEviT5_lT_liPT6_PT4_ ; -- Begin function _ZL24rocblas_dot_kernel_magsqIlLb0ELi512ELi2ELb1EdPKfdEviT5_lT_liPT6_PT4_
	.p2align	8
	.type	_ZL24rocblas_dot_kernel_magsqIlLb0ELi512ELi2ELb1EdPKfdEviT5_lT_liPT6_PT4_,@function
_ZL24rocblas_dot_kernel_magsqIlLb0ELi512ELi2ELb1EdPKfdEviT5_lT_liPT6_PT4_: ; @_ZL24rocblas_dot_kernel_magsqIlLb0ELi512ELi2ELb1EdPKfdEviT5_lT_liPT6_PT4_
; %bb.0:
	s_clause 0x1
	s_load_b32 s10, s[0:1], 0x0
	s_load_b32 s3, s[0:1], 0x40
	v_mov_b32_e32 v1, 0
	v_lshl_or_b32 v3, s14, 9, v0
	v_mov_b32_e32 v2, 0
	s_mov_b32 s8, s15
	s_mov_b32 s9, 0
	s_mov_b32 s2, exec_lo
	s_waitcnt lgkmcnt(0)
	v_cmpx_gt_i32_e64 s10, v3
	s_cbranch_execz .LBB579_4
; %bb.1:
	s_clause 0x2
	s_load_b128 s[4:7], s[0:1], 0x10
	s_load_b64 s[12:13], s[0:1], 0x20
	s_load_b64 s[16:17], s[0:1], 0x8
	v_ashrrev_i32_e32 v1, 31, v3
	s_waitcnt lgkmcnt(0)
	v_mul_lo_u32 v4, v3, s7
	s_delay_alu instid0(VALU_DEP_2)
	v_mul_lo_u32 v5, v1, s6
	v_mad_u64_u32 v[1:2], null, v3, s6, 0
	s_mul_i32 s11, s8, s13
	s_mul_hi_u32 s13, s8, s12
	s_mul_i32 s12, s8, s12
	s_add_i32 s13, s13, s11
	s_delay_alu instid0(SALU_CYCLE_1) | instskip(NEXT) | instid1(VALU_DEP_1)
	s_lshl_b64 s[12:13], s[12:13], 2
	v_add3_u32 v2, v2, v4, v5
	s_add_u32 s11, s16, s12
	s_addc_u32 s12, s17, s13
	s_lshl_b64 s[4:5], s[4:5], 2
	s_delay_alu instid0(VALU_DEP_1) | instskip(SKIP_3) | instid1(SALU_CYCLE_1)
	v_lshlrev_b64 v[1:2], 2, v[1:2]
	s_add_u32 s4, s11, s4
	s_addc_u32 s5, s12, s5
	s_add_i32 s11, s14, s3
	v_lshl_or_b32 v3, s11, 9, v0
	s_delay_alu instid0(VALU_DEP_2) | instskip(SKIP_1) | instid1(VALU_DEP_3)
	v_add_co_u32 v1, vcc_lo, s4, v1
	v_add_co_ci_u32_e32 v2, vcc_lo, s5, v2, vcc_lo
	v_cmp_gt_i32_e32 vcc_lo, s10, v3
	global_load_b32 v1, v[1:2], off
	s_waitcnt vmcnt(0)
	v_cvt_f64_f32_e32 v[1:2], v1
	s_delay_alu instid0(VALU_DEP_1)
	v_mul_f64 v[1:2], v[1:2], v[1:2]
	s_and_saveexec_b32 s10, vcc_lo
	s_cbranch_execz .LBB579_3
; %bb.2:
	v_ashrrev_i32_e32 v6, 31, v3
	v_mul_lo_u32 v7, v3, s7
	v_mad_u64_u32 v[4:5], null, v3, s6, 0
	s_delay_alu instid0(VALU_DEP_3) | instskip(NEXT) | instid1(VALU_DEP_1)
	v_mul_lo_u32 v3, v6, s6
	v_add3_u32 v5, v5, v7, v3
	s_delay_alu instid0(VALU_DEP_1) | instskip(NEXT) | instid1(VALU_DEP_1)
	v_lshlrev_b64 v[3:4], 2, v[4:5]
	v_add_co_u32 v3, vcc_lo, s4, v3
	s_delay_alu instid0(VALU_DEP_2) | instskip(SKIP_3) | instid1(VALU_DEP_1)
	v_add_co_ci_u32_e32 v4, vcc_lo, s5, v4, vcc_lo
	global_load_b32 v3, v[3:4], off
	s_waitcnt vmcnt(0)
	v_cvt_f64_f32_e32 v[3:4], v3
	v_fma_f64 v[1:2], v[3:4], v[3:4], v[1:2]
.LBB579_3:
	s_or_b32 exec_lo, exec_lo, s10
.LBB579_4:
	s_delay_alu instid0(SALU_CYCLE_1) | instskip(SKIP_2) | instid1(VALU_DEP_2)
	s_or_b32 exec_lo, exec_lo, s2
	v_and_b32_e32 v10, 31, v0
	v_cmp_gt_u32_e32 vcc_lo, 32, v0
	v_lshlrev_b32_e32 v5, 3, v10
	s_and_saveexec_b32 s2, vcc_lo
	s_cbranch_execz .LBB579_6
; %bb.5:
	v_mov_b32_e32 v3, 0
	s_delay_alu instid0(VALU_DEP_1)
	v_mov_b32_e32 v4, v3
	ds_store_b64 v5, v[3:4]
.LBB579_6:
	s_or_b32 exec_lo, exec_lo, s2
	v_mbcnt_lo_u32_b32 v9, -1, 0
	s_mov_b32 s4, exec_lo
	s_waitcnt lgkmcnt(0)
	s_barrier
	buffer_gl0_inv
	v_cmp_gt_u32_e64 s2, 16, v9
	s_delay_alu instid0(VALU_DEP_1) | instskip(SKIP_1) | instid1(VALU_DEP_2)
	v_cndmask_b32_e64 v3, 0, 1, s2
	v_cmp_gt_u32_e64 s2, 24, v9
	v_lshlrev_b32_e32 v3, 4, v3
	s_delay_alu instid0(VALU_DEP_1)
	v_add_lshl_u32 v4, v3, v9, 2
	ds_bpermute_b32 v3, v4, v1
	ds_bpermute_b32 v4, v4, v2
	s_waitcnt lgkmcnt(0)
	v_add_f64 v[1:2], v[1:2], v[3:4]
	v_cndmask_b32_e64 v3, 0, 1, s2
	v_cmp_gt_u32_e64 s2, 28, v9
	s_delay_alu instid0(VALU_DEP_2) | instskip(NEXT) | instid1(VALU_DEP_1)
	v_lshlrev_b32_e32 v3, 3, v3
	v_add_lshl_u32 v6, v3, v9, 2
	ds_bpermute_b32 v3, v6, v1
	ds_bpermute_b32 v4, v6, v2
	s_waitcnt lgkmcnt(0)
	v_add_f64 v[1:2], v[1:2], v[3:4]
	v_cndmask_b32_e64 v3, 0, 1, s2
	v_cmp_gt_u32_e64 s2, 30, v9
	s_delay_alu instid0(VALU_DEP_2) | instskip(NEXT) | instid1(VALU_DEP_1)
	v_lshlrev_b32_e32 v3, 2, v3
	v_add_lshl_u32 v7, v3, v9, 2
	ds_bpermute_b32 v3, v7, v1
	ds_bpermute_b32 v4, v7, v2
	s_waitcnt lgkmcnt(0)
	v_add_f64 v[1:2], v[1:2], v[3:4]
	v_cndmask_b32_e64 v3, 0, 1, s2
	v_cmp_ne_u32_e64 s2, 31, v9
	s_delay_alu instid0(VALU_DEP_2) | instskip(NEXT) | instid1(VALU_DEP_1)
	v_lshlrev_b32_e32 v3, 1, v3
	v_add_lshl_u32 v8, v3, v9, 2
	ds_bpermute_b32 v3, v8, v1
	ds_bpermute_b32 v4, v8, v2
	s_waitcnt lgkmcnt(0)
	v_add_f64 v[1:2], v[1:2], v[3:4]
	v_add_co_ci_u32_e64 v3, s2, 0, v9, s2
	s_delay_alu instid0(VALU_DEP_1)
	v_lshlrev_b32_e32 v9, 2, v3
	ds_bpermute_b32 v3, v9, v1
	ds_bpermute_b32 v4, v9, v2
	v_cmpx_eq_u32_e32 0, v10
	s_cbranch_execz .LBB579_8
; %bb.7:
	s_waitcnt lgkmcnt(0)
	v_add_f64 v[1:2], v[1:2], v[3:4]
	v_lshrrev_b32_e32 v3, 2, v0
	s_delay_alu instid0(VALU_DEP_1)
	v_and_b32_e32 v3, 0x78, v3
	ds_store_b64 v3, v[1:2]
.LBB579_8:
	s_or_b32 exec_lo, exec_lo, s4
	v_mov_b32_e32 v1, 0
	v_mov_b32_e32 v2, 0
	s_mov_b32 s4, exec_lo
	s_waitcnt lgkmcnt(0)
	s_barrier
	buffer_gl0_inv
	v_cmpx_gt_u32_e32 16, v0
	s_cbranch_execz .LBB579_10
; %bb.9:
	ds_load_b64 v[1:2], v5
.LBB579_10:
	s_or_b32 exec_lo, exec_lo, s4
	s_and_saveexec_b32 s2, vcc_lo
	s_cbranch_execz .LBB579_12
; %bb.11:
	s_waitcnt lgkmcnt(0)
	ds_bpermute_b32 v3, v6, v1
	ds_bpermute_b32 v4, v6, v2
	s_waitcnt lgkmcnt(0)
	v_add_f64 v[1:2], v[1:2], v[3:4]
	ds_bpermute_b32 v3, v7, v1
	ds_bpermute_b32 v4, v7, v2
	s_waitcnt lgkmcnt(0)
	v_add_f64 v[1:2], v[1:2], v[3:4]
	;; [unrolled: 4-line block ×4, first 2 shown]
.LBB579_12:
	s_or_b32 exec_lo, exec_lo, s2
	s_delay_alu instid0(SALU_CYCLE_1)
	s_mov_b32 s2, exec_lo
	v_cmpx_eq_u32_e32 0, v0
	s_cbranch_execz .LBB579_18
; %bb.13:
	s_cmp_lg_u32 s3, 1
	s_cbranch_scc0 .LBB579_15
; %bb.14:
	s_load_b64 s[4:5], s[0:1], 0x30
	s_mul_hi_u32 s7, s3, s8
	s_mul_i32 s6, s3, s8
	s_mov_b32 s15, 0
	s_lshl_b64 s[2:3], s[6:7], 3
	s_waitcnt lgkmcnt(0)
	s_add_u32 s4, s4, s2
	s_addc_u32 s5, s5, s3
	s_lshl_b64 s[2:3], s[14:15], 3
	s_delay_alu instid0(SALU_CYCLE_1)
	s_add_u32 s2, s4, s2
	s_addc_u32 s3, s5, s3
	s_cbranch_execz .LBB579_16
	s_branch .LBB579_17
.LBB579_15:
                                        ; implicit-def: $sgpr2_sgpr3
.LBB579_16:
	s_load_b64 s[0:1], s[0:1], 0x38
	s_lshl_b64 s[2:3], s[8:9], 3
	s_waitcnt lgkmcnt(0)
	s_add_u32 s2, s0, s2
	s_addc_u32 s3, s1, s3
.LBB579_17:
	v_mov_b32_e32 v0, 0
	s_waitcnt lgkmcnt(0)
	global_store_b64 v0, v[1:2], s[2:3]
.LBB579_18:
	s_nop 0
	s_sendmsg sendmsg(MSG_DEALLOC_VGPRS)
	s_endpgm
	.section	.rodata,"a",@progbits
	.p2align	6, 0x0
	.amdhsa_kernel _ZL24rocblas_dot_kernel_magsqIlLb0ELi512ELi2ELb1EdPKfdEviT5_lT_liPT6_PT4_
		.amdhsa_group_segment_fixed_size 256
		.amdhsa_private_segment_fixed_size 0
		.amdhsa_kernarg_size 320
		.amdhsa_user_sgpr_count 14
		.amdhsa_user_sgpr_dispatch_ptr 0
		.amdhsa_user_sgpr_queue_ptr 0
		.amdhsa_user_sgpr_kernarg_segment_ptr 1
		.amdhsa_user_sgpr_dispatch_id 0
		.amdhsa_user_sgpr_private_segment_size 0
		.amdhsa_wavefront_size32 1
		.amdhsa_uses_dynamic_stack 0
		.amdhsa_enable_private_segment 0
		.amdhsa_system_sgpr_workgroup_id_x 1
		.amdhsa_system_sgpr_workgroup_id_y 0
		.amdhsa_system_sgpr_workgroup_id_z 1
		.amdhsa_system_sgpr_workgroup_info 0
		.amdhsa_system_vgpr_workitem_id 0
		.amdhsa_next_free_vgpr 11
		.amdhsa_next_free_sgpr 18
		.amdhsa_reserve_vcc 1
		.amdhsa_float_round_mode_32 0
		.amdhsa_float_round_mode_16_64 0
		.amdhsa_float_denorm_mode_32 3
		.amdhsa_float_denorm_mode_16_64 3
		.amdhsa_dx10_clamp 1
		.amdhsa_ieee_mode 1
		.amdhsa_fp16_overflow 0
		.amdhsa_workgroup_processor_mode 1
		.amdhsa_memory_ordered 1
		.amdhsa_forward_progress 0
		.amdhsa_shared_vgpr_count 0
		.amdhsa_exception_fp_ieee_invalid_op 0
		.amdhsa_exception_fp_denorm_src 0
		.amdhsa_exception_fp_ieee_div_zero 0
		.amdhsa_exception_fp_ieee_overflow 0
		.amdhsa_exception_fp_ieee_underflow 0
		.amdhsa_exception_fp_ieee_inexact 0
		.amdhsa_exception_int_div_zero 0
	.end_amdhsa_kernel
	.section	.text._ZL24rocblas_dot_kernel_magsqIlLb0ELi512ELi2ELb1EdPKfdEviT5_lT_liPT6_PT4_,"axG",@progbits,_ZL24rocblas_dot_kernel_magsqIlLb0ELi512ELi2ELb1EdPKfdEviT5_lT_liPT6_PT4_,comdat
.Lfunc_end579:
	.size	_ZL24rocblas_dot_kernel_magsqIlLb0ELi512ELi2ELb1EdPKfdEviT5_lT_liPT6_PT4_, .Lfunc_end579-_ZL24rocblas_dot_kernel_magsqIlLb0ELi512ELi2ELb1EdPKfdEviT5_lT_liPT6_PT4_
                                        ; -- End function
	.section	.AMDGPU.csdata,"",@progbits
; Kernel info:
; codeLenInByte = 1080
; NumSgprs: 20
; NumVgprs: 11
; ScratchSize: 0
; MemoryBound: 0
; FloatMode: 240
; IeeeMode: 1
; LDSByteSize: 256 bytes/workgroup (compile time only)
; SGPRBlocks: 2
; VGPRBlocks: 1
; NumSGPRsForWavesPerEU: 20
; NumVGPRsForWavesPerEU: 11
; Occupancy: 16
; WaveLimiterHint : 0
; COMPUTE_PGM_RSRC2:SCRATCH_EN: 0
; COMPUTE_PGM_RSRC2:USER_SGPR: 14
; COMPUTE_PGM_RSRC2:TRAP_HANDLER: 0
; COMPUTE_PGM_RSRC2:TGID_X_EN: 1
; COMPUTE_PGM_RSRC2:TGID_Y_EN: 0
; COMPUTE_PGM_RSRC2:TGID_Z_EN: 1
; COMPUTE_PGM_RSRC2:TIDIG_COMP_CNT: 0
	.section	.text._ZL28rocblas_dot_batched_4_kernelIiLi32ELi4ELb1EddPKPKfEviT5_lT_lS4_lS5_liPT4_,"axG",@progbits,_ZL28rocblas_dot_batched_4_kernelIiLi32ELi4ELb1EddPKPKfEviT5_lT_lS4_lS5_liPT4_,comdat
	.globl	_ZL28rocblas_dot_batched_4_kernelIiLi32ELi4ELb1EddPKPKfEviT5_lT_lS4_lS5_liPT4_ ; -- Begin function _ZL28rocblas_dot_batched_4_kernelIiLi32ELi4ELb1EddPKPKfEviT5_lT_lS4_lS5_liPT4_
	.p2align	8
	.type	_ZL28rocblas_dot_batched_4_kernelIiLi32ELi4ELb1EddPKPKfEviT5_lT_lS4_lS5_liPT4_,@function
_ZL28rocblas_dot_batched_4_kernelIiLi32ELi4ELb1EddPKPKfEviT5_lT_lS4_lS5_liPT4_: ; @_ZL28rocblas_dot_batched_4_kernelIiLi32ELi4ELb1EddPKPKfEviT5_lT_lS4_lS5_liPT4_
; %bb.0:
	s_load_b32 s2, s[0:1], 0x48
	v_bfe_u32 v1, v0, 10, 10
	s_delay_alu instid0(VALU_DEP_1) | instskip(SKIP_1) | instid1(VALU_DEP_1)
	v_lshl_add_u32 v4, s15, 2, v1
	s_waitcnt lgkmcnt(0)
	v_cmp_gt_u32_e32 vcc_lo, s2, v4
	s_and_saveexec_b32 s2, vcc_lo
	s_cbranch_execz .LBB580_7
; %bb.1:
	s_clause 0x1
	s_load_b32 s12, s[0:1], 0x0
	s_load_b64 s[2:3], s[0:1], 0x50
	v_dual_mov_b32 v5, 0 :: v_dual_and_b32 v8, 0x3ff, v0
	v_mov_b32_e32 v2, 0
	v_mov_b32_e32 v3, 0
	s_mov_b32 s13, exec_lo
	s_delay_alu instid0(VALU_DEP_3)
	v_lshlrev_b64 v[0:1], 3, v[4:5]
	s_waitcnt lgkmcnt(0)
	v_cmpx_gt_i32_e64 s12, v8
	s_cbranch_execz .LBB580_5
; %bb.2:
	s_clause 0x3
	s_load_b128 s[4:7], s[0:1], 0x8
	s_load_b128 s[8:11], s[0:1], 0x28
	s_load_b32 s14, s[0:1], 0x18
	s_load_b32 s0, s[0:1], 0x38
	s_waitcnt lgkmcnt(0)
	v_add_co_u32 v2, vcc_lo, s4, v0
	v_add_co_ci_u32_e32 v3, vcc_lo, s5, v1, vcc_lo
	v_add_co_u32 v4, vcc_lo, s8, v0
	v_add_co_ci_u32_e32 v5, vcc_lo, s9, v1, vcc_lo
	v_mad_i64_i32 v[11:12], null, s0, v8, 0
	global_load_b64 v[6:7], v[2:3], off
	global_load_b64 v[9:10], v[4:5], off
	v_mad_i64_i32 v[4:5], null, s14, v8, 0
	s_lshl_b64 s[4:5], s[6:7], 2
	s_lshl_b64 s[6:7], s[10:11], 2
	v_mov_b32_e32 v2, 0
	v_lshlrev_b64 v[11:12], 2, v[11:12]
	v_mov_b32_e32 v3, 0
	s_ashr_i32 s15, s14, 31
	s_delay_alu instid0(VALU_DEP_4) | instskip(SKIP_1) | instid1(VALU_DEP_1)
	v_lshlrev_b64 v[4:5], 2, v[4:5]
	s_ashr_i32 s1, s0, 31
	v_add_co_u32 v4, vcc_lo, v4, s4
	s_delay_alu instid0(VALU_DEP_2)
	v_add_co_ci_u32_e32 v5, vcc_lo, s5, v5, vcc_lo
	v_add_co_u32 v11, vcc_lo, v11, s6
	v_add_co_ci_u32_e32 v12, vcc_lo, s7, v12, vcc_lo
	s_lshl_b64 s[4:5], s[14:15], 7
	s_lshl_b64 s[6:7], s[0:1], 7
	s_mov_b32 s1, 0
	s_waitcnt vmcnt(1)
	v_add_co_u32 v4, vcc_lo, v6, v4
	v_add_co_ci_u32_e32 v5, vcc_lo, v7, v5, vcc_lo
	s_waitcnt vmcnt(0)
	v_add_co_u32 v6, vcc_lo, v9, v11
	v_mov_b32_e32 v9, v8
	v_add_co_ci_u32_e32 v7, vcc_lo, v10, v12, vcc_lo
	.p2align	6
.LBB580_3:                              ; =>This Inner Loop Header: Depth=1
	global_load_b32 v10, v[4:5], off
	global_load_b32 v12, v[6:7], off
	v_add_nc_u32_e32 v9, 32, v9
	v_add_co_u32 v4, vcc_lo, v4, s4
	v_add_co_ci_u32_e32 v5, vcc_lo, s5, v5, vcc_lo
	s_delay_alu instid0(VALU_DEP_3) | instskip(SKIP_1) | instid1(VALU_DEP_1)
	v_cmp_le_i32_e32 vcc_lo, s12, v9
	v_add_co_u32 v6, s0, v6, s6
	v_add_co_ci_u32_e64 v7, s0, s7, v7, s0
	s_or_b32 s1, vcc_lo, s1
	s_waitcnt vmcnt(1)
	v_cvt_f64_f32_e32 v[10:11], v10
	s_waitcnt vmcnt(0)
	v_cvt_f64_f32_e32 v[12:13], v12
	s_delay_alu instid0(VALU_DEP_1)
	v_fma_f64 v[2:3], v[10:11], v[12:13], v[2:3]
	s_and_not1_b32 exec_lo, exec_lo, s1
	s_cbranch_execnz .LBB580_3
; %bb.4:
	s_or_b32 exec_lo, exec_lo, s1
.LBB580_5:
	s_delay_alu instid0(SALU_CYCLE_1)
	s_or_b32 exec_lo, exec_lo, s13
	v_mbcnt_lo_u32_b32 v6, -1, 0
	s_barrier
	buffer_gl0_inv
	v_cmp_gt_u32_e32 vcc_lo, 16, v6
	v_cndmask_b32_e64 v4, 0, 1, vcc_lo
	v_cmp_gt_u32_e32 vcc_lo, 24, v6
	s_delay_alu instid0(VALU_DEP_2) | instskip(NEXT) | instid1(VALU_DEP_1)
	v_lshlrev_b32_e32 v4, 4, v4
	v_add_lshl_u32 v5, v4, v6, 2
	ds_bpermute_b32 v4, v5, v2
	ds_bpermute_b32 v5, v5, v3
	s_waitcnt lgkmcnt(0)
	v_add_f64 v[2:3], v[2:3], v[4:5]
	v_cndmask_b32_e64 v4, 0, 1, vcc_lo
	v_cmp_gt_u32_e32 vcc_lo, 28, v6
	s_delay_alu instid0(VALU_DEP_2) | instskip(NEXT) | instid1(VALU_DEP_1)
	v_lshlrev_b32_e32 v4, 3, v4
	v_add_lshl_u32 v5, v4, v6, 2
	ds_bpermute_b32 v4, v5, v2
	ds_bpermute_b32 v5, v5, v3
	s_waitcnt lgkmcnt(0)
	v_add_f64 v[2:3], v[2:3], v[4:5]
	;; [unrolled: 9-line block ×3, first 2 shown]
	v_cndmask_b32_e64 v4, 0, 1, vcc_lo
	v_cmp_ne_u32_e32 vcc_lo, 31, v6
	s_delay_alu instid0(VALU_DEP_2) | instskip(NEXT) | instid1(VALU_DEP_1)
	v_lshlrev_b32_e32 v4, 1, v4
	v_add_lshl_u32 v5, v4, v6, 2
	ds_bpermute_b32 v4, v5, v2
	ds_bpermute_b32 v5, v5, v3
	s_waitcnt lgkmcnt(0)
	v_add_f64 v[2:3], v[2:3], v[4:5]
	v_add_co_ci_u32_e32 v4, vcc_lo, 0, v6, vcc_lo
	v_cmp_eq_u32_e32 vcc_lo, 0, v8
	s_delay_alu instid0(VALU_DEP_2)
	v_lshlrev_b32_e32 v5, 2, v4
	ds_bpermute_b32 v4, v5, v2
	ds_bpermute_b32 v5, v5, v3
	s_and_b32 exec_lo, exec_lo, vcc_lo
	s_cbranch_execz .LBB580_7
; %bb.6:
	s_waitcnt lgkmcnt(0)
	v_add_f64 v[2:3], v[2:3], v[4:5]
	v_add_co_u32 v0, vcc_lo, s2, v0
	v_add_co_ci_u32_e32 v1, vcc_lo, s3, v1, vcc_lo
	global_store_b64 v[0:1], v[2:3], off
.LBB580_7:
	s_nop 0
	s_sendmsg sendmsg(MSG_DEALLOC_VGPRS)
	s_endpgm
	.section	.rodata,"a",@progbits
	.p2align	6, 0x0
	.amdhsa_kernel _ZL28rocblas_dot_batched_4_kernelIiLi32ELi4ELb1EddPKPKfEviT5_lT_lS4_lS5_liPT4_
		.amdhsa_group_segment_fixed_size 0
		.amdhsa_private_segment_fixed_size 0
		.amdhsa_kernarg_size 88
		.amdhsa_user_sgpr_count 15
		.amdhsa_user_sgpr_dispatch_ptr 0
		.amdhsa_user_sgpr_queue_ptr 0
		.amdhsa_user_sgpr_kernarg_segment_ptr 1
		.amdhsa_user_sgpr_dispatch_id 0
		.amdhsa_user_sgpr_private_segment_size 0
		.amdhsa_wavefront_size32 1
		.amdhsa_uses_dynamic_stack 0
		.amdhsa_enable_private_segment 0
		.amdhsa_system_sgpr_workgroup_id_x 1
		.amdhsa_system_sgpr_workgroup_id_y 0
		.amdhsa_system_sgpr_workgroup_id_z 0
		.amdhsa_system_sgpr_workgroup_info 0
		.amdhsa_system_vgpr_workitem_id 1
		.amdhsa_next_free_vgpr 14
		.amdhsa_next_free_sgpr 16
		.amdhsa_reserve_vcc 1
		.amdhsa_float_round_mode_32 0
		.amdhsa_float_round_mode_16_64 0
		.amdhsa_float_denorm_mode_32 3
		.amdhsa_float_denorm_mode_16_64 3
		.amdhsa_dx10_clamp 1
		.amdhsa_ieee_mode 1
		.amdhsa_fp16_overflow 0
		.amdhsa_workgroup_processor_mode 1
		.amdhsa_memory_ordered 1
		.amdhsa_forward_progress 0
		.amdhsa_shared_vgpr_count 0
		.amdhsa_exception_fp_ieee_invalid_op 0
		.amdhsa_exception_fp_denorm_src 0
		.amdhsa_exception_fp_ieee_div_zero 0
		.amdhsa_exception_fp_ieee_overflow 0
		.amdhsa_exception_fp_ieee_underflow 0
		.amdhsa_exception_fp_ieee_inexact 0
		.amdhsa_exception_int_div_zero 0
	.end_amdhsa_kernel
	.section	.text._ZL28rocblas_dot_batched_4_kernelIiLi32ELi4ELb1EddPKPKfEviT5_lT_lS4_lS5_liPT4_,"axG",@progbits,_ZL28rocblas_dot_batched_4_kernelIiLi32ELi4ELb1EddPKPKfEviT5_lT_lS4_lS5_liPT4_,comdat
.Lfunc_end580:
	.size	_ZL28rocblas_dot_batched_4_kernelIiLi32ELi4ELb1EddPKPKfEviT5_lT_lS4_lS5_liPT4_, .Lfunc_end580-_ZL28rocblas_dot_batched_4_kernelIiLi32ELi4ELb1EddPKPKfEviT5_lT_lS4_lS5_liPT4_
                                        ; -- End function
	.section	.AMDGPU.csdata,"",@progbits
; Kernel info:
; codeLenInByte = 772
; NumSgprs: 18
; NumVgprs: 14
; ScratchSize: 0
; MemoryBound: 0
; FloatMode: 240
; IeeeMode: 1
; LDSByteSize: 0 bytes/workgroup (compile time only)
; SGPRBlocks: 2
; VGPRBlocks: 1
; NumSGPRsForWavesPerEU: 18
; NumVGPRsForWavesPerEU: 14
; Occupancy: 16
; WaveLimiterHint : 0
; COMPUTE_PGM_RSRC2:SCRATCH_EN: 0
; COMPUTE_PGM_RSRC2:USER_SGPR: 15
; COMPUTE_PGM_RSRC2:TRAP_HANDLER: 0
; COMPUTE_PGM_RSRC2:TGID_X_EN: 1
; COMPUTE_PGM_RSRC2:TGID_Y_EN: 0
; COMPUTE_PGM_RSRC2:TGID_Z_EN: 0
; COMPUTE_PGM_RSRC2:TIDIG_COMP_CNT: 1
	.section	.text._ZL28rocblas_dot_batched_4_kernelIiLi64ELi4ELb1EddPKPKfEviT5_lT_lS4_lS5_liPT4_,"axG",@progbits,_ZL28rocblas_dot_batched_4_kernelIiLi64ELi4ELb1EddPKPKfEviT5_lT_lS4_lS5_liPT4_,comdat
	.globl	_ZL28rocblas_dot_batched_4_kernelIiLi64ELi4ELb1EddPKPKfEviT5_lT_lS4_lS5_liPT4_ ; -- Begin function _ZL28rocblas_dot_batched_4_kernelIiLi64ELi4ELb1EddPKPKfEviT5_lT_lS4_lS5_liPT4_
	.p2align	8
	.type	_ZL28rocblas_dot_batched_4_kernelIiLi64ELi4ELb1EddPKPKfEviT5_lT_lS4_lS5_liPT4_,@function
_ZL28rocblas_dot_batched_4_kernelIiLi64ELi4ELb1EddPKPKfEviT5_lT_lS4_lS5_liPT4_: ; @_ZL28rocblas_dot_batched_4_kernelIiLi64ELi4ELb1EddPKPKfEviT5_lT_lS4_lS5_liPT4_
; %bb.0:
	s_load_b32 s2, s[0:1], 0x48
	v_bfe_u32 v1, v0, 10, 10
	s_delay_alu instid0(VALU_DEP_1) | instskip(SKIP_1) | instid1(VALU_DEP_1)
	v_lshl_add_u32 v4, s15, 2, v1
	s_waitcnt lgkmcnt(0)
	v_cmp_gt_u32_e32 vcc_lo, s2, v4
	s_and_saveexec_b32 s2, vcc_lo
	s_cbranch_execz .LBB581_7
; %bb.1:
	s_clause 0x1
	s_load_b32 s12, s[0:1], 0x0
	s_load_b64 s[2:3], s[0:1], 0x50
	v_dual_mov_b32 v5, 0 :: v_dual_and_b32 v8, 0x3ff, v0
	v_mov_b32_e32 v2, 0
	v_mov_b32_e32 v3, 0
	s_mov_b32 s13, exec_lo
	s_delay_alu instid0(VALU_DEP_3)
	v_lshlrev_b64 v[0:1], 3, v[4:5]
	s_waitcnt lgkmcnt(0)
	v_cmpx_gt_i32_e64 s12, v8
	s_cbranch_execz .LBB581_5
; %bb.2:
	s_clause 0x3
	s_load_b128 s[4:7], s[0:1], 0x8
	s_load_b128 s[8:11], s[0:1], 0x28
	s_load_b32 s14, s[0:1], 0x18
	s_load_b32 s0, s[0:1], 0x38
	s_waitcnt lgkmcnt(0)
	v_add_co_u32 v2, vcc_lo, s4, v0
	v_add_co_ci_u32_e32 v3, vcc_lo, s5, v1, vcc_lo
	v_add_co_u32 v4, vcc_lo, s8, v0
	v_add_co_ci_u32_e32 v5, vcc_lo, s9, v1, vcc_lo
	v_mad_i64_i32 v[11:12], null, s0, v8, 0
	global_load_b64 v[6:7], v[2:3], off
	global_load_b64 v[9:10], v[4:5], off
	v_mad_i64_i32 v[4:5], null, s14, v8, 0
	s_lshl_b64 s[4:5], s[6:7], 2
	s_lshl_b64 s[6:7], s[10:11], 2
	v_mov_b32_e32 v2, 0
	v_lshlrev_b64 v[11:12], 2, v[11:12]
	v_mov_b32_e32 v3, 0
	s_ashr_i32 s15, s14, 31
	s_delay_alu instid0(VALU_DEP_4) | instskip(SKIP_1) | instid1(VALU_DEP_1)
	v_lshlrev_b64 v[4:5], 2, v[4:5]
	s_ashr_i32 s1, s0, 31
	v_add_co_u32 v4, vcc_lo, v4, s4
	s_delay_alu instid0(VALU_DEP_2)
	v_add_co_ci_u32_e32 v5, vcc_lo, s5, v5, vcc_lo
	v_add_co_u32 v11, vcc_lo, v11, s6
	v_add_co_ci_u32_e32 v12, vcc_lo, s7, v12, vcc_lo
	s_lshl_b64 s[4:5], s[14:15], 8
	s_lshl_b64 s[6:7], s[0:1], 8
	s_mov_b32 s1, 0
	s_waitcnt vmcnt(1)
	v_add_co_u32 v4, vcc_lo, v6, v4
	v_add_co_ci_u32_e32 v5, vcc_lo, v7, v5, vcc_lo
	s_waitcnt vmcnt(0)
	v_add_co_u32 v6, vcc_lo, v9, v11
	v_mov_b32_e32 v9, v8
	v_add_co_ci_u32_e32 v7, vcc_lo, v10, v12, vcc_lo
	.p2align	6
.LBB581_3:                              ; =>This Inner Loop Header: Depth=1
	global_load_b32 v10, v[4:5], off
	global_load_b32 v12, v[6:7], off
	v_add_nc_u32_e32 v9, 64, v9
	v_add_co_u32 v4, vcc_lo, v4, s4
	v_add_co_ci_u32_e32 v5, vcc_lo, s5, v5, vcc_lo
	s_delay_alu instid0(VALU_DEP_3) | instskip(SKIP_1) | instid1(VALU_DEP_1)
	v_cmp_le_i32_e32 vcc_lo, s12, v9
	v_add_co_u32 v6, s0, v6, s6
	v_add_co_ci_u32_e64 v7, s0, s7, v7, s0
	s_or_b32 s1, vcc_lo, s1
	s_waitcnt vmcnt(1)
	v_cvt_f64_f32_e32 v[10:11], v10
	s_waitcnt vmcnt(0)
	v_cvt_f64_f32_e32 v[12:13], v12
	s_delay_alu instid0(VALU_DEP_1)
	v_fma_f64 v[2:3], v[10:11], v[12:13], v[2:3]
	s_and_not1_b32 exec_lo, exec_lo, s1
	s_cbranch_execnz .LBB581_3
; %bb.4:
	s_or_b32 exec_lo, exec_lo, s1
.LBB581_5:
	s_delay_alu instid0(SALU_CYCLE_1)
	s_or_b32 exec_lo, exec_lo, s13
	v_mbcnt_lo_u32_b32 v6, -1, 0
	s_barrier
	buffer_gl0_inv
	v_lshlrev_b32_e32 v5, 2, v6
	v_cmp_gt_u32_e32 vcc_lo, 16, v6
	ds_bpermute_b32 v4, v5, v2
	ds_bpermute_b32 v5, v5, v3
	s_waitcnt lgkmcnt(0)
	v_add_f64 v[2:3], v[2:3], v[4:5]
	v_cndmask_b32_e64 v4, 0, 1, vcc_lo
	v_cmp_gt_u32_e32 vcc_lo, 24, v6
	s_delay_alu instid0(VALU_DEP_2) | instskip(NEXT) | instid1(VALU_DEP_1)
	v_lshlrev_b32_e32 v4, 4, v4
	v_add_lshl_u32 v5, v4, v6, 2
	ds_bpermute_b32 v4, v5, v2
	ds_bpermute_b32 v5, v5, v3
	s_waitcnt lgkmcnt(0)
	v_add_f64 v[2:3], v[2:3], v[4:5]
	v_cndmask_b32_e64 v4, 0, 1, vcc_lo
	v_cmp_gt_u32_e32 vcc_lo, 28, v6
	s_delay_alu instid0(VALU_DEP_2) | instskip(NEXT) | instid1(VALU_DEP_1)
	v_lshlrev_b32_e32 v4, 3, v4
	v_add_lshl_u32 v5, v4, v6, 2
	;; [unrolled: 9-line block ×3, first 2 shown]
	ds_bpermute_b32 v4, v5, v2
	ds_bpermute_b32 v5, v5, v3
	s_waitcnt lgkmcnt(0)
	v_add_f64 v[2:3], v[2:3], v[4:5]
	v_cndmask_b32_e64 v4, 0, 1, vcc_lo
	v_cmp_ne_u32_e32 vcc_lo, 31, v6
	s_delay_alu instid0(VALU_DEP_2) | instskip(NEXT) | instid1(VALU_DEP_1)
	v_lshlrev_b32_e32 v4, 1, v4
	v_add_lshl_u32 v5, v4, v6, 2
	ds_bpermute_b32 v4, v5, v2
	ds_bpermute_b32 v5, v5, v3
	s_waitcnt lgkmcnt(0)
	v_add_f64 v[2:3], v[2:3], v[4:5]
	v_add_co_ci_u32_e32 v4, vcc_lo, 0, v6, vcc_lo
	v_cmp_eq_u32_e32 vcc_lo, 0, v8
	s_delay_alu instid0(VALU_DEP_2)
	v_lshlrev_b32_e32 v5, 2, v4
	ds_bpermute_b32 v4, v5, v2
	ds_bpermute_b32 v5, v5, v3
	s_and_b32 exec_lo, exec_lo, vcc_lo
	s_cbranch_execz .LBB581_7
; %bb.6:
	s_waitcnt lgkmcnt(0)
	v_add_f64 v[2:3], v[2:3], v[4:5]
	v_add_co_u32 v0, vcc_lo, s2, v0
	v_add_co_ci_u32_e32 v1, vcc_lo, s3, v1, vcc_lo
	global_store_b64 v[0:1], v[2:3], off
.LBB581_7:
	s_nop 0
	s_sendmsg sendmsg(MSG_DEALLOC_VGPRS)
	s_endpgm
	.section	.rodata,"a",@progbits
	.p2align	6, 0x0
	.amdhsa_kernel _ZL28rocblas_dot_batched_4_kernelIiLi64ELi4ELb1EddPKPKfEviT5_lT_lS4_lS5_liPT4_
		.amdhsa_group_segment_fixed_size 0
		.amdhsa_private_segment_fixed_size 0
		.amdhsa_kernarg_size 88
		.amdhsa_user_sgpr_count 15
		.amdhsa_user_sgpr_dispatch_ptr 0
		.amdhsa_user_sgpr_queue_ptr 0
		.amdhsa_user_sgpr_kernarg_segment_ptr 1
		.amdhsa_user_sgpr_dispatch_id 0
		.amdhsa_user_sgpr_private_segment_size 0
		.amdhsa_wavefront_size32 1
		.amdhsa_uses_dynamic_stack 0
		.amdhsa_enable_private_segment 0
		.amdhsa_system_sgpr_workgroup_id_x 1
		.amdhsa_system_sgpr_workgroup_id_y 0
		.amdhsa_system_sgpr_workgroup_id_z 0
		.amdhsa_system_sgpr_workgroup_info 0
		.amdhsa_system_vgpr_workitem_id 1
		.amdhsa_next_free_vgpr 14
		.amdhsa_next_free_sgpr 16
		.amdhsa_reserve_vcc 1
		.amdhsa_float_round_mode_32 0
		.amdhsa_float_round_mode_16_64 0
		.amdhsa_float_denorm_mode_32 3
		.amdhsa_float_denorm_mode_16_64 3
		.amdhsa_dx10_clamp 1
		.amdhsa_ieee_mode 1
		.amdhsa_fp16_overflow 0
		.amdhsa_workgroup_processor_mode 1
		.amdhsa_memory_ordered 1
		.amdhsa_forward_progress 0
		.amdhsa_shared_vgpr_count 0
		.amdhsa_exception_fp_ieee_invalid_op 0
		.amdhsa_exception_fp_denorm_src 0
		.amdhsa_exception_fp_ieee_div_zero 0
		.amdhsa_exception_fp_ieee_overflow 0
		.amdhsa_exception_fp_ieee_underflow 0
		.amdhsa_exception_fp_ieee_inexact 0
		.amdhsa_exception_int_div_zero 0
	.end_amdhsa_kernel
	.section	.text._ZL28rocblas_dot_batched_4_kernelIiLi64ELi4ELb1EddPKPKfEviT5_lT_lS4_lS5_liPT4_,"axG",@progbits,_ZL28rocblas_dot_batched_4_kernelIiLi64ELi4ELb1EddPKPKfEviT5_lT_lS4_lS5_liPT4_,comdat
.Lfunc_end581:
	.size	_ZL28rocblas_dot_batched_4_kernelIiLi64ELi4ELb1EddPKPKfEviT5_lT_lS4_lS5_liPT4_, .Lfunc_end581-_ZL28rocblas_dot_batched_4_kernelIiLi64ELi4ELb1EddPKPKfEviT5_lT_lS4_lS5_liPT4_
                                        ; -- End function
	.section	.AMDGPU.csdata,"",@progbits
; Kernel info:
; codeLenInByte = 804
; NumSgprs: 18
; NumVgprs: 14
; ScratchSize: 0
; MemoryBound: 0
; FloatMode: 240
; IeeeMode: 1
; LDSByteSize: 0 bytes/workgroup (compile time only)
; SGPRBlocks: 2
; VGPRBlocks: 1
; NumSGPRsForWavesPerEU: 18
; NumVGPRsForWavesPerEU: 14
; Occupancy: 16
; WaveLimiterHint : 0
; COMPUTE_PGM_RSRC2:SCRATCH_EN: 0
; COMPUTE_PGM_RSRC2:USER_SGPR: 15
; COMPUTE_PGM_RSRC2:TRAP_HANDLER: 0
; COMPUTE_PGM_RSRC2:TGID_X_EN: 1
; COMPUTE_PGM_RSRC2:TGID_Y_EN: 0
; COMPUTE_PGM_RSRC2:TGID_Z_EN: 0
; COMPUTE_PGM_RSRC2:TIDIG_COMP_CNT: 1
	.section	.text._ZL26rocblas_dot_kernel_inc1by2ILb1ELi1024ELi32ELb1EdPKPKfdEviT4_llS4_lliPT5_PT3_,"axG",@progbits,_ZL26rocblas_dot_kernel_inc1by2ILb1ELi1024ELi32ELb1EdPKPKfdEviT4_llS4_lliPT5_PT3_,comdat
	.globl	_ZL26rocblas_dot_kernel_inc1by2ILb1ELi1024ELi32ELb1EdPKPKfdEviT4_llS4_lliPT5_PT3_ ; -- Begin function _ZL26rocblas_dot_kernel_inc1by2ILb1ELi1024ELi32ELb1EdPKPKfdEviT4_llS4_lliPT5_PT3_
	.p2align	8
	.type	_ZL26rocblas_dot_kernel_inc1by2ILb1ELi1024ELi32ELb1EdPKPKfdEviT4_llS4_lliPT5_PT3_,@function
_ZL26rocblas_dot_kernel_inc1by2ILb1ELi1024ELi32ELb1EdPKPKfdEviT4_llS4_lliPT5_PT3_: ; @_ZL26rocblas_dot_kernel_inc1by2ILb1ELi1024ELi32ELb1EdPKPKfdEviT4_llS4_lliPT5_PT3_
; %bb.0:
	s_clause 0x1
	s_load_b32 s6, s[0:1], 0x0
	s_load_b64 s[2:3], s[0:1], 0x48
	v_mov_b32_e32 v1, 0
	v_mov_b32_e32 v2, 0
	s_mov_b32 s4, s15
	s_mov_b32 s5, 0
	s_mov_b32 s7, exec_lo
	s_waitcnt lgkmcnt(0)
	v_cmpx_gt_i32_e64 s6, v0
	s_cbranch_execz .LBB582_4
; %bb.1:
	s_clause 0x1
	s_load_b128 s[8:11], s[0:1], 0x8
	s_load_b128 s[12:15], s[0:1], 0x20
	s_lshl_b64 s[0:1], s[4:5], 3
	v_lshlrev_b32_e32 v5, 2, v0
	v_mov_b32_e32 v1, 0
	v_mov_b32_e32 v2, 0
	v_or_b32_e32 v7, 0x400, v0
	s_waitcnt lgkmcnt(0)
	s_add_u32 s8, s8, s0
	s_addc_u32 s9, s9, s1
	s_add_u32 s0, s12, s0
	s_addc_u32 s1, s13, s1
	s_lshl_b64 s[12:13], s[14:15], 2
	s_load_b64 s[0:1], s[0:1], 0x0
	s_load_b64 s[8:9], s[8:9], 0x0
	s_waitcnt lgkmcnt(0)
	s_add_u32 s12, s0, s12
	s_addc_u32 s13, s1, s13
	s_lshl_b64 s[0:1], s[10:11], 2
	v_add_co_u32 v3, s10, s12, v5
	s_add_u32 s0, s8, s0
	s_addc_u32 s1, s9, s1
	v_add_co_u32 v5, s0, s0, v5
	v_add_co_ci_u32_e64 v4, null, s13, 0, s10
	v_add_co_ci_u32_e64 v6, null, s1, 0, s0
	s_mov_b32 s1, s5
	s_mov_b32 s8, s5
	.p2align	6
.LBB582_2:                              ; =>This Inner Loop Header: Depth=1
	global_load_b32 v8, v[3:4], off
	global_load_b32 v10, v[5:6], off
	s_add_i32 s9, s8, 1
	v_cmp_le_i32_e32 vcc_lo, s6, v7
	v_add_co_u32 v3, s0, 0x1000, v3
	s_cmp_gt_u32 s8, 30
	v_add_co_ci_u32_e64 v4, s0, 0, v4, s0
	s_cselect_b32 s8, -1, 0
	v_add_co_u32 v5, s0, 0x1000, v5
	s_or_b32 s8, s8, vcc_lo
	v_add_nc_u32_e32 v7, 0x400, v7
	v_add_co_ci_u32_e64 v6, vcc_lo, 0, v6, s0
	s_and_b32 s0, exec_lo, s8
	s_mov_b32 s8, s9
	s_or_b32 s1, s0, s1
	s_waitcnt vmcnt(1)
	v_cvt_f64_f32_e32 v[8:9], v8
	s_waitcnt vmcnt(0)
	v_cvt_f64_f32_e32 v[10:11], v10
	s_delay_alu instid0(VALU_DEP_1)
	v_fma_f64 v[1:2], v[8:9], v[10:11], v[1:2]
	s_and_not1_b32 exec_lo, exec_lo, s1
	s_cbranch_execnz .LBB582_2
; %bb.3:
	s_or_b32 exec_lo, exec_lo, s1
.LBB582_4:
	s_delay_alu instid0(SALU_CYCLE_1) | instskip(SKIP_2) | instid1(VALU_DEP_2)
	s_or_b32 exec_lo, exec_lo, s7
	v_and_b32_e32 v11, 31, v0
	v_cmp_gt_u32_e32 vcc_lo, 32, v0
	v_lshlrev_b32_e32 v5, 3, v11
	s_and_saveexec_b32 s0, vcc_lo
	s_cbranch_execz .LBB582_6
; %bb.5:
	v_mov_b32_e32 v3, 0
	s_delay_alu instid0(VALU_DEP_1)
	v_mov_b32_e32 v4, v3
	ds_store_b64 v5, v[3:4]
.LBB582_6:
	s_or_b32 exec_lo, exec_lo, s0
	v_mbcnt_lo_u32_b32 v10, -1, 0
	s_mov_b32 s1, exec_lo
	s_waitcnt lgkmcnt(0)
	s_barrier
	buffer_gl0_inv
	v_cmp_gt_u32_e64 s0, 16, v10
	s_delay_alu instid0(VALU_DEP_1) | instskip(SKIP_1) | instid1(VALU_DEP_2)
	v_cndmask_b32_e64 v3, 0, 1, s0
	v_cmp_gt_u32_e64 s0, 24, v10
	v_lshlrev_b32_e32 v3, 4, v3
	s_delay_alu instid0(VALU_DEP_1)
	v_add_lshl_u32 v6, v3, v10, 2
	ds_bpermute_b32 v3, v6, v1
	ds_bpermute_b32 v4, v6, v2
	s_waitcnt lgkmcnt(0)
	v_add_f64 v[1:2], v[1:2], v[3:4]
	v_cndmask_b32_e64 v3, 0, 1, s0
	v_cmp_gt_u32_e64 s0, 28, v10
	s_delay_alu instid0(VALU_DEP_2) | instskip(NEXT) | instid1(VALU_DEP_1)
	v_lshlrev_b32_e32 v3, 3, v3
	v_add_lshl_u32 v7, v3, v10, 2
	ds_bpermute_b32 v3, v7, v1
	ds_bpermute_b32 v4, v7, v2
	s_waitcnt lgkmcnt(0)
	v_add_f64 v[1:2], v[1:2], v[3:4]
	v_cndmask_b32_e64 v3, 0, 1, s0
	v_cmp_gt_u32_e64 s0, 30, v10
	s_delay_alu instid0(VALU_DEP_2) | instskip(NEXT) | instid1(VALU_DEP_1)
	v_lshlrev_b32_e32 v3, 2, v3
	v_add_lshl_u32 v8, v3, v10, 2
	ds_bpermute_b32 v3, v8, v1
	ds_bpermute_b32 v4, v8, v2
	s_waitcnt lgkmcnt(0)
	v_add_f64 v[1:2], v[1:2], v[3:4]
	v_cndmask_b32_e64 v3, 0, 1, s0
	v_cmp_ne_u32_e64 s0, 31, v10
	s_delay_alu instid0(VALU_DEP_2) | instskip(NEXT) | instid1(VALU_DEP_1)
	v_lshlrev_b32_e32 v3, 1, v3
	v_add_lshl_u32 v9, v3, v10, 2
	ds_bpermute_b32 v3, v9, v1
	ds_bpermute_b32 v4, v9, v2
	s_waitcnt lgkmcnt(0)
	v_add_f64 v[1:2], v[1:2], v[3:4]
	v_add_co_ci_u32_e64 v3, s0, 0, v10, s0
	s_delay_alu instid0(VALU_DEP_1)
	v_lshlrev_b32_e32 v10, 2, v3
	ds_bpermute_b32 v3, v10, v1
	ds_bpermute_b32 v4, v10, v2
	v_cmpx_eq_u32_e32 0, v11
	s_cbranch_execz .LBB582_8
; %bb.7:
	s_waitcnt lgkmcnt(0)
	v_add_f64 v[1:2], v[1:2], v[3:4]
	v_lshrrev_b32_e32 v3, 2, v0
	s_delay_alu instid0(VALU_DEP_1)
	v_and_b32_e32 v3, 0xf8, v3
	ds_store_b64 v3, v[1:2]
.LBB582_8:
	s_or_b32 exec_lo, exec_lo, s1
	v_mov_b32_e32 v1, 0
	v_mov_b32_e32 v2, 0
	s_waitcnt lgkmcnt(0)
	s_barrier
	buffer_gl0_inv
	s_and_saveexec_b32 s0, vcc_lo
	s_cbranch_execz .LBB582_10
; %bb.9:
	ds_load_b64 v[1:2], v5
.LBB582_10:
	s_or_b32 exec_lo, exec_lo, s0
	s_and_saveexec_b32 s0, vcc_lo
	s_cbranch_execz .LBB582_12
; %bb.11:
	s_waitcnt lgkmcnt(0)
	ds_bpermute_b32 v3, v6, v1
	ds_bpermute_b32 v4, v6, v2
	s_waitcnt lgkmcnt(0)
	v_add_f64 v[1:2], v[1:2], v[3:4]
	ds_bpermute_b32 v3, v7, v1
	ds_bpermute_b32 v4, v7, v2
	s_waitcnt lgkmcnt(0)
	v_add_f64 v[1:2], v[1:2], v[3:4]
	;; [unrolled: 4-line block ×5, first 2 shown]
.LBB582_12:
	s_or_b32 exec_lo, exec_lo, s0
	s_delay_alu instid0(SALU_CYCLE_1)
	s_mov_b32 s0, exec_lo
	v_cmpx_eq_u32_e32 0, v0
	s_cbranch_execz .LBB582_14
; %bb.13:
	s_lshl_b64 s[0:1], s[4:5], 3
	v_mov_b32_e32 v0, 0
	s_add_u32 s0, s2, s0
	s_addc_u32 s1, s3, s1
	s_waitcnt lgkmcnt(0)
	global_store_b64 v0, v[1:2], s[0:1]
.LBB582_14:
	s_nop 0
	s_sendmsg sendmsg(MSG_DEALLOC_VGPRS)
	s_endpgm
	.section	.rodata,"a",@progbits
	.p2align	6, 0x0
	.amdhsa_kernel _ZL26rocblas_dot_kernel_inc1by2ILb1ELi1024ELi32ELb1EdPKPKfdEviT4_llS4_lliPT5_PT3_
		.amdhsa_group_segment_fixed_size 256
		.amdhsa_private_segment_fixed_size 0
		.amdhsa_kernarg_size 80
		.amdhsa_user_sgpr_count 14
		.amdhsa_user_sgpr_dispatch_ptr 0
		.amdhsa_user_sgpr_queue_ptr 0
		.amdhsa_user_sgpr_kernarg_segment_ptr 1
		.amdhsa_user_sgpr_dispatch_id 0
		.amdhsa_user_sgpr_private_segment_size 0
		.amdhsa_wavefront_size32 1
		.amdhsa_uses_dynamic_stack 0
		.amdhsa_enable_private_segment 0
		.amdhsa_system_sgpr_workgroup_id_x 1
		.amdhsa_system_sgpr_workgroup_id_y 0
		.amdhsa_system_sgpr_workgroup_id_z 1
		.amdhsa_system_sgpr_workgroup_info 0
		.amdhsa_system_vgpr_workitem_id 0
		.amdhsa_next_free_vgpr 12
		.amdhsa_next_free_sgpr 16
		.amdhsa_reserve_vcc 1
		.amdhsa_float_round_mode_32 0
		.amdhsa_float_round_mode_16_64 0
		.amdhsa_float_denorm_mode_32 3
		.amdhsa_float_denorm_mode_16_64 3
		.amdhsa_dx10_clamp 1
		.amdhsa_ieee_mode 1
		.amdhsa_fp16_overflow 0
		.amdhsa_workgroup_processor_mode 1
		.amdhsa_memory_ordered 1
		.amdhsa_forward_progress 0
		.amdhsa_shared_vgpr_count 0
		.amdhsa_exception_fp_ieee_invalid_op 0
		.amdhsa_exception_fp_denorm_src 0
		.amdhsa_exception_fp_ieee_div_zero 0
		.amdhsa_exception_fp_ieee_overflow 0
		.amdhsa_exception_fp_ieee_underflow 0
		.amdhsa_exception_fp_ieee_inexact 0
		.amdhsa_exception_int_div_zero 0
	.end_amdhsa_kernel
	.section	.text._ZL26rocblas_dot_kernel_inc1by2ILb1ELi1024ELi32ELb1EdPKPKfdEviT4_llS4_lliPT5_PT3_,"axG",@progbits,_ZL26rocblas_dot_kernel_inc1by2ILb1ELi1024ELi32ELb1EdPKPKfdEviT4_llS4_lliPT5_PT3_,comdat
.Lfunc_end582:
	.size	_ZL26rocblas_dot_kernel_inc1by2ILb1ELi1024ELi32ELb1EdPKPKfdEviT4_llS4_lliPT5_PT3_, .Lfunc_end582-_ZL26rocblas_dot_kernel_inc1by2ILb1ELi1024ELi32ELb1EdPKPKfdEviT4_llS4_lliPT5_PT3_
                                        ; -- End function
	.section	.AMDGPU.csdata,"",@progbits
; Kernel info:
; codeLenInByte = 1008
; NumSgprs: 18
; NumVgprs: 12
; ScratchSize: 0
; MemoryBound: 0
; FloatMode: 240
; IeeeMode: 1
; LDSByteSize: 256 bytes/workgroup (compile time only)
; SGPRBlocks: 2
; VGPRBlocks: 1
; NumSGPRsForWavesPerEU: 18
; NumVGPRsForWavesPerEU: 12
; Occupancy: 16
; WaveLimiterHint : 0
; COMPUTE_PGM_RSRC2:SCRATCH_EN: 0
; COMPUTE_PGM_RSRC2:USER_SGPR: 14
; COMPUTE_PGM_RSRC2:TRAP_HANDLER: 0
; COMPUTE_PGM_RSRC2:TGID_X_EN: 1
; COMPUTE_PGM_RSRC2:TGID_Y_EN: 0
; COMPUTE_PGM_RSRC2:TGID_Z_EN: 1
; COMPUTE_PGM_RSRC2:TIDIG_COMP_CNT: 0
	.section	.text._ZL18rocblas_dot_kernelIiLb1ELi1024ELi32ELb1EdPKPKfdEviT5_lT_lS4_lS5_liPT6_PT4_,"axG",@progbits,_ZL18rocblas_dot_kernelIiLb1ELi1024ELi32ELb1EdPKPKfdEviT5_lT_lS4_lS5_liPT6_PT4_,comdat
	.globl	_ZL18rocblas_dot_kernelIiLb1ELi1024ELi32ELb1EdPKPKfdEviT5_lT_lS4_lS5_liPT6_PT4_ ; -- Begin function _ZL18rocblas_dot_kernelIiLb1ELi1024ELi32ELb1EdPKPKfdEviT5_lT_lS4_lS5_liPT6_PT4_
	.p2align	8
	.type	_ZL18rocblas_dot_kernelIiLb1ELi1024ELi32ELb1EdPKPKfdEviT5_lT_lS4_lS5_liPT6_PT4_,@function
_ZL18rocblas_dot_kernelIiLb1ELi1024ELi32ELb1EdPKPKfdEviT5_lT_lS4_lS5_liPT6_PT4_: ; @_ZL18rocblas_dot_kernelIiLb1ELi1024ELi32ELb1EdPKPKfdEviT5_lT_lS4_lS5_liPT6_PT4_
; %bb.0:
	s_clause 0x1
	s_load_b32 s14, s[0:1], 0x0
	s_load_b64 s[2:3], s[0:1], 0x58
	v_mov_b32_e32 v1, 0
	v_mov_b32_e32 v2, 0
	s_mov_b32 s12, s15
	s_mov_b32 s13, 0
	s_mov_b32 s15, exec_lo
	s_waitcnt lgkmcnt(0)
	v_cmpx_gt_i32_e64 s14, v0
	s_cbranch_execz .LBB583_4
; %bb.1:
	s_clause 0x4
	s_load_b128 s[8:11], s[0:1], 0x8
	s_load_b128 s[4:7], s[0:1], 0x28
	s_load_b32 s18, s[0:1], 0x18
	s_load_b32 s20, s[0:1], 0x38
	;; [unrolled: 1-line block ×3, first 2 shown]
	s_lshl_b64 s[0:1], s[12:13], 3
	v_mov_b32_e32 v1, 0
	v_mov_b32_e32 v2, 0
	s_waitcnt lgkmcnt(0)
	s_add_u32 s8, s8, s0
	s_addc_u32 s9, s9, s1
	s_add_u32 s0, s4, s0
	s_load_b64 s[8:9], s[8:9], 0x0
	s_addc_u32 s1, s5, s1
	v_mad_i64_i32 v[3:4], null, s18, v0, 0
	s_load_b64 s[16:17], s[0:1], 0x0
	v_mad_i64_i32 v[5:6], null, s20, v0, 0
	s_lshl_b32 s1, s19, 10
	s_lshl_b64 s[4:5], s[10:11], 2
	s_mul_hi_i32 s11, s18, s1
	s_delay_alu instid0(VALU_DEP_2) | instskip(SKIP_2) | instid1(VALU_DEP_3)
	v_lshlrev_b64 v[3:4], 2, v[3:4]
	s_mul_i32 s10, s18, s1
	v_or_b32_e32 v7, s1, v0
	v_lshlrev_b64 v[5:6], 2, v[5:6]
	s_mul_hi_i32 s19, s20, s1
	s_mul_i32 s18, s20, s1
	s_waitcnt lgkmcnt(0)
	s_add_u32 s0, s8, s4
	s_addc_u32 s8, s9, s5
	s_lshl_b64 s[6:7], s[6:7], 2
	s_lshl_b64 s[4:5], s[10:11], 2
	v_add_co_u32 v3, vcc_lo, s0, v3
	s_add_u32 s0, s16, s6
	v_add_co_ci_u32_e32 v4, vcc_lo, s8, v4, vcc_lo
	s_addc_u32 s6, s17, s7
	v_add_co_u32 v5, vcc_lo, s0, v5
	v_add_co_ci_u32_e32 v6, vcc_lo, s6, v6, vcc_lo
	s_lshl_b64 s[6:7], s[18:19], 2
	s_mov_b32 s8, s13
	s_mov_b32 s9, s13
	.p2align	6
.LBB583_2:                              ; =>This Inner Loop Header: Depth=1
	global_load_b32 v8, v[5:6], off
	global_load_b32 v10, v[3:4], off
	s_add_i32 s10, s9, 1
	v_cmp_le_i32_e32 vcc_lo, s14, v7
	v_add_co_u32 v3, s0, v3, s4
	s_cmp_gt_u32 s9, 30
	v_add_co_ci_u32_e64 v4, s0, s5, v4, s0
	s_cselect_b32 s9, -1, 0
	v_add_co_u32 v5, s0, v5, s6
	s_or_b32 s9, s9, vcc_lo
	v_add_nc_u32_e32 v7, s1, v7
	v_add_co_ci_u32_e64 v6, vcc_lo, s7, v6, s0
	s_and_b32 s0, exec_lo, s9
	s_mov_b32 s9, s10
	s_or_b32 s8, s0, s8
	s_waitcnt vmcnt(1)
	v_cvt_f64_f32_e32 v[8:9], v8
	s_waitcnt vmcnt(0)
	v_cvt_f64_f32_e32 v[10:11], v10
	s_delay_alu instid0(VALU_DEP_1)
	v_fma_f64 v[1:2], v[8:9], v[10:11], v[1:2]
	s_and_not1_b32 exec_lo, exec_lo, s8
	s_cbranch_execnz .LBB583_2
; %bb.3:
	s_or_b32 exec_lo, exec_lo, s8
.LBB583_4:
	s_delay_alu instid0(SALU_CYCLE_1) | instskip(SKIP_2) | instid1(VALU_DEP_2)
	s_or_b32 exec_lo, exec_lo, s15
	v_and_b32_e32 v11, 31, v0
	v_cmp_gt_u32_e32 vcc_lo, 32, v0
	v_lshlrev_b32_e32 v5, 3, v11
	s_and_saveexec_b32 s0, vcc_lo
	s_cbranch_execz .LBB583_6
; %bb.5:
	v_mov_b32_e32 v3, 0
	s_delay_alu instid0(VALU_DEP_1)
	v_mov_b32_e32 v4, v3
	ds_store_b64 v5, v[3:4]
.LBB583_6:
	s_or_b32 exec_lo, exec_lo, s0
	v_mbcnt_lo_u32_b32 v10, -1, 0
	s_mov_b32 s1, exec_lo
	s_waitcnt lgkmcnt(0)
	s_barrier
	buffer_gl0_inv
	v_cmp_gt_u32_e64 s0, 16, v10
	s_delay_alu instid0(VALU_DEP_1) | instskip(SKIP_1) | instid1(VALU_DEP_2)
	v_cndmask_b32_e64 v3, 0, 1, s0
	v_cmp_gt_u32_e64 s0, 24, v10
	v_lshlrev_b32_e32 v3, 4, v3
	s_delay_alu instid0(VALU_DEP_1)
	v_add_lshl_u32 v6, v3, v10, 2
	ds_bpermute_b32 v3, v6, v1
	ds_bpermute_b32 v4, v6, v2
	s_waitcnt lgkmcnt(0)
	v_add_f64 v[1:2], v[1:2], v[3:4]
	v_cndmask_b32_e64 v3, 0, 1, s0
	v_cmp_gt_u32_e64 s0, 28, v10
	s_delay_alu instid0(VALU_DEP_2) | instskip(NEXT) | instid1(VALU_DEP_1)
	v_lshlrev_b32_e32 v3, 3, v3
	v_add_lshl_u32 v7, v3, v10, 2
	ds_bpermute_b32 v3, v7, v1
	ds_bpermute_b32 v4, v7, v2
	s_waitcnt lgkmcnt(0)
	v_add_f64 v[1:2], v[1:2], v[3:4]
	v_cndmask_b32_e64 v3, 0, 1, s0
	v_cmp_gt_u32_e64 s0, 30, v10
	s_delay_alu instid0(VALU_DEP_2) | instskip(NEXT) | instid1(VALU_DEP_1)
	v_lshlrev_b32_e32 v3, 2, v3
	v_add_lshl_u32 v8, v3, v10, 2
	ds_bpermute_b32 v3, v8, v1
	ds_bpermute_b32 v4, v8, v2
	s_waitcnt lgkmcnt(0)
	v_add_f64 v[1:2], v[1:2], v[3:4]
	v_cndmask_b32_e64 v3, 0, 1, s0
	v_cmp_ne_u32_e64 s0, 31, v10
	s_delay_alu instid0(VALU_DEP_2) | instskip(NEXT) | instid1(VALU_DEP_1)
	v_lshlrev_b32_e32 v3, 1, v3
	v_add_lshl_u32 v9, v3, v10, 2
	ds_bpermute_b32 v3, v9, v1
	ds_bpermute_b32 v4, v9, v2
	s_waitcnt lgkmcnt(0)
	v_add_f64 v[1:2], v[1:2], v[3:4]
	v_add_co_ci_u32_e64 v3, s0, 0, v10, s0
	s_delay_alu instid0(VALU_DEP_1)
	v_lshlrev_b32_e32 v10, 2, v3
	ds_bpermute_b32 v3, v10, v1
	ds_bpermute_b32 v4, v10, v2
	v_cmpx_eq_u32_e32 0, v11
	s_cbranch_execz .LBB583_8
; %bb.7:
	s_waitcnt lgkmcnt(0)
	v_add_f64 v[1:2], v[1:2], v[3:4]
	v_lshrrev_b32_e32 v3, 2, v0
	s_delay_alu instid0(VALU_DEP_1)
	v_and_b32_e32 v3, 0xf8, v3
	ds_store_b64 v3, v[1:2]
.LBB583_8:
	s_or_b32 exec_lo, exec_lo, s1
	v_mov_b32_e32 v1, 0
	v_mov_b32_e32 v2, 0
	s_waitcnt lgkmcnt(0)
	s_barrier
	buffer_gl0_inv
	s_and_saveexec_b32 s0, vcc_lo
	s_cbranch_execz .LBB583_10
; %bb.9:
	ds_load_b64 v[1:2], v5
.LBB583_10:
	s_or_b32 exec_lo, exec_lo, s0
	s_and_saveexec_b32 s0, vcc_lo
	s_cbranch_execz .LBB583_12
; %bb.11:
	s_waitcnt lgkmcnt(0)
	ds_bpermute_b32 v3, v6, v1
	ds_bpermute_b32 v4, v6, v2
	s_waitcnt lgkmcnt(0)
	v_add_f64 v[1:2], v[1:2], v[3:4]
	ds_bpermute_b32 v3, v7, v1
	ds_bpermute_b32 v4, v7, v2
	s_waitcnt lgkmcnt(0)
	v_add_f64 v[1:2], v[1:2], v[3:4]
	;; [unrolled: 4-line block ×5, first 2 shown]
.LBB583_12:
	s_or_b32 exec_lo, exec_lo, s0
	s_delay_alu instid0(SALU_CYCLE_1)
	s_mov_b32 s0, exec_lo
	v_cmpx_eq_u32_e32 0, v0
	s_cbranch_execz .LBB583_14
; %bb.13:
	s_lshl_b64 s[0:1], s[12:13], 3
	v_mov_b32_e32 v0, 0
	s_add_u32 s0, s2, s0
	s_addc_u32 s1, s3, s1
	s_waitcnt lgkmcnt(0)
	global_store_b64 v0, v[1:2], s[0:1]
.LBB583_14:
	s_nop 0
	s_sendmsg sendmsg(MSG_DEALLOC_VGPRS)
	s_endpgm
	.section	.rodata,"a",@progbits
	.p2align	6, 0x0
	.amdhsa_kernel _ZL18rocblas_dot_kernelIiLb1ELi1024ELi32ELb1EdPKPKfdEviT5_lT_lS4_lS5_liPT6_PT4_
		.amdhsa_group_segment_fixed_size 256
		.amdhsa_private_segment_fixed_size 0
		.amdhsa_kernarg_size 352
		.amdhsa_user_sgpr_count 14
		.amdhsa_user_sgpr_dispatch_ptr 0
		.amdhsa_user_sgpr_queue_ptr 0
		.amdhsa_user_sgpr_kernarg_segment_ptr 1
		.amdhsa_user_sgpr_dispatch_id 0
		.amdhsa_user_sgpr_private_segment_size 0
		.amdhsa_wavefront_size32 1
		.amdhsa_uses_dynamic_stack 0
		.amdhsa_enable_private_segment 0
		.amdhsa_system_sgpr_workgroup_id_x 1
		.amdhsa_system_sgpr_workgroup_id_y 0
		.amdhsa_system_sgpr_workgroup_id_z 1
		.amdhsa_system_sgpr_workgroup_info 0
		.amdhsa_system_vgpr_workitem_id 0
		.amdhsa_next_free_vgpr 12
		.amdhsa_next_free_sgpr 21
		.amdhsa_reserve_vcc 1
		.amdhsa_float_round_mode_32 0
		.amdhsa_float_round_mode_16_64 0
		.amdhsa_float_denorm_mode_32 3
		.amdhsa_float_denorm_mode_16_64 3
		.amdhsa_dx10_clamp 1
		.amdhsa_ieee_mode 1
		.amdhsa_fp16_overflow 0
		.amdhsa_workgroup_processor_mode 1
		.amdhsa_memory_ordered 1
		.amdhsa_forward_progress 0
		.amdhsa_shared_vgpr_count 0
		.amdhsa_exception_fp_ieee_invalid_op 0
		.amdhsa_exception_fp_denorm_src 0
		.amdhsa_exception_fp_ieee_div_zero 0
		.amdhsa_exception_fp_ieee_overflow 0
		.amdhsa_exception_fp_ieee_underflow 0
		.amdhsa_exception_fp_ieee_inexact 0
		.amdhsa_exception_int_div_zero 0
	.end_amdhsa_kernel
	.section	.text._ZL18rocblas_dot_kernelIiLb1ELi1024ELi32ELb1EdPKPKfdEviT5_lT_lS4_lS5_liPT6_PT4_,"axG",@progbits,_ZL18rocblas_dot_kernelIiLb1ELi1024ELi32ELb1EdPKPKfdEviT5_lT_lS4_lS5_liPT6_PT4_,comdat
.Lfunc_end583:
	.size	_ZL18rocblas_dot_kernelIiLb1ELi1024ELi32ELb1EdPKPKfdEviT5_lT_lS4_lS5_liPT6_PT4_, .Lfunc_end583-_ZL18rocblas_dot_kernelIiLb1ELi1024ELi32ELb1EdPKPKfdEviT5_lT_lS4_lS5_liPT6_PT4_
                                        ; -- End function
	.section	.AMDGPU.csdata,"",@progbits
; Kernel info:
; codeLenInByte = 1068
; NumSgprs: 23
; NumVgprs: 12
; ScratchSize: 0
; MemoryBound: 0
; FloatMode: 240
; IeeeMode: 1
; LDSByteSize: 256 bytes/workgroup (compile time only)
; SGPRBlocks: 2
; VGPRBlocks: 1
; NumSGPRsForWavesPerEU: 23
; NumVGPRsForWavesPerEU: 12
; Occupancy: 16
; WaveLimiterHint : 0
; COMPUTE_PGM_RSRC2:SCRATCH_EN: 0
; COMPUTE_PGM_RSRC2:USER_SGPR: 14
; COMPUTE_PGM_RSRC2:TRAP_HANDLER: 0
; COMPUTE_PGM_RSRC2:TGID_X_EN: 1
; COMPUTE_PGM_RSRC2:TGID_Y_EN: 0
; COMPUTE_PGM_RSRC2:TGID_Z_EN: 1
; COMPUTE_PGM_RSRC2:TIDIG_COMP_CNT: 0
	.section	.text._ZL24rocblas_dot_kernel_magsqIiLb1ELi1024ELi32ELb1EdPKPKfdEviT5_lT_liPT6_PT4_,"axG",@progbits,_ZL24rocblas_dot_kernel_magsqIiLb1ELi1024ELi32ELb1EdPKPKfdEviT5_lT_liPT6_PT4_,comdat
	.globl	_ZL24rocblas_dot_kernel_magsqIiLb1ELi1024ELi32ELb1EdPKPKfdEviT5_lT_liPT6_PT4_ ; -- Begin function _ZL24rocblas_dot_kernel_magsqIiLb1ELi1024ELi32ELb1EdPKPKfdEviT5_lT_liPT6_PT4_
	.p2align	8
	.type	_ZL24rocblas_dot_kernel_magsqIiLb1ELi1024ELi32ELb1EdPKPKfdEviT5_lT_liPT6_PT4_,@function
_ZL24rocblas_dot_kernel_magsqIiLb1ELi1024ELi32ELb1EdPKPKfdEviT5_lT_liPT6_PT4_: ; @_ZL24rocblas_dot_kernel_magsqIiLb1ELi1024ELi32ELb1EdPKPKfdEviT5_lT_liPT6_PT4_
; %bb.0:
	s_clause 0x1
	s_load_b32 s8, s[0:1], 0x0
	s_load_b64 s[2:3], s[0:1], 0x38
	v_mov_b32_e32 v1, 0
	v_mov_b32_e32 v2, 0
	s_mov_b32 s4, s15
	s_mov_b32 s5, 0
	s_mov_b32 s9, exec_lo
	s_waitcnt lgkmcnt(0)
	v_cmpx_gt_i32_e64 s8, v0
	s_cbranch_execz .LBB584_4
; %bb.1:
	s_clause 0x2
	s_load_b128 s[12:15], s[0:1], 0x8
	s_load_b32 s16, s[0:1], 0x18
	s_load_b32 s10, s[0:1], 0x40
	s_lshl_b64 s[0:1], s[4:5], 3
	v_mov_b32_e32 v1, 0
	v_mov_b32_e32 v2, 0
	s_waitcnt lgkmcnt(0)
	s_add_u32 s0, s12, s0
	s_addc_u32 s1, s13, s1
	v_mad_i64_i32 v[3:4], null, s16, v0, 0
	s_load_b64 s[6:7], s[0:1], 0x0
	s_lshl_b32 s1, s10, 10
	s_lshl_b64 s[10:11], s[14:15], 2
	v_or_b32_e32 v5, s1, v0
	s_mul_hi_i32 s13, s16, s1
	s_mul_i32 s12, s16, s1
	s_delay_alu instid0(VALU_DEP_2) | instskip(SKIP_3) | instid1(VALU_DEP_1)
	v_lshlrev_b64 v[3:4], 2, v[3:4]
	s_waitcnt lgkmcnt(0)
	s_add_u32 s0, s6, s10
	s_addc_u32 s6, s7, s11
	v_add_co_u32 v3, vcc_lo, s0, v3
	s_delay_alu instid0(VALU_DEP_2)
	v_add_co_ci_u32_e32 v4, vcc_lo, s6, v4, vcc_lo
	s_lshl_b64 s[6:7], s[12:13], 2
	s_mov_b32 s10, s5
	s_mov_b32 s11, s5
	.p2align	6
.LBB584_2:                              ; =>This Inner Loop Header: Depth=1
	global_load_b32 v6, v[3:4], off
	s_add_i32 s12, s11, 1
	v_cmp_le_i32_e32 vcc_lo, s8, v5
	s_cmp_gt_u32 s11, 30
	v_add_co_u32 v3, s0, v3, s6
	s_cselect_b32 s11, -1, 0
	v_add_nc_u32_e32 v5, s1, v5
	s_or_b32 s11, s11, vcc_lo
	v_add_co_ci_u32_e64 v4, vcc_lo, s7, v4, s0
	s_and_b32 s0, exec_lo, s11
	s_mov_b32 s11, s12
	s_or_b32 s10, s0, s10
	s_waitcnt vmcnt(0)
	v_cvt_f64_f32_e32 v[6:7], v6
	s_delay_alu instid0(VALU_DEP_1)
	v_fma_f64 v[1:2], v[6:7], v[6:7], v[1:2]
	s_and_not1_b32 exec_lo, exec_lo, s10
	s_cbranch_execnz .LBB584_2
; %bb.3:
	s_or_b32 exec_lo, exec_lo, s10
.LBB584_4:
	s_delay_alu instid0(SALU_CYCLE_1) | instskip(SKIP_2) | instid1(VALU_DEP_2)
	s_or_b32 exec_lo, exec_lo, s9
	v_and_b32_e32 v11, 31, v0
	v_cmp_gt_u32_e32 vcc_lo, 32, v0
	v_lshlrev_b32_e32 v5, 3, v11
	s_and_saveexec_b32 s0, vcc_lo
	s_cbranch_execz .LBB584_6
; %bb.5:
	v_mov_b32_e32 v3, 0
	s_delay_alu instid0(VALU_DEP_1)
	v_mov_b32_e32 v4, v3
	ds_store_b64 v5, v[3:4]
.LBB584_6:
	s_or_b32 exec_lo, exec_lo, s0
	v_mbcnt_lo_u32_b32 v10, -1, 0
	s_mov_b32 s1, exec_lo
	s_waitcnt lgkmcnt(0)
	s_barrier
	buffer_gl0_inv
	v_cmp_gt_u32_e64 s0, 16, v10
	s_delay_alu instid0(VALU_DEP_1) | instskip(SKIP_1) | instid1(VALU_DEP_2)
	v_cndmask_b32_e64 v3, 0, 1, s0
	v_cmp_gt_u32_e64 s0, 24, v10
	v_lshlrev_b32_e32 v3, 4, v3
	s_delay_alu instid0(VALU_DEP_1)
	v_add_lshl_u32 v6, v3, v10, 2
	ds_bpermute_b32 v3, v6, v1
	ds_bpermute_b32 v4, v6, v2
	s_waitcnt lgkmcnt(0)
	v_add_f64 v[1:2], v[1:2], v[3:4]
	v_cndmask_b32_e64 v3, 0, 1, s0
	v_cmp_gt_u32_e64 s0, 28, v10
	s_delay_alu instid0(VALU_DEP_2) | instskip(NEXT) | instid1(VALU_DEP_1)
	v_lshlrev_b32_e32 v3, 3, v3
	v_add_lshl_u32 v7, v3, v10, 2
	ds_bpermute_b32 v3, v7, v1
	ds_bpermute_b32 v4, v7, v2
	s_waitcnt lgkmcnt(0)
	v_add_f64 v[1:2], v[1:2], v[3:4]
	v_cndmask_b32_e64 v3, 0, 1, s0
	v_cmp_gt_u32_e64 s0, 30, v10
	s_delay_alu instid0(VALU_DEP_2) | instskip(NEXT) | instid1(VALU_DEP_1)
	v_lshlrev_b32_e32 v3, 2, v3
	v_add_lshl_u32 v8, v3, v10, 2
	ds_bpermute_b32 v3, v8, v1
	ds_bpermute_b32 v4, v8, v2
	s_waitcnt lgkmcnt(0)
	v_add_f64 v[1:2], v[1:2], v[3:4]
	v_cndmask_b32_e64 v3, 0, 1, s0
	v_cmp_ne_u32_e64 s0, 31, v10
	s_delay_alu instid0(VALU_DEP_2) | instskip(NEXT) | instid1(VALU_DEP_1)
	v_lshlrev_b32_e32 v3, 1, v3
	v_add_lshl_u32 v9, v3, v10, 2
	ds_bpermute_b32 v3, v9, v1
	ds_bpermute_b32 v4, v9, v2
	s_waitcnt lgkmcnt(0)
	v_add_f64 v[1:2], v[1:2], v[3:4]
	v_add_co_ci_u32_e64 v3, s0, 0, v10, s0
	s_delay_alu instid0(VALU_DEP_1)
	v_lshlrev_b32_e32 v10, 2, v3
	ds_bpermute_b32 v3, v10, v1
	ds_bpermute_b32 v4, v10, v2
	v_cmpx_eq_u32_e32 0, v11
	s_cbranch_execz .LBB584_8
; %bb.7:
	s_waitcnt lgkmcnt(0)
	v_add_f64 v[1:2], v[1:2], v[3:4]
	v_lshrrev_b32_e32 v3, 2, v0
	s_delay_alu instid0(VALU_DEP_1)
	v_and_b32_e32 v3, 0xf8, v3
	ds_store_b64 v3, v[1:2]
.LBB584_8:
	s_or_b32 exec_lo, exec_lo, s1
	v_mov_b32_e32 v1, 0
	v_mov_b32_e32 v2, 0
	s_waitcnt lgkmcnt(0)
	s_barrier
	buffer_gl0_inv
	s_and_saveexec_b32 s0, vcc_lo
	s_cbranch_execz .LBB584_10
; %bb.9:
	ds_load_b64 v[1:2], v5
.LBB584_10:
	s_or_b32 exec_lo, exec_lo, s0
	s_and_saveexec_b32 s0, vcc_lo
	s_cbranch_execz .LBB584_12
; %bb.11:
	s_waitcnt lgkmcnt(0)
	ds_bpermute_b32 v3, v6, v1
	ds_bpermute_b32 v4, v6, v2
	s_waitcnt lgkmcnt(0)
	v_add_f64 v[1:2], v[1:2], v[3:4]
	ds_bpermute_b32 v3, v7, v1
	ds_bpermute_b32 v4, v7, v2
	s_waitcnt lgkmcnt(0)
	v_add_f64 v[1:2], v[1:2], v[3:4]
	;; [unrolled: 4-line block ×5, first 2 shown]
.LBB584_12:
	s_or_b32 exec_lo, exec_lo, s0
	s_delay_alu instid0(SALU_CYCLE_1)
	s_mov_b32 s0, exec_lo
	v_cmpx_eq_u32_e32 0, v0
	s_cbranch_execz .LBB584_14
; %bb.13:
	s_lshl_b64 s[0:1], s[4:5], 3
	v_mov_b32_e32 v0, 0
	s_add_u32 s0, s2, s0
	s_addc_u32 s1, s3, s1
	s_waitcnt lgkmcnt(0)
	global_store_b64 v0, v[1:2], s[0:1]
.LBB584_14:
	s_nop 0
	s_sendmsg sendmsg(MSG_DEALLOC_VGPRS)
	s_endpgm
	.section	.rodata,"a",@progbits
	.p2align	6, 0x0
	.amdhsa_kernel _ZL24rocblas_dot_kernel_magsqIiLb1ELi1024ELi32ELb1EdPKPKfdEviT5_lT_liPT6_PT4_
		.amdhsa_group_segment_fixed_size 256
		.amdhsa_private_segment_fixed_size 0
		.amdhsa_kernarg_size 320
		.amdhsa_user_sgpr_count 14
		.amdhsa_user_sgpr_dispatch_ptr 0
		.amdhsa_user_sgpr_queue_ptr 0
		.amdhsa_user_sgpr_kernarg_segment_ptr 1
		.amdhsa_user_sgpr_dispatch_id 0
		.amdhsa_user_sgpr_private_segment_size 0
		.amdhsa_wavefront_size32 1
		.amdhsa_uses_dynamic_stack 0
		.amdhsa_enable_private_segment 0
		.amdhsa_system_sgpr_workgroup_id_x 1
		.amdhsa_system_sgpr_workgroup_id_y 0
		.amdhsa_system_sgpr_workgroup_id_z 1
		.amdhsa_system_sgpr_workgroup_info 0
		.amdhsa_system_vgpr_workitem_id 0
		.amdhsa_next_free_vgpr 12
		.amdhsa_next_free_sgpr 17
		.amdhsa_reserve_vcc 1
		.amdhsa_float_round_mode_32 0
		.amdhsa_float_round_mode_16_64 0
		.amdhsa_float_denorm_mode_32 3
		.amdhsa_float_denorm_mode_16_64 3
		.amdhsa_dx10_clamp 1
		.amdhsa_ieee_mode 1
		.amdhsa_fp16_overflow 0
		.amdhsa_workgroup_processor_mode 1
		.amdhsa_memory_ordered 1
		.amdhsa_forward_progress 0
		.amdhsa_shared_vgpr_count 0
		.amdhsa_exception_fp_ieee_invalid_op 0
		.amdhsa_exception_fp_denorm_src 0
		.amdhsa_exception_fp_ieee_div_zero 0
		.amdhsa_exception_fp_ieee_overflow 0
		.amdhsa_exception_fp_ieee_underflow 0
		.amdhsa_exception_fp_ieee_inexact 0
		.amdhsa_exception_int_div_zero 0
	.end_amdhsa_kernel
	.section	.text._ZL24rocblas_dot_kernel_magsqIiLb1ELi1024ELi32ELb1EdPKPKfdEviT5_lT_liPT6_PT4_,"axG",@progbits,_ZL24rocblas_dot_kernel_magsqIiLb1ELi1024ELi32ELb1EdPKPKfdEviT5_lT_liPT6_PT4_,comdat
.Lfunc_end584:
	.size	_ZL24rocblas_dot_kernel_magsqIiLb1ELi1024ELi32ELb1EdPKPKfdEviT5_lT_liPT6_PT4_, .Lfunc_end584-_ZL24rocblas_dot_kernel_magsqIiLb1ELi1024ELi32ELb1EdPKPKfdEviT5_lT_liPT6_PT4_
                                        ; -- End function
	.section	.AMDGPU.csdata,"",@progbits
; Kernel info:
; codeLenInByte = 956
; NumSgprs: 19
; NumVgprs: 12
; ScratchSize: 0
; MemoryBound: 0
; FloatMode: 240
; IeeeMode: 1
; LDSByteSize: 256 bytes/workgroup (compile time only)
; SGPRBlocks: 2
; VGPRBlocks: 1
; NumSGPRsForWavesPerEU: 19
; NumVGPRsForWavesPerEU: 12
; Occupancy: 16
; WaveLimiterHint : 0
; COMPUTE_PGM_RSRC2:SCRATCH_EN: 0
; COMPUTE_PGM_RSRC2:USER_SGPR: 14
; COMPUTE_PGM_RSRC2:TRAP_HANDLER: 0
; COMPUTE_PGM_RSRC2:TGID_X_EN: 1
; COMPUTE_PGM_RSRC2:TGID_Y_EN: 0
; COMPUTE_PGM_RSRC2:TGID_Z_EN: 1
; COMPUTE_PGM_RSRC2:TIDIG_COMP_CNT: 0
	.section	.text._ZL23rocblas_dot_kernel_inc1ILb0ELi512ELi2ELb1EdPKPKfdEviT4_llS4_lliPT5_PT3_,"axG",@progbits,_ZL23rocblas_dot_kernel_inc1ILb0ELi512ELi2ELb1EdPKPKfdEviT4_llS4_lliPT5_PT3_,comdat
	.globl	_ZL23rocblas_dot_kernel_inc1ILb0ELi512ELi2ELb1EdPKPKfdEviT4_llS4_lliPT5_PT3_ ; -- Begin function _ZL23rocblas_dot_kernel_inc1ILb0ELi512ELi2ELb1EdPKPKfdEviT4_llS4_lliPT5_PT3_
	.p2align	8
	.type	_ZL23rocblas_dot_kernel_inc1ILb0ELi512ELi2ELb1EdPKPKfdEviT4_llS4_lliPT5_PT3_,@function
_ZL23rocblas_dot_kernel_inc1ILb0ELi512ELi2ELb1EdPKPKfdEviT4_llS4_lliPT5_PT3_: ; @_ZL23rocblas_dot_kernel_inc1ILb0ELi512ELi2ELb1EdPKPKfdEviT4_llS4_lliPT5_PT3_
; %bb.0:
	s_clause 0x1
	s_load_b32 s6, s[0:1], 0x0
	s_load_b32 s3, s[0:1], 0x50
	v_mov_b32_e32 v1, 0
	v_lshl_or_b32 v3, s14, 9, v0
	v_mov_b32_e32 v2, 0
	s_mov_b32 s4, s15
	s_mov_b32 s5, 0
	s_mov_b32 s2, exec_lo
	s_waitcnt lgkmcnt(0)
	v_cmpx_gt_i32_e64 s6, v3
	s_cbranch_execz .LBB585_4
; %bb.1:
	s_clause 0x1
	s_load_b128 s[8:11], s[0:1], 0x8
	s_load_b128 s[16:19], s[0:1], 0x20
	s_lshl_b64 s[12:13], s[4:5], 3
	v_ashrrev_i32_e32 v4, 31, v3
	s_delay_alu instid0(VALU_DEP_1)
	v_lshlrev_b64 v[1:2], 2, v[3:4]
	s_waitcnt lgkmcnt(0)
	s_add_u32 s8, s8, s12
	s_addc_u32 s9, s9, s13
	s_lshl_b64 s[10:11], s[10:11], 2
	s_load_b64 s[8:9], s[8:9], 0x0
	s_waitcnt lgkmcnt(0)
	s_add_u32 s7, s8, s10
	s_addc_u32 s8, s9, s11
	s_add_u32 s10, s16, s12
	s_addc_u32 s11, s17, s13
	s_lshl_b64 s[12:13], s[18:19], 2
	s_load_b64 s[10:11], s[10:11], 0x0
	s_waitcnt lgkmcnt(0)
	s_add_u32 s9, s10, s12
	s_addc_u32 s10, s11, s13
	v_add_co_u32 v3, vcc_lo, s9, v1
	v_add_co_ci_u32_e32 v4, vcc_lo, s10, v2, vcc_lo
	v_add_co_u32 v1, vcc_lo, s7, v1
	v_add_co_ci_u32_e32 v2, vcc_lo, s8, v2, vcc_lo
	s_add_i32 s11, s14, s3
	global_load_b32 v3, v[3:4], off
	global_load_b32 v4, v[1:2], off
	s_waitcnt vmcnt(1)
	v_cvt_f64_f32_e32 v[1:2], v3
	s_waitcnt vmcnt(0)
	v_cvt_f64_f32_e32 v[3:4], v4
	s_delay_alu instid0(VALU_DEP_1) | instskip(SKIP_1) | instid1(VALU_DEP_1)
	v_fma_f64 v[1:2], v[1:2], v[3:4], 0
	v_lshl_or_b32 v3, s11, 9, v0
	v_cmp_gt_i32_e32 vcc_lo, s6, v3
	s_and_saveexec_b32 s6, vcc_lo
	s_cbranch_execz .LBB585_3
; %bb.2:
	v_ashrrev_i32_e32 v4, 31, v3
	s_delay_alu instid0(VALU_DEP_1) | instskip(NEXT) | instid1(VALU_DEP_1)
	v_lshlrev_b64 v[3:4], 2, v[3:4]
	v_add_co_u32 v5, vcc_lo, s9, v3
	s_delay_alu instid0(VALU_DEP_2)
	v_add_co_ci_u32_e32 v6, vcc_lo, s10, v4, vcc_lo
	v_add_co_u32 v3, vcc_lo, s7, v3
	v_add_co_ci_u32_e32 v4, vcc_lo, s8, v4, vcc_lo
	global_load_b32 v5, v[5:6], off
	global_load_b32 v6, v[3:4], off
	s_waitcnt vmcnt(1)
	v_cvt_f64_f32_e32 v[3:4], v5
	s_waitcnt vmcnt(0)
	v_cvt_f64_f32_e32 v[5:6], v6
	s_delay_alu instid0(VALU_DEP_1)
	v_fma_f64 v[1:2], v[3:4], v[5:6], v[1:2]
.LBB585_3:
	s_or_b32 exec_lo, exec_lo, s6
.LBB585_4:
	s_delay_alu instid0(SALU_CYCLE_1) | instskip(SKIP_2) | instid1(VALU_DEP_2)
	s_or_b32 exec_lo, exec_lo, s2
	v_and_b32_e32 v10, 31, v0
	v_cmp_gt_u32_e32 vcc_lo, 32, v0
	v_lshlrev_b32_e32 v5, 3, v10
	s_and_saveexec_b32 s2, vcc_lo
	s_cbranch_execz .LBB585_6
; %bb.5:
	v_mov_b32_e32 v3, 0
	s_delay_alu instid0(VALU_DEP_1)
	v_mov_b32_e32 v4, v3
	ds_store_b64 v5, v[3:4]
.LBB585_6:
	s_or_b32 exec_lo, exec_lo, s2
	v_mbcnt_lo_u32_b32 v9, -1, 0
	s_mov_b32 s6, exec_lo
	s_waitcnt lgkmcnt(0)
	s_barrier
	buffer_gl0_inv
	v_cmp_gt_u32_e64 s2, 16, v9
	s_delay_alu instid0(VALU_DEP_1) | instskip(SKIP_1) | instid1(VALU_DEP_2)
	v_cndmask_b32_e64 v3, 0, 1, s2
	v_cmp_gt_u32_e64 s2, 24, v9
	v_lshlrev_b32_e32 v3, 4, v3
	s_delay_alu instid0(VALU_DEP_1)
	v_add_lshl_u32 v4, v3, v9, 2
	ds_bpermute_b32 v3, v4, v1
	ds_bpermute_b32 v4, v4, v2
	s_waitcnt lgkmcnt(0)
	v_add_f64 v[1:2], v[1:2], v[3:4]
	v_cndmask_b32_e64 v3, 0, 1, s2
	v_cmp_gt_u32_e64 s2, 28, v9
	s_delay_alu instid0(VALU_DEP_2) | instskip(NEXT) | instid1(VALU_DEP_1)
	v_lshlrev_b32_e32 v3, 3, v3
	v_add_lshl_u32 v6, v3, v9, 2
	ds_bpermute_b32 v3, v6, v1
	ds_bpermute_b32 v4, v6, v2
	s_waitcnt lgkmcnt(0)
	v_add_f64 v[1:2], v[1:2], v[3:4]
	v_cndmask_b32_e64 v3, 0, 1, s2
	v_cmp_gt_u32_e64 s2, 30, v9
	s_delay_alu instid0(VALU_DEP_2) | instskip(NEXT) | instid1(VALU_DEP_1)
	v_lshlrev_b32_e32 v3, 2, v3
	v_add_lshl_u32 v7, v3, v9, 2
	ds_bpermute_b32 v3, v7, v1
	ds_bpermute_b32 v4, v7, v2
	s_waitcnt lgkmcnt(0)
	v_add_f64 v[1:2], v[1:2], v[3:4]
	v_cndmask_b32_e64 v3, 0, 1, s2
	v_cmp_ne_u32_e64 s2, 31, v9
	s_delay_alu instid0(VALU_DEP_2) | instskip(NEXT) | instid1(VALU_DEP_1)
	v_lshlrev_b32_e32 v3, 1, v3
	v_add_lshl_u32 v8, v3, v9, 2
	ds_bpermute_b32 v3, v8, v1
	ds_bpermute_b32 v4, v8, v2
	s_waitcnt lgkmcnt(0)
	v_add_f64 v[1:2], v[1:2], v[3:4]
	v_add_co_ci_u32_e64 v3, s2, 0, v9, s2
	s_delay_alu instid0(VALU_DEP_1)
	v_lshlrev_b32_e32 v9, 2, v3
	ds_bpermute_b32 v3, v9, v1
	ds_bpermute_b32 v4, v9, v2
	v_cmpx_eq_u32_e32 0, v10
	s_cbranch_execz .LBB585_8
; %bb.7:
	s_waitcnt lgkmcnt(0)
	v_add_f64 v[1:2], v[1:2], v[3:4]
	v_lshrrev_b32_e32 v3, 2, v0
	s_delay_alu instid0(VALU_DEP_1)
	v_and_b32_e32 v3, 0x78, v3
	ds_store_b64 v3, v[1:2]
.LBB585_8:
	s_or_b32 exec_lo, exec_lo, s6
	v_mov_b32_e32 v1, 0
	v_mov_b32_e32 v2, 0
	s_mov_b32 s6, exec_lo
	s_waitcnt lgkmcnt(0)
	s_barrier
	buffer_gl0_inv
	v_cmpx_gt_u32_e32 16, v0
	s_cbranch_execz .LBB585_10
; %bb.9:
	ds_load_b64 v[1:2], v5
.LBB585_10:
	s_or_b32 exec_lo, exec_lo, s6
	s_and_saveexec_b32 s2, vcc_lo
	s_cbranch_execz .LBB585_12
; %bb.11:
	s_waitcnt lgkmcnt(0)
	ds_bpermute_b32 v3, v6, v1
	ds_bpermute_b32 v4, v6, v2
	s_waitcnt lgkmcnt(0)
	v_add_f64 v[1:2], v[1:2], v[3:4]
	ds_bpermute_b32 v3, v7, v1
	ds_bpermute_b32 v4, v7, v2
	s_waitcnt lgkmcnt(0)
	v_add_f64 v[1:2], v[1:2], v[3:4]
	;; [unrolled: 4-line block ×4, first 2 shown]
.LBB585_12:
	s_or_b32 exec_lo, exec_lo, s2
	s_delay_alu instid0(SALU_CYCLE_1)
	s_mov_b32 s2, exec_lo
	v_cmpx_eq_u32_e32 0, v0
	s_cbranch_execz .LBB585_18
; %bb.13:
	s_cmp_lg_u32 s3, 1
	s_cbranch_scc0 .LBB585_15
; %bb.14:
	s_load_b64 s[6:7], s[0:1], 0x40
	s_mul_hi_u32 s9, s3, s4
	s_mul_i32 s8, s3, s4
	s_mov_b32 s15, 0
	s_lshl_b64 s[2:3], s[8:9], 3
	s_waitcnt lgkmcnt(0)
	s_add_u32 s6, s6, s2
	s_addc_u32 s7, s7, s3
	s_lshl_b64 s[2:3], s[14:15], 3
	s_delay_alu instid0(SALU_CYCLE_1)
	s_add_u32 s2, s6, s2
	s_addc_u32 s3, s7, s3
	s_cbranch_execz .LBB585_16
	s_branch .LBB585_17
.LBB585_15:
                                        ; implicit-def: $sgpr2_sgpr3
.LBB585_16:
	s_load_b64 s[0:1], s[0:1], 0x48
	s_lshl_b64 s[2:3], s[4:5], 3
	s_waitcnt lgkmcnt(0)
	s_add_u32 s2, s0, s2
	s_addc_u32 s3, s1, s3
.LBB585_17:
	v_mov_b32_e32 v0, 0
	s_waitcnt lgkmcnt(0)
	global_store_b64 v0, v[1:2], s[2:3]
.LBB585_18:
	s_nop 0
	s_sendmsg sendmsg(MSG_DEALLOC_VGPRS)
	s_endpgm
	.section	.rodata,"a",@progbits
	.p2align	6, 0x0
	.amdhsa_kernel _ZL23rocblas_dot_kernel_inc1ILb0ELi512ELi2ELb1EdPKPKfdEviT4_llS4_lliPT5_PT3_
		.amdhsa_group_segment_fixed_size 256
		.amdhsa_private_segment_fixed_size 0
		.amdhsa_kernarg_size 336
		.amdhsa_user_sgpr_count 14
		.amdhsa_user_sgpr_dispatch_ptr 0
		.amdhsa_user_sgpr_queue_ptr 0
		.amdhsa_user_sgpr_kernarg_segment_ptr 1
		.amdhsa_user_sgpr_dispatch_id 0
		.amdhsa_user_sgpr_private_segment_size 0
		.amdhsa_wavefront_size32 1
		.amdhsa_uses_dynamic_stack 0
		.amdhsa_enable_private_segment 0
		.amdhsa_system_sgpr_workgroup_id_x 1
		.amdhsa_system_sgpr_workgroup_id_y 0
		.amdhsa_system_sgpr_workgroup_id_z 1
		.amdhsa_system_sgpr_workgroup_info 0
		.amdhsa_system_vgpr_workitem_id 0
		.amdhsa_next_free_vgpr 11
		.amdhsa_next_free_sgpr 20
		.amdhsa_reserve_vcc 1
		.amdhsa_float_round_mode_32 0
		.amdhsa_float_round_mode_16_64 0
		.amdhsa_float_denorm_mode_32 3
		.amdhsa_float_denorm_mode_16_64 3
		.amdhsa_dx10_clamp 1
		.amdhsa_ieee_mode 1
		.amdhsa_fp16_overflow 0
		.amdhsa_workgroup_processor_mode 1
		.amdhsa_memory_ordered 1
		.amdhsa_forward_progress 0
		.amdhsa_shared_vgpr_count 0
		.amdhsa_exception_fp_ieee_invalid_op 0
		.amdhsa_exception_fp_denorm_src 0
		.amdhsa_exception_fp_ieee_div_zero 0
		.amdhsa_exception_fp_ieee_overflow 0
		.amdhsa_exception_fp_ieee_underflow 0
		.amdhsa_exception_fp_ieee_inexact 0
		.amdhsa_exception_int_div_zero 0
	.end_amdhsa_kernel
	.section	.text._ZL23rocblas_dot_kernel_inc1ILb0ELi512ELi2ELb1EdPKPKfdEviT4_llS4_lliPT5_PT3_,"axG",@progbits,_ZL23rocblas_dot_kernel_inc1ILb0ELi512ELi2ELb1EdPKPKfdEviT4_llS4_lliPT5_PT3_,comdat
.Lfunc_end585:
	.size	_ZL23rocblas_dot_kernel_inc1ILb0ELi512ELi2ELb1EdPKPKfdEviT4_llS4_lliPT5_PT3_, .Lfunc_end585-_ZL23rocblas_dot_kernel_inc1ILb0ELi512ELi2ELb1EdPKPKfdEviT4_llS4_lliPT5_PT3_
                                        ; -- End function
	.section	.AMDGPU.csdata,"",@progbits
; Kernel info:
; codeLenInByte = 1080
; NumSgprs: 22
; NumVgprs: 11
; ScratchSize: 0
; MemoryBound: 0
; FloatMode: 240
; IeeeMode: 1
; LDSByteSize: 256 bytes/workgroup (compile time only)
; SGPRBlocks: 2
; VGPRBlocks: 1
; NumSGPRsForWavesPerEU: 22
; NumVGPRsForWavesPerEU: 11
; Occupancy: 16
; WaveLimiterHint : 1
; COMPUTE_PGM_RSRC2:SCRATCH_EN: 0
; COMPUTE_PGM_RSRC2:USER_SGPR: 14
; COMPUTE_PGM_RSRC2:TRAP_HANDLER: 0
; COMPUTE_PGM_RSRC2:TGID_X_EN: 1
; COMPUTE_PGM_RSRC2:TGID_Y_EN: 0
; COMPUTE_PGM_RSRC2:TGID_Z_EN: 1
; COMPUTE_PGM_RSRC2:TIDIG_COMP_CNT: 0
	.section	.text._ZL18rocblas_dot_kernelIiLb0ELi512ELi2ELb1EdPKPKfdEviT5_lT_lS4_lS5_liPT6_PT4_,"axG",@progbits,_ZL18rocblas_dot_kernelIiLb0ELi512ELi2ELb1EdPKPKfdEviT5_lT_lS4_lS5_liPT6_PT4_,comdat
	.globl	_ZL18rocblas_dot_kernelIiLb0ELi512ELi2ELb1EdPKPKfdEviT5_lT_lS4_lS5_liPT6_PT4_ ; -- Begin function _ZL18rocblas_dot_kernelIiLb0ELi512ELi2ELb1EdPKPKfdEviT5_lT_lS4_lS5_liPT6_PT4_
	.p2align	8
	.type	_ZL18rocblas_dot_kernelIiLb0ELi512ELi2ELb1EdPKPKfdEviT5_lT_lS4_lS5_liPT6_PT4_,@function
_ZL18rocblas_dot_kernelIiLb0ELi512ELi2ELb1EdPKPKfdEviT5_lT_lS4_lS5_liPT6_PT4_: ; @_ZL18rocblas_dot_kernelIiLb0ELi512ELi2ELb1EdPKPKfdEviT5_lT_lS4_lS5_liPT6_PT4_
; %bb.0:
	s_clause 0x1
	s_load_b32 s6, s[0:1], 0x0
	s_load_b32 s3, s[0:1], 0x60
	v_mov_b32_e32 v1, 0
	v_lshl_or_b32 v3, s14, 9, v0
	v_mov_b32_e32 v2, 0
	s_mov_b32 s4, s15
	s_mov_b32 s5, 0
	s_mov_b32 s2, exec_lo
	s_waitcnt lgkmcnt(0)
	v_cmpx_gt_i32_e64 s6, v3
	s_cbranch_execz .LBB586_4
; %bb.1:
	s_clause 0x1
	s_load_b128 s[16:19], s[0:1], 0x8
	s_load_b32 s7, s[0:1], 0x18
	s_lshl_b64 s[12:13], s[4:5], 3
	s_waitcnt lgkmcnt(0)
	s_add_u32 s8, s16, s12
	s_addc_u32 s9, s17, s13
	s_lshl_b64 s[16:17], s[18:19], 2
	s_load_b64 s[8:9], s[8:9], 0x0
	s_clause 0x1
	s_load_b128 s[20:23], s[0:1], 0x28
	s_load_b32 s10, s[0:1], 0x38
	v_mad_i64_i32 v[4:5], null, v3, s7, 0
	s_waitcnt lgkmcnt(0)
	s_add_u32 s8, s8, s16
	s_addc_u32 s9, s9, s17
	s_add_u32 s12, s20, s12
	s_addc_u32 s13, s21, s13
	v_mad_i64_i32 v[1:2], null, v3, s10, 0
	s_load_b64 s[12:13], s[12:13], 0x0
	s_lshl_b64 s[16:17], s[22:23], 2
	v_lshlrev_b64 v[3:4], 2, v[4:5]
	s_delay_alu instid0(VALU_DEP_2) | instskip(SKIP_3) | instid1(VALU_DEP_1)
	v_lshlrev_b64 v[1:2], 2, v[1:2]
	s_waitcnt lgkmcnt(0)
	s_add_u32 s11, s12, s16
	s_addc_u32 s12, s13, s17
	v_add_co_u32 v1, vcc_lo, s11, v1
	s_delay_alu instid0(VALU_DEP_2)
	v_add_co_ci_u32_e32 v2, vcc_lo, s12, v2, vcc_lo
	v_add_co_u32 v3, vcc_lo, s8, v3
	v_add_co_ci_u32_e32 v4, vcc_lo, s9, v4, vcc_lo
	global_load_b32 v1, v[1:2], off
	global_load_b32 v3, v[3:4], off
	s_add_i32 s13, s14, s3
	s_waitcnt vmcnt(1)
	v_cvt_f64_f32_e32 v[1:2], v1
	s_waitcnt vmcnt(0)
	v_cvt_f64_f32_e32 v[3:4], v3
	s_delay_alu instid0(VALU_DEP_1) | instskip(SKIP_1) | instid1(VALU_DEP_1)
	v_fma_f64 v[1:2], v[1:2], v[3:4], 0
	v_lshl_or_b32 v3, s13, 9, v0
	v_cmp_gt_i32_e32 vcc_lo, s6, v3
	s_and_saveexec_b32 s6, vcc_lo
	s_cbranch_execz .LBB586_3
; %bb.2:
	v_mad_i64_i32 v[4:5], null, v3, s10, 0
	v_mad_i64_i32 v[6:7], null, v3, s7, 0
	s_delay_alu instid0(VALU_DEP_2) | instskip(NEXT) | instid1(VALU_DEP_2)
	v_lshlrev_b64 v[3:4], 2, v[4:5]
	v_lshlrev_b64 v[5:6], 2, v[6:7]
	s_delay_alu instid0(VALU_DEP_2) | instskip(NEXT) | instid1(VALU_DEP_3)
	v_add_co_u32 v3, vcc_lo, s11, v3
	v_add_co_ci_u32_e32 v4, vcc_lo, s12, v4, vcc_lo
	s_delay_alu instid0(VALU_DEP_3) | instskip(NEXT) | instid1(VALU_DEP_4)
	v_add_co_u32 v5, vcc_lo, s8, v5
	v_add_co_ci_u32_e32 v6, vcc_lo, s9, v6, vcc_lo
	global_load_b32 v3, v[3:4], off
	global_load_b32 v5, v[5:6], off
	s_waitcnt vmcnt(1)
	v_cvt_f64_f32_e32 v[3:4], v3
	s_waitcnt vmcnt(0)
	v_cvt_f64_f32_e32 v[5:6], v5
	s_delay_alu instid0(VALU_DEP_1)
	v_fma_f64 v[1:2], v[3:4], v[5:6], v[1:2]
.LBB586_3:
	s_or_b32 exec_lo, exec_lo, s6
.LBB586_4:
	s_delay_alu instid0(SALU_CYCLE_1) | instskip(SKIP_2) | instid1(VALU_DEP_2)
	s_or_b32 exec_lo, exec_lo, s2
	v_and_b32_e32 v10, 31, v0
	v_cmp_gt_u32_e32 vcc_lo, 32, v0
	v_lshlrev_b32_e32 v5, 3, v10
	s_and_saveexec_b32 s2, vcc_lo
	s_cbranch_execz .LBB586_6
; %bb.5:
	v_mov_b32_e32 v3, 0
	s_delay_alu instid0(VALU_DEP_1)
	v_mov_b32_e32 v4, v3
	ds_store_b64 v5, v[3:4]
.LBB586_6:
	s_or_b32 exec_lo, exec_lo, s2
	v_mbcnt_lo_u32_b32 v9, -1, 0
	s_mov_b32 s6, exec_lo
	s_waitcnt lgkmcnt(0)
	s_barrier
	buffer_gl0_inv
	v_cmp_gt_u32_e64 s2, 16, v9
	s_delay_alu instid0(VALU_DEP_1) | instskip(SKIP_1) | instid1(VALU_DEP_2)
	v_cndmask_b32_e64 v3, 0, 1, s2
	v_cmp_gt_u32_e64 s2, 24, v9
	v_lshlrev_b32_e32 v3, 4, v3
	s_delay_alu instid0(VALU_DEP_1)
	v_add_lshl_u32 v4, v3, v9, 2
	ds_bpermute_b32 v3, v4, v1
	ds_bpermute_b32 v4, v4, v2
	s_waitcnt lgkmcnt(0)
	v_add_f64 v[1:2], v[1:2], v[3:4]
	v_cndmask_b32_e64 v3, 0, 1, s2
	v_cmp_gt_u32_e64 s2, 28, v9
	s_delay_alu instid0(VALU_DEP_2) | instskip(NEXT) | instid1(VALU_DEP_1)
	v_lshlrev_b32_e32 v3, 3, v3
	v_add_lshl_u32 v6, v3, v9, 2
	ds_bpermute_b32 v3, v6, v1
	ds_bpermute_b32 v4, v6, v2
	s_waitcnt lgkmcnt(0)
	v_add_f64 v[1:2], v[1:2], v[3:4]
	v_cndmask_b32_e64 v3, 0, 1, s2
	v_cmp_gt_u32_e64 s2, 30, v9
	s_delay_alu instid0(VALU_DEP_2) | instskip(NEXT) | instid1(VALU_DEP_1)
	v_lshlrev_b32_e32 v3, 2, v3
	v_add_lshl_u32 v7, v3, v9, 2
	ds_bpermute_b32 v3, v7, v1
	ds_bpermute_b32 v4, v7, v2
	s_waitcnt lgkmcnt(0)
	v_add_f64 v[1:2], v[1:2], v[3:4]
	v_cndmask_b32_e64 v3, 0, 1, s2
	v_cmp_ne_u32_e64 s2, 31, v9
	s_delay_alu instid0(VALU_DEP_2) | instskip(NEXT) | instid1(VALU_DEP_1)
	v_lshlrev_b32_e32 v3, 1, v3
	v_add_lshl_u32 v8, v3, v9, 2
	ds_bpermute_b32 v3, v8, v1
	ds_bpermute_b32 v4, v8, v2
	s_waitcnt lgkmcnt(0)
	v_add_f64 v[1:2], v[1:2], v[3:4]
	v_add_co_ci_u32_e64 v3, s2, 0, v9, s2
	s_delay_alu instid0(VALU_DEP_1)
	v_lshlrev_b32_e32 v9, 2, v3
	ds_bpermute_b32 v3, v9, v1
	ds_bpermute_b32 v4, v9, v2
	v_cmpx_eq_u32_e32 0, v10
	s_cbranch_execz .LBB586_8
; %bb.7:
	s_waitcnt lgkmcnt(0)
	v_add_f64 v[1:2], v[1:2], v[3:4]
	v_lshrrev_b32_e32 v3, 2, v0
	s_delay_alu instid0(VALU_DEP_1)
	v_and_b32_e32 v3, 0x78, v3
	ds_store_b64 v3, v[1:2]
.LBB586_8:
	s_or_b32 exec_lo, exec_lo, s6
	v_mov_b32_e32 v1, 0
	v_mov_b32_e32 v2, 0
	s_mov_b32 s6, exec_lo
	s_waitcnt lgkmcnt(0)
	s_barrier
	buffer_gl0_inv
	v_cmpx_gt_u32_e32 16, v0
	s_cbranch_execz .LBB586_10
; %bb.9:
	ds_load_b64 v[1:2], v5
.LBB586_10:
	s_or_b32 exec_lo, exec_lo, s6
	s_and_saveexec_b32 s2, vcc_lo
	s_cbranch_execz .LBB586_12
; %bb.11:
	s_waitcnt lgkmcnt(0)
	ds_bpermute_b32 v3, v6, v1
	ds_bpermute_b32 v4, v6, v2
	s_waitcnt lgkmcnt(0)
	v_add_f64 v[1:2], v[1:2], v[3:4]
	ds_bpermute_b32 v3, v7, v1
	ds_bpermute_b32 v4, v7, v2
	s_waitcnt lgkmcnt(0)
	v_add_f64 v[1:2], v[1:2], v[3:4]
	;; [unrolled: 4-line block ×4, first 2 shown]
.LBB586_12:
	s_or_b32 exec_lo, exec_lo, s2
	s_delay_alu instid0(SALU_CYCLE_1)
	s_mov_b32 s2, exec_lo
	v_cmpx_eq_u32_e32 0, v0
	s_cbranch_execz .LBB586_18
; %bb.13:
	s_cmp_lg_u32 s3, 1
	s_cbranch_scc0 .LBB586_15
; %bb.14:
	s_load_b64 s[6:7], s[0:1], 0x50
	s_mul_hi_u32 s9, s3, s4
	s_mul_i32 s8, s3, s4
	s_mov_b32 s15, 0
	s_lshl_b64 s[2:3], s[8:9], 3
	s_waitcnt lgkmcnt(0)
	s_add_u32 s6, s6, s2
	s_addc_u32 s7, s7, s3
	s_lshl_b64 s[2:3], s[14:15], 3
	s_delay_alu instid0(SALU_CYCLE_1)
	s_add_u32 s2, s6, s2
	s_addc_u32 s3, s7, s3
	s_cbranch_execz .LBB586_16
	s_branch .LBB586_17
.LBB586_15:
                                        ; implicit-def: $sgpr2_sgpr3
.LBB586_16:
	s_load_b64 s[0:1], s[0:1], 0x58
	s_lshl_b64 s[2:3], s[4:5], 3
	s_waitcnt lgkmcnt(0)
	s_add_u32 s2, s0, s2
	s_addc_u32 s3, s1, s3
.LBB586_17:
	v_mov_b32_e32 v0, 0
	s_waitcnt lgkmcnt(0)
	global_store_b64 v0, v[1:2], s[2:3]
.LBB586_18:
	s_nop 0
	s_sendmsg sendmsg(MSG_DEALLOC_VGPRS)
	s_endpgm
	.section	.rodata,"a",@progbits
	.p2align	6, 0x0
	.amdhsa_kernel _ZL18rocblas_dot_kernelIiLb0ELi512ELi2ELb1EdPKPKfdEviT5_lT_lS4_lS5_liPT6_PT4_
		.amdhsa_group_segment_fixed_size 256
		.amdhsa_private_segment_fixed_size 0
		.amdhsa_kernarg_size 352
		.amdhsa_user_sgpr_count 14
		.amdhsa_user_sgpr_dispatch_ptr 0
		.amdhsa_user_sgpr_queue_ptr 0
		.amdhsa_user_sgpr_kernarg_segment_ptr 1
		.amdhsa_user_sgpr_dispatch_id 0
		.amdhsa_user_sgpr_private_segment_size 0
		.amdhsa_wavefront_size32 1
		.amdhsa_uses_dynamic_stack 0
		.amdhsa_enable_private_segment 0
		.amdhsa_system_sgpr_workgroup_id_x 1
		.amdhsa_system_sgpr_workgroup_id_y 0
		.amdhsa_system_sgpr_workgroup_id_z 1
		.amdhsa_system_sgpr_workgroup_info 0
		.amdhsa_system_vgpr_workitem_id 0
		.amdhsa_next_free_vgpr 11
		.amdhsa_next_free_sgpr 24
		.amdhsa_reserve_vcc 1
		.amdhsa_float_round_mode_32 0
		.amdhsa_float_round_mode_16_64 0
		.amdhsa_float_denorm_mode_32 3
		.amdhsa_float_denorm_mode_16_64 3
		.amdhsa_dx10_clamp 1
		.amdhsa_ieee_mode 1
		.amdhsa_fp16_overflow 0
		.amdhsa_workgroup_processor_mode 1
		.amdhsa_memory_ordered 1
		.amdhsa_forward_progress 0
		.amdhsa_shared_vgpr_count 0
		.amdhsa_exception_fp_ieee_invalid_op 0
		.amdhsa_exception_fp_denorm_src 0
		.amdhsa_exception_fp_ieee_div_zero 0
		.amdhsa_exception_fp_ieee_overflow 0
		.amdhsa_exception_fp_ieee_underflow 0
		.amdhsa_exception_fp_ieee_inexact 0
		.amdhsa_exception_int_div_zero 0
	.end_amdhsa_kernel
	.section	.text._ZL18rocblas_dot_kernelIiLb0ELi512ELi2ELb1EdPKPKfdEviT5_lT_lS4_lS5_liPT6_PT4_,"axG",@progbits,_ZL18rocblas_dot_kernelIiLb0ELi512ELi2ELb1EdPKPKfdEviT5_lT_lS4_lS5_liPT6_PT4_,comdat
.Lfunc_end586:
	.size	_ZL18rocblas_dot_kernelIiLb0ELi512ELi2ELb1EdPKPKfdEviT5_lT_lS4_lS5_liPT6_PT4_, .Lfunc_end586-_ZL18rocblas_dot_kernelIiLb0ELi512ELi2ELb1EdPKPKfdEviT5_lT_lS4_lS5_liPT6_PT4_
                                        ; -- End function
	.section	.AMDGPU.csdata,"",@progbits
; Kernel info:
; codeLenInByte = 1148
; NumSgprs: 26
; NumVgprs: 11
; ScratchSize: 0
; MemoryBound: 0
; FloatMode: 240
; IeeeMode: 1
; LDSByteSize: 256 bytes/workgroup (compile time only)
; SGPRBlocks: 3
; VGPRBlocks: 1
; NumSGPRsForWavesPerEU: 26
; NumVGPRsForWavesPerEU: 11
; Occupancy: 16
; WaveLimiterHint : 1
; COMPUTE_PGM_RSRC2:SCRATCH_EN: 0
; COMPUTE_PGM_RSRC2:USER_SGPR: 14
; COMPUTE_PGM_RSRC2:TRAP_HANDLER: 0
; COMPUTE_PGM_RSRC2:TGID_X_EN: 1
; COMPUTE_PGM_RSRC2:TGID_Y_EN: 0
; COMPUTE_PGM_RSRC2:TGID_Z_EN: 1
; COMPUTE_PGM_RSRC2:TIDIG_COMP_CNT: 0
	.section	.text._ZL24rocblas_dot_kernel_magsqIiLb0ELi512ELi2ELb1EdPKPKfdEviT5_lT_liPT6_PT4_,"axG",@progbits,_ZL24rocblas_dot_kernel_magsqIiLb0ELi512ELi2ELb1EdPKPKfdEviT5_lT_liPT6_PT4_,comdat
	.globl	_ZL24rocblas_dot_kernel_magsqIiLb0ELi512ELi2ELb1EdPKPKfdEviT5_lT_liPT6_PT4_ ; -- Begin function _ZL24rocblas_dot_kernel_magsqIiLb0ELi512ELi2ELb1EdPKPKfdEviT5_lT_liPT6_PT4_
	.p2align	8
	.type	_ZL24rocblas_dot_kernel_magsqIiLb0ELi512ELi2ELb1EdPKPKfdEviT5_lT_liPT6_PT4_,@function
_ZL24rocblas_dot_kernel_magsqIiLb0ELi512ELi2ELb1EdPKPKfdEviT5_lT_liPT6_PT4_: ; @_ZL24rocblas_dot_kernel_magsqIiLb0ELi512ELi2ELb1EdPKPKfdEviT5_lT_liPT6_PT4_
; %bb.0:
	s_clause 0x1
	s_load_b32 s6, s[0:1], 0x0
	s_load_b32 s3, s[0:1], 0x40
	v_mov_b32_e32 v1, 0
	v_lshl_or_b32 v3, s14, 9, v0
	v_mov_b32_e32 v2, 0
	s_mov_b32 s4, s15
	s_mov_b32 s5, 0
	s_mov_b32 s2, exec_lo
	s_waitcnt lgkmcnt(0)
	v_cmpx_gt_i32_e64 s6, v3
	s_cbranch_execz .LBB587_4
; %bb.1:
	s_clause 0x1
	s_load_b128 s[8:11], s[0:1], 0x8
	s_load_b32 s7, s[0:1], 0x18
	s_lshl_b64 s[12:13], s[4:5], 3
	s_waitcnt lgkmcnt(0)
	s_add_u32 s8, s8, s12
	s_addc_u32 s9, s9, s13
	v_mad_i64_i32 v[1:2], null, v3, s7, 0
	s_load_b64 s[8:9], s[8:9], 0x0
	s_lshl_b64 s[10:11], s[10:11], 2
	s_delay_alu instid0(VALU_DEP_1) | instskip(SKIP_3) | instid1(VALU_DEP_1)
	v_lshlrev_b64 v[1:2], 2, v[1:2]
	s_waitcnt lgkmcnt(0)
	s_add_u32 s8, s8, s10
	s_addc_u32 s9, s9, s11
	v_add_co_u32 v1, vcc_lo, s8, v1
	s_delay_alu instid0(VALU_DEP_2) | instskip(SKIP_1) | instid1(SALU_CYCLE_1)
	v_add_co_ci_u32_e32 v2, vcc_lo, s9, v2, vcc_lo
	s_add_i32 s10, s14, s3
	v_lshl_or_b32 v3, s10, 9, v0
	global_load_b32 v1, v[1:2], off
	v_cmp_gt_i32_e32 vcc_lo, s6, v3
	s_waitcnt vmcnt(0)
	v_cvt_f64_f32_e32 v[1:2], v1
	s_delay_alu instid0(VALU_DEP_1)
	v_mul_f64 v[1:2], v[1:2], v[1:2]
	s_and_saveexec_b32 s6, vcc_lo
	s_cbranch_execz .LBB587_3
; %bb.2:
	v_mad_i64_i32 v[4:5], null, v3, s7, 0
	s_delay_alu instid0(VALU_DEP_1) | instskip(NEXT) | instid1(VALU_DEP_1)
	v_lshlrev_b64 v[3:4], 2, v[4:5]
	v_add_co_u32 v3, vcc_lo, s8, v3
	s_delay_alu instid0(VALU_DEP_2) | instskip(SKIP_3) | instid1(VALU_DEP_1)
	v_add_co_ci_u32_e32 v4, vcc_lo, s9, v4, vcc_lo
	global_load_b32 v3, v[3:4], off
	s_waitcnt vmcnt(0)
	v_cvt_f64_f32_e32 v[3:4], v3
	v_fma_f64 v[1:2], v[3:4], v[3:4], v[1:2]
.LBB587_3:
	s_or_b32 exec_lo, exec_lo, s6
.LBB587_4:
	s_delay_alu instid0(SALU_CYCLE_1) | instskip(SKIP_2) | instid1(VALU_DEP_2)
	s_or_b32 exec_lo, exec_lo, s2
	v_and_b32_e32 v10, 31, v0
	v_cmp_gt_u32_e32 vcc_lo, 32, v0
	v_lshlrev_b32_e32 v5, 3, v10
	s_and_saveexec_b32 s2, vcc_lo
	s_cbranch_execz .LBB587_6
; %bb.5:
	v_mov_b32_e32 v3, 0
	s_delay_alu instid0(VALU_DEP_1)
	v_mov_b32_e32 v4, v3
	ds_store_b64 v5, v[3:4]
.LBB587_6:
	s_or_b32 exec_lo, exec_lo, s2
	v_mbcnt_lo_u32_b32 v9, -1, 0
	s_mov_b32 s6, exec_lo
	s_waitcnt lgkmcnt(0)
	s_barrier
	buffer_gl0_inv
	v_cmp_gt_u32_e64 s2, 16, v9
	s_delay_alu instid0(VALU_DEP_1) | instskip(SKIP_1) | instid1(VALU_DEP_2)
	v_cndmask_b32_e64 v3, 0, 1, s2
	v_cmp_gt_u32_e64 s2, 24, v9
	v_lshlrev_b32_e32 v3, 4, v3
	s_delay_alu instid0(VALU_DEP_1)
	v_add_lshl_u32 v4, v3, v9, 2
	ds_bpermute_b32 v3, v4, v1
	ds_bpermute_b32 v4, v4, v2
	s_waitcnt lgkmcnt(0)
	v_add_f64 v[1:2], v[1:2], v[3:4]
	v_cndmask_b32_e64 v3, 0, 1, s2
	v_cmp_gt_u32_e64 s2, 28, v9
	s_delay_alu instid0(VALU_DEP_2) | instskip(NEXT) | instid1(VALU_DEP_1)
	v_lshlrev_b32_e32 v3, 3, v3
	v_add_lshl_u32 v6, v3, v9, 2
	ds_bpermute_b32 v3, v6, v1
	ds_bpermute_b32 v4, v6, v2
	s_waitcnt lgkmcnt(0)
	v_add_f64 v[1:2], v[1:2], v[3:4]
	v_cndmask_b32_e64 v3, 0, 1, s2
	v_cmp_gt_u32_e64 s2, 30, v9
	s_delay_alu instid0(VALU_DEP_2) | instskip(NEXT) | instid1(VALU_DEP_1)
	v_lshlrev_b32_e32 v3, 2, v3
	v_add_lshl_u32 v7, v3, v9, 2
	ds_bpermute_b32 v3, v7, v1
	ds_bpermute_b32 v4, v7, v2
	s_waitcnt lgkmcnt(0)
	v_add_f64 v[1:2], v[1:2], v[3:4]
	v_cndmask_b32_e64 v3, 0, 1, s2
	v_cmp_ne_u32_e64 s2, 31, v9
	s_delay_alu instid0(VALU_DEP_2) | instskip(NEXT) | instid1(VALU_DEP_1)
	v_lshlrev_b32_e32 v3, 1, v3
	v_add_lshl_u32 v8, v3, v9, 2
	ds_bpermute_b32 v3, v8, v1
	ds_bpermute_b32 v4, v8, v2
	s_waitcnt lgkmcnt(0)
	v_add_f64 v[1:2], v[1:2], v[3:4]
	v_add_co_ci_u32_e64 v3, s2, 0, v9, s2
	s_delay_alu instid0(VALU_DEP_1)
	v_lshlrev_b32_e32 v9, 2, v3
	ds_bpermute_b32 v3, v9, v1
	ds_bpermute_b32 v4, v9, v2
	v_cmpx_eq_u32_e32 0, v10
	s_cbranch_execz .LBB587_8
; %bb.7:
	s_waitcnt lgkmcnt(0)
	v_add_f64 v[1:2], v[1:2], v[3:4]
	v_lshrrev_b32_e32 v3, 2, v0
	s_delay_alu instid0(VALU_DEP_1)
	v_and_b32_e32 v3, 0x78, v3
	ds_store_b64 v3, v[1:2]
.LBB587_8:
	s_or_b32 exec_lo, exec_lo, s6
	v_mov_b32_e32 v1, 0
	v_mov_b32_e32 v2, 0
	s_mov_b32 s6, exec_lo
	s_waitcnt lgkmcnt(0)
	s_barrier
	buffer_gl0_inv
	v_cmpx_gt_u32_e32 16, v0
	s_cbranch_execz .LBB587_10
; %bb.9:
	ds_load_b64 v[1:2], v5
.LBB587_10:
	s_or_b32 exec_lo, exec_lo, s6
	s_and_saveexec_b32 s2, vcc_lo
	s_cbranch_execz .LBB587_12
; %bb.11:
	s_waitcnt lgkmcnt(0)
	ds_bpermute_b32 v3, v6, v1
	ds_bpermute_b32 v4, v6, v2
	s_waitcnt lgkmcnt(0)
	v_add_f64 v[1:2], v[1:2], v[3:4]
	ds_bpermute_b32 v3, v7, v1
	ds_bpermute_b32 v4, v7, v2
	s_waitcnt lgkmcnt(0)
	v_add_f64 v[1:2], v[1:2], v[3:4]
	ds_bpermute_b32 v3, v8, v1
	ds_bpermute_b32 v4, v8, v2
	s_waitcnt lgkmcnt(0)
	v_add_f64 v[1:2], v[1:2], v[3:4]
	ds_bpermute_b32 v3, v9, v1
	ds_bpermute_b32 v4, v9, v2
	s_waitcnt lgkmcnt(0)
	v_add_f64 v[1:2], v[1:2], v[3:4]
.LBB587_12:
	s_or_b32 exec_lo, exec_lo, s2
	s_delay_alu instid0(SALU_CYCLE_1)
	s_mov_b32 s2, exec_lo
	v_cmpx_eq_u32_e32 0, v0
	s_cbranch_execz .LBB587_18
; %bb.13:
	s_cmp_lg_u32 s3, 1
	s_cbranch_scc0 .LBB587_15
; %bb.14:
	s_load_b64 s[6:7], s[0:1], 0x30
	s_mul_hi_u32 s9, s3, s4
	s_mul_i32 s8, s3, s4
	s_mov_b32 s15, 0
	s_lshl_b64 s[2:3], s[8:9], 3
	s_waitcnt lgkmcnt(0)
	s_add_u32 s6, s6, s2
	s_addc_u32 s7, s7, s3
	s_lshl_b64 s[2:3], s[14:15], 3
	s_delay_alu instid0(SALU_CYCLE_1)
	s_add_u32 s2, s6, s2
	s_addc_u32 s3, s7, s3
	s_cbranch_execz .LBB587_16
	s_branch .LBB587_17
.LBB587_15:
                                        ; implicit-def: $sgpr2_sgpr3
.LBB587_16:
	s_load_b64 s[0:1], s[0:1], 0x38
	s_lshl_b64 s[2:3], s[4:5], 3
	s_waitcnt lgkmcnt(0)
	s_add_u32 s2, s0, s2
	s_addc_u32 s3, s1, s3
.LBB587_17:
	v_mov_b32_e32 v0, 0
	s_waitcnt lgkmcnt(0)
	global_store_b64 v0, v[1:2], s[2:3]
.LBB587_18:
	s_nop 0
	s_sendmsg sendmsg(MSG_DEALLOC_VGPRS)
	s_endpgm
	.section	.rodata,"a",@progbits
	.p2align	6, 0x0
	.amdhsa_kernel _ZL24rocblas_dot_kernel_magsqIiLb0ELi512ELi2ELb1EdPKPKfdEviT5_lT_liPT6_PT4_
		.amdhsa_group_segment_fixed_size 256
		.amdhsa_private_segment_fixed_size 0
		.amdhsa_kernarg_size 320
		.amdhsa_user_sgpr_count 14
		.amdhsa_user_sgpr_dispatch_ptr 0
		.amdhsa_user_sgpr_queue_ptr 0
		.amdhsa_user_sgpr_kernarg_segment_ptr 1
		.amdhsa_user_sgpr_dispatch_id 0
		.amdhsa_user_sgpr_private_segment_size 0
		.amdhsa_wavefront_size32 1
		.amdhsa_uses_dynamic_stack 0
		.amdhsa_enable_private_segment 0
		.amdhsa_system_sgpr_workgroup_id_x 1
		.amdhsa_system_sgpr_workgroup_id_y 0
		.amdhsa_system_sgpr_workgroup_id_z 1
		.amdhsa_system_sgpr_workgroup_info 0
		.amdhsa_system_vgpr_workitem_id 0
		.amdhsa_next_free_vgpr 11
		.amdhsa_next_free_sgpr 16
		.amdhsa_reserve_vcc 1
		.amdhsa_float_round_mode_32 0
		.amdhsa_float_round_mode_16_64 0
		.amdhsa_float_denorm_mode_32 3
		.amdhsa_float_denorm_mode_16_64 3
		.amdhsa_dx10_clamp 1
		.amdhsa_ieee_mode 1
		.amdhsa_fp16_overflow 0
		.amdhsa_workgroup_processor_mode 1
		.amdhsa_memory_ordered 1
		.amdhsa_forward_progress 0
		.amdhsa_shared_vgpr_count 0
		.amdhsa_exception_fp_ieee_invalid_op 0
		.amdhsa_exception_fp_denorm_src 0
		.amdhsa_exception_fp_ieee_div_zero 0
		.amdhsa_exception_fp_ieee_overflow 0
		.amdhsa_exception_fp_ieee_underflow 0
		.amdhsa_exception_fp_ieee_inexact 0
		.amdhsa_exception_int_div_zero 0
	.end_amdhsa_kernel
	.section	.text._ZL24rocblas_dot_kernel_magsqIiLb0ELi512ELi2ELb1EdPKPKfdEviT5_lT_liPT6_PT4_,"axG",@progbits,_ZL24rocblas_dot_kernel_magsqIiLb0ELi512ELi2ELb1EdPKPKfdEviT5_lT_liPT6_PT4_,comdat
.Lfunc_end587:
	.size	_ZL24rocblas_dot_kernel_magsqIiLb0ELi512ELi2ELb1EdPKPKfdEviT5_lT_liPT6_PT4_, .Lfunc_end587-_ZL24rocblas_dot_kernel_magsqIiLb0ELi512ELi2ELb1EdPKPKfdEviT5_lT_liPT6_PT4_
                                        ; -- End function
	.section	.AMDGPU.csdata,"",@progbits
; Kernel info:
; codeLenInByte = 1000
; NumSgprs: 18
; NumVgprs: 11
; ScratchSize: 0
; MemoryBound: 0
; FloatMode: 240
; IeeeMode: 1
; LDSByteSize: 256 bytes/workgroup (compile time only)
; SGPRBlocks: 2
; VGPRBlocks: 1
; NumSGPRsForWavesPerEU: 18
; NumVGPRsForWavesPerEU: 11
; Occupancy: 16
; WaveLimiterHint : 1
; COMPUTE_PGM_RSRC2:SCRATCH_EN: 0
; COMPUTE_PGM_RSRC2:USER_SGPR: 14
; COMPUTE_PGM_RSRC2:TRAP_HANDLER: 0
; COMPUTE_PGM_RSRC2:TGID_X_EN: 1
; COMPUTE_PGM_RSRC2:TGID_Y_EN: 0
; COMPUTE_PGM_RSRC2:TGID_Z_EN: 1
; COMPUTE_PGM_RSRC2:TIDIG_COMP_CNT: 0
	.section	.text._ZL28rocblas_dot_batched_4_kernelIlLi32ELi4ELb1EddPKPKfEviT5_lT_lS4_lS5_liPT4_,"axG",@progbits,_ZL28rocblas_dot_batched_4_kernelIlLi32ELi4ELb1EddPKPKfEviT5_lT_lS4_lS5_liPT4_,comdat
	.globl	_ZL28rocblas_dot_batched_4_kernelIlLi32ELi4ELb1EddPKPKfEviT5_lT_lS4_lS5_liPT4_ ; -- Begin function _ZL28rocblas_dot_batched_4_kernelIlLi32ELi4ELb1EddPKPKfEviT5_lT_lS4_lS5_liPT4_
	.p2align	8
	.type	_ZL28rocblas_dot_batched_4_kernelIlLi32ELi4ELb1EddPKPKfEviT5_lT_lS4_lS5_liPT4_,@function
_ZL28rocblas_dot_batched_4_kernelIlLi32ELi4ELb1EddPKPKfEviT5_lT_lS4_lS5_liPT4_: ; @_ZL28rocblas_dot_batched_4_kernelIlLi32ELi4ELb1EddPKPKfEviT5_lT_lS4_lS5_liPT4_
; %bb.0:
	s_load_b32 s2, s[0:1], 0x48
	v_bfe_u32 v1, v0, 10, 10
	s_delay_alu instid0(VALU_DEP_1) | instskip(SKIP_1) | instid1(VALU_DEP_1)
	v_lshl_add_u32 v4, s15, 2, v1
	s_waitcnt lgkmcnt(0)
	v_cmp_gt_u32_e32 vcc_lo, s2, v4
	s_and_saveexec_b32 s2, vcc_lo
	s_cbranch_execz .LBB588_7
; %bb.1:
	s_clause 0x1
	s_load_b32 s10, s[0:1], 0x0
	s_load_b64 s[8:9], s[0:1], 0x50
	v_dual_mov_b32 v5, 0 :: v_dual_and_b32 v8, 0x3ff, v0
	v_mov_b32_e32 v2, 0
	v_mov_b32_e32 v3, 0
	s_mov_b32 s11, exec_lo
	s_delay_alu instid0(VALU_DEP_3)
	v_lshlrev_b64 v[0:1], 3, v[4:5]
	s_waitcnt lgkmcnt(0)
	v_cmpx_gt_i32_e64 s10, v8
	s_cbranch_execz .LBB588_5
; %bb.2:
	s_clause 0x3
	s_load_b64 s[12:13], s[0:1], 0x8
	s_load_b64 s[14:15], s[0:1], 0x28
	s_load_b128 s[4:7], s[0:1], 0x10
	s_load_b128 s[0:3], s[0:1], 0x30
	s_waitcnt lgkmcnt(0)
	v_add_co_u32 v2, vcc_lo, s12, v0
	v_add_co_ci_u32_e32 v3, vcc_lo, s13, v1, vcc_lo
	v_add_co_u32 v4, vcc_lo, s14, v0
	v_add_co_ci_u32_e32 v5, vcc_lo, s15, v1, vcc_lo
	s_lshl_b64 s[4:5], s[4:5], 2
	global_load_b64 v[6:7], v[2:3], off
	global_load_b64 v[9:10], v[4:5], off
	v_mad_u64_u32 v[2:3], null, s6, v8, 0
	v_mad_u64_u32 v[4:5], null, s2, v8, 0
	s_lshl_b64 s[0:1], s[0:1], 2
	s_delay_alu instid0(VALU_DEP_1) | instskip(NEXT) | instid1(VALU_DEP_1)
	v_mad_u64_u32 v[11:12], null, s7, v8, v[3:4]
	v_mov_b32_e32 v3, v11
	s_waitcnt vmcnt(1)
	s_delay_alu instid0(VALU_DEP_3) | instskip(SKIP_1) | instid1(VALU_DEP_1)
	v_mad_u64_u32 v[12:13], null, s3, v8, v[5:6]
	s_lshl_b64 s[2:3], s[2:3], 7
	v_mov_b32_e32 v5, v12
	v_lshlrev_b64 v[11:12], 2, v[2:3]
	v_mov_b32_e32 v2, 0
	v_mov_b32_e32 v3, 0
	s_delay_alu instid0(VALU_DEP_4) | instskip(NEXT) | instid1(VALU_DEP_4)
	v_lshlrev_b64 v[4:5], 2, v[4:5]
	v_add_co_u32 v11, vcc_lo, v11, s4
	v_add_co_ci_u32_e32 v12, vcc_lo, s5, v12, vcc_lo
	s_delay_alu instid0(VALU_DEP_3) | instskip(NEXT) | instid1(VALU_DEP_4)
	v_add_co_u32 v13, vcc_lo, v4, s0
	v_add_co_ci_u32_e32 v14, vcc_lo, s1, v5, vcc_lo
	s_delay_alu instid0(VALU_DEP_4) | instskip(NEXT) | instid1(VALU_DEP_4)
	v_add_co_u32 v4, vcc_lo, v6, v11
	v_add_co_ci_u32_e32 v5, vcc_lo, v7, v12, vcc_lo
	s_waitcnt vmcnt(0)
	v_add_co_u32 v6, vcc_lo, v9, v13
	v_add_co_ci_u32_e32 v7, vcc_lo, v10, v14, vcc_lo
	v_mov_b32_e32 v9, v8
	s_lshl_b64 s[4:5], s[6:7], 7
	s_mov_b32 s1, 0
	.p2align	6
.LBB588_3:                              ; =>This Inner Loop Header: Depth=1
	global_load_b32 v10, v[4:5], off
	global_load_b32 v12, v[6:7], off
	v_add_nc_u32_e32 v9, 32, v9
	v_add_co_u32 v4, vcc_lo, v4, s4
	v_add_co_ci_u32_e32 v5, vcc_lo, s5, v5, vcc_lo
	s_delay_alu instid0(VALU_DEP_3) | instskip(SKIP_1) | instid1(VALU_DEP_1)
	v_cmp_le_i32_e32 vcc_lo, s10, v9
	v_add_co_u32 v6, s0, v6, s2
	v_add_co_ci_u32_e64 v7, s0, s3, v7, s0
	s_or_b32 s1, vcc_lo, s1
	s_waitcnt vmcnt(1)
	v_cvt_f64_f32_e32 v[10:11], v10
	s_waitcnt vmcnt(0)
	v_cvt_f64_f32_e32 v[12:13], v12
	s_delay_alu instid0(VALU_DEP_1)
	v_fma_f64 v[2:3], v[10:11], v[12:13], v[2:3]
	s_and_not1_b32 exec_lo, exec_lo, s1
	s_cbranch_execnz .LBB588_3
; %bb.4:
	s_or_b32 exec_lo, exec_lo, s1
.LBB588_5:
	s_delay_alu instid0(SALU_CYCLE_1)
	s_or_b32 exec_lo, exec_lo, s11
	v_mbcnt_lo_u32_b32 v6, -1, 0
	s_barrier
	buffer_gl0_inv
	v_cmp_gt_u32_e32 vcc_lo, 16, v6
	v_cndmask_b32_e64 v4, 0, 1, vcc_lo
	v_cmp_gt_u32_e32 vcc_lo, 24, v6
	s_delay_alu instid0(VALU_DEP_2) | instskip(NEXT) | instid1(VALU_DEP_1)
	v_lshlrev_b32_e32 v4, 4, v4
	v_add_lshl_u32 v5, v4, v6, 2
	ds_bpermute_b32 v4, v5, v2
	ds_bpermute_b32 v5, v5, v3
	s_waitcnt lgkmcnt(0)
	v_add_f64 v[2:3], v[2:3], v[4:5]
	v_cndmask_b32_e64 v4, 0, 1, vcc_lo
	v_cmp_gt_u32_e32 vcc_lo, 28, v6
	s_delay_alu instid0(VALU_DEP_2) | instskip(NEXT) | instid1(VALU_DEP_1)
	v_lshlrev_b32_e32 v4, 3, v4
	v_add_lshl_u32 v5, v4, v6, 2
	ds_bpermute_b32 v4, v5, v2
	ds_bpermute_b32 v5, v5, v3
	s_waitcnt lgkmcnt(0)
	v_add_f64 v[2:3], v[2:3], v[4:5]
	;; [unrolled: 9-line block ×3, first 2 shown]
	v_cndmask_b32_e64 v4, 0, 1, vcc_lo
	v_cmp_ne_u32_e32 vcc_lo, 31, v6
	s_delay_alu instid0(VALU_DEP_2) | instskip(NEXT) | instid1(VALU_DEP_1)
	v_lshlrev_b32_e32 v4, 1, v4
	v_add_lshl_u32 v5, v4, v6, 2
	ds_bpermute_b32 v4, v5, v2
	ds_bpermute_b32 v5, v5, v3
	s_waitcnt lgkmcnt(0)
	v_add_f64 v[2:3], v[2:3], v[4:5]
	v_add_co_ci_u32_e32 v4, vcc_lo, 0, v6, vcc_lo
	v_cmp_eq_u32_e32 vcc_lo, 0, v8
	s_delay_alu instid0(VALU_DEP_2)
	v_lshlrev_b32_e32 v5, 2, v4
	ds_bpermute_b32 v4, v5, v2
	ds_bpermute_b32 v5, v5, v3
	s_and_b32 exec_lo, exec_lo, vcc_lo
	s_cbranch_execz .LBB588_7
; %bb.6:
	s_waitcnt lgkmcnt(0)
	v_add_f64 v[2:3], v[2:3], v[4:5]
	v_add_co_u32 v0, vcc_lo, s8, v0
	v_add_co_ci_u32_e32 v1, vcc_lo, s9, v1, vcc_lo
	global_store_b64 v[0:1], v[2:3], off
.LBB588_7:
	s_nop 0
	s_sendmsg sendmsg(MSG_DEALLOC_VGPRS)
	s_endpgm
	.section	.rodata,"a",@progbits
	.p2align	6, 0x0
	.amdhsa_kernel _ZL28rocblas_dot_batched_4_kernelIlLi32ELi4ELb1EddPKPKfEviT5_lT_lS4_lS5_liPT4_
		.amdhsa_group_segment_fixed_size 0
		.amdhsa_private_segment_fixed_size 0
		.amdhsa_kernarg_size 88
		.amdhsa_user_sgpr_count 15
		.amdhsa_user_sgpr_dispatch_ptr 0
		.amdhsa_user_sgpr_queue_ptr 0
		.amdhsa_user_sgpr_kernarg_segment_ptr 1
		.amdhsa_user_sgpr_dispatch_id 0
		.amdhsa_user_sgpr_private_segment_size 0
		.amdhsa_wavefront_size32 1
		.amdhsa_uses_dynamic_stack 0
		.amdhsa_enable_private_segment 0
		.amdhsa_system_sgpr_workgroup_id_x 1
		.amdhsa_system_sgpr_workgroup_id_y 0
		.amdhsa_system_sgpr_workgroup_id_z 0
		.amdhsa_system_sgpr_workgroup_info 0
		.amdhsa_system_vgpr_workitem_id 1
		.amdhsa_next_free_vgpr 15
		.amdhsa_next_free_sgpr 16
		.amdhsa_reserve_vcc 1
		.amdhsa_float_round_mode_32 0
		.amdhsa_float_round_mode_16_64 0
		.amdhsa_float_denorm_mode_32 3
		.amdhsa_float_denorm_mode_16_64 3
		.amdhsa_dx10_clamp 1
		.amdhsa_ieee_mode 1
		.amdhsa_fp16_overflow 0
		.amdhsa_workgroup_processor_mode 1
		.amdhsa_memory_ordered 1
		.amdhsa_forward_progress 0
		.amdhsa_shared_vgpr_count 0
		.amdhsa_exception_fp_ieee_invalid_op 0
		.amdhsa_exception_fp_denorm_src 0
		.amdhsa_exception_fp_ieee_div_zero 0
		.amdhsa_exception_fp_ieee_overflow 0
		.amdhsa_exception_fp_ieee_underflow 0
		.amdhsa_exception_fp_ieee_inexact 0
		.amdhsa_exception_int_div_zero 0
	.end_amdhsa_kernel
	.section	.text._ZL28rocblas_dot_batched_4_kernelIlLi32ELi4ELb1EddPKPKfEviT5_lT_lS4_lS5_liPT4_,"axG",@progbits,_ZL28rocblas_dot_batched_4_kernelIlLi32ELi4ELb1EddPKPKfEviT5_lT_lS4_lS5_liPT4_,comdat
.Lfunc_end588:
	.size	_ZL28rocblas_dot_batched_4_kernelIlLi32ELi4ELb1EddPKPKfEviT5_lT_lS4_lS5_liPT4_, .Lfunc_end588-_ZL28rocblas_dot_batched_4_kernelIlLi32ELi4ELb1EddPKPKfEviT5_lT_lS4_lS5_liPT4_
                                        ; -- End function
	.section	.AMDGPU.csdata,"",@progbits
; Kernel info:
; codeLenInByte = 800
; NumSgprs: 18
; NumVgprs: 15
; ScratchSize: 0
; MemoryBound: 0
; FloatMode: 240
; IeeeMode: 1
; LDSByteSize: 0 bytes/workgroup (compile time only)
; SGPRBlocks: 2
; VGPRBlocks: 1
; NumSGPRsForWavesPerEU: 18
; NumVGPRsForWavesPerEU: 15
; Occupancy: 16
; WaveLimiterHint : 0
; COMPUTE_PGM_RSRC2:SCRATCH_EN: 0
; COMPUTE_PGM_RSRC2:USER_SGPR: 15
; COMPUTE_PGM_RSRC2:TRAP_HANDLER: 0
; COMPUTE_PGM_RSRC2:TGID_X_EN: 1
; COMPUTE_PGM_RSRC2:TGID_Y_EN: 0
; COMPUTE_PGM_RSRC2:TGID_Z_EN: 0
; COMPUTE_PGM_RSRC2:TIDIG_COMP_CNT: 1
	.section	.text._ZL28rocblas_dot_batched_4_kernelIlLi64ELi4ELb1EddPKPKfEviT5_lT_lS4_lS5_liPT4_,"axG",@progbits,_ZL28rocblas_dot_batched_4_kernelIlLi64ELi4ELb1EddPKPKfEviT5_lT_lS4_lS5_liPT4_,comdat
	.globl	_ZL28rocblas_dot_batched_4_kernelIlLi64ELi4ELb1EddPKPKfEviT5_lT_lS4_lS5_liPT4_ ; -- Begin function _ZL28rocblas_dot_batched_4_kernelIlLi64ELi4ELb1EddPKPKfEviT5_lT_lS4_lS5_liPT4_
	.p2align	8
	.type	_ZL28rocblas_dot_batched_4_kernelIlLi64ELi4ELb1EddPKPKfEviT5_lT_lS4_lS5_liPT4_,@function
_ZL28rocblas_dot_batched_4_kernelIlLi64ELi4ELb1EddPKPKfEviT5_lT_lS4_lS5_liPT4_: ; @_ZL28rocblas_dot_batched_4_kernelIlLi64ELi4ELb1EddPKPKfEviT5_lT_lS4_lS5_liPT4_
; %bb.0:
	s_load_b32 s2, s[0:1], 0x48
	v_bfe_u32 v1, v0, 10, 10
	s_delay_alu instid0(VALU_DEP_1) | instskip(SKIP_1) | instid1(VALU_DEP_1)
	v_lshl_add_u32 v4, s15, 2, v1
	s_waitcnt lgkmcnt(0)
	v_cmp_gt_u32_e32 vcc_lo, s2, v4
	s_and_saveexec_b32 s2, vcc_lo
	s_cbranch_execz .LBB589_7
; %bb.1:
	s_clause 0x1
	s_load_b32 s10, s[0:1], 0x0
	s_load_b64 s[8:9], s[0:1], 0x50
	v_dual_mov_b32 v5, 0 :: v_dual_and_b32 v8, 0x3ff, v0
	v_mov_b32_e32 v2, 0
	v_mov_b32_e32 v3, 0
	s_mov_b32 s11, exec_lo
	s_delay_alu instid0(VALU_DEP_3)
	v_lshlrev_b64 v[0:1], 3, v[4:5]
	s_waitcnt lgkmcnt(0)
	v_cmpx_gt_i32_e64 s10, v8
	s_cbranch_execz .LBB589_5
; %bb.2:
	s_clause 0x3
	s_load_b64 s[12:13], s[0:1], 0x8
	s_load_b64 s[14:15], s[0:1], 0x28
	s_load_b128 s[4:7], s[0:1], 0x10
	s_load_b128 s[0:3], s[0:1], 0x30
	s_waitcnt lgkmcnt(0)
	v_add_co_u32 v2, vcc_lo, s12, v0
	v_add_co_ci_u32_e32 v3, vcc_lo, s13, v1, vcc_lo
	v_add_co_u32 v4, vcc_lo, s14, v0
	v_add_co_ci_u32_e32 v5, vcc_lo, s15, v1, vcc_lo
	s_lshl_b64 s[4:5], s[4:5], 2
	global_load_b64 v[6:7], v[2:3], off
	global_load_b64 v[9:10], v[4:5], off
	v_mad_u64_u32 v[2:3], null, s6, v8, 0
	v_mad_u64_u32 v[4:5], null, s2, v8, 0
	s_lshl_b64 s[0:1], s[0:1], 2
	s_delay_alu instid0(VALU_DEP_1) | instskip(NEXT) | instid1(VALU_DEP_1)
	v_mad_u64_u32 v[11:12], null, s7, v8, v[3:4]
	v_mov_b32_e32 v3, v11
	s_waitcnt vmcnt(1)
	s_delay_alu instid0(VALU_DEP_3) | instskip(SKIP_1) | instid1(VALU_DEP_1)
	v_mad_u64_u32 v[12:13], null, s3, v8, v[5:6]
	s_lshl_b64 s[2:3], s[2:3], 8
	v_mov_b32_e32 v5, v12
	v_lshlrev_b64 v[11:12], 2, v[2:3]
	v_mov_b32_e32 v2, 0
	v_mov_b32_e32 v3, 0
	s_delay_alu instid0(VALU_DEP_4) | instskip(NEXT) | instid1(VALU_DEP_4)
	v_lshlrev_b64 v[4:5], 2, v[4:5]
	v_add_co_u32 v11, vcc_lo, v11, s4
	v_add_co_ci_u32_e32 v12, vcc_lo, s5, v12, vcc_lo
	s_delay_alu instid0(VALU_DEP_3) | instskip(NEXT) | instid1(VALU_DEP_4)
	v_add_co_u32 v13, vcc_lo, v4, s0
	v_add_co_ci_u32_e32 v14, vcc_lo, s1, v5, vcc_lo
	s_delay_alu instid0(VALU_DEP_4) | instskip(NEXT) | instid1(VALU_DEP_4)
	v_add_co_u32 v4, vcc_lo, v6, v11
	v_add_co_ci_u32_e32 v5, vcc_lo, v7, v12, vcc_lo
	s_waitcnt vmcnt(0)
	v_add_co_u32 v6, vcc_lo, v9, v13
	v_add_co_ci_u32_e32 v7, vcc_lo, v10, v14, vcc_lo
	v_mov_b32_e32 v9, v8
	s_lshl_b64 s[4:5], s[6:7], 8
	s_mov_b32 s1, 0
	.p2align	6
.LBB589_3:                              ; =>This Inner Loop Header: Depth=1
	global_load_b32 v10, v[4:5], off
	global_load_b32 v12, v[6:7], off
	v_add_nc_u32_e32 v9, 64, v9
	v_add_co_u32 v4, vcc_lo, v4, s4
	v_add_co_ci_u32_e32 v5, vcc_lo, s5, v5, vcc_lo
	s_delay_alu instid0(VALU_DEP_3) | instskip(SKIP_1) | instid1(VALU_DEP_1)
	v_cmp_le_i32_e32 vcc_lo, s10, v9
	v_add_co_u32 v6, s0, v6, s2
	v_add_co_ci_u32_e64 v7, s0, s3, v7, s0
	s_or_b32 s1, vcc_lo, s1
	s_waitcnt vmcnt(1)
	v_cvt_f64_f32_e32 v[10:11], v10
	s_waitcnt vmcnt(0)
	v_cvt_f64_f32_e32 v[12:13], v12
	s_delay_alu instid0(VALU_DEP_1)
	v_fma_f64 v[2:3], v[10:11], v[12:13], v[2:3]
	s_and_not1_b32 exec_lo, exec_lo, s1
	s_cbranch_execnz .LBB589_3
; %bb.4:
	s_or_b32 exec_lo, exec_lo, s1
.LBB589_5:
	s_delay_alu instid0(SALU_CYCLE_1)
	s_or_b32 exec_lo, exec_lo, s11
	v_mbcnt_lo_u32_b32 v6, -1, 0
	s_barrier
	buffer_gl0_inv
	v_lshlrev_b32_e32 v5, 2, v6
	v_cmp_gt_u32_e32 vcc_lo, 16, v6
	ds_bpermute_b32 v4, v5, v2
	ds_bpermute_b32 v5, v5, v3
	s_waitcnt lgkmcnt(0)
	v_add_f64 v[2:3], v[2:3], v[4:5]
	v_cndmask_b32_e64 v4, 0, 1, vcc_lo
	v_cmp_gt_u32_e32 vcc_lo, 24, v6
	s_delay_alu instid0(VALU_DEP_2) | instskip(NEXT) | instid1(VALU_DEP_1)
	v_lshlrev_b32_e32 v4, 4, v4
	v_add_lshl_u32 v5, v4, v6, 2
	ds_bpermute_b32 v4, v5, v2
	ds_bpermute_b32 v5, v5, v3
	s_waitcnt lgkmcnt(0)
	v_add_f64 v[2:3], v[2:3], v[4:5]
	v_cndmask_b32_e64 v4, 0, 1, vcc_lo
	v_cmp_gt_u32_e32 vcc_lo, 28, v6
	s_delay_alu instid0(VALU_DEP_2) | instskip(NEXT) | instid1(VALU_DEP_1)
	v_lshlrev_b32_e32 v4, 3, v4
	v_add_lshl_u32 v5, v4, v6, 2
	;; [unrolled: 9-line block ×3, first 2 shown]
	ds_bpermute_b32 v4, v5, v2
	ds_bpermute_b32 v5, v5, v3
	s_waitcnt lgkmcnt(0)
	v_add_f64 v[2:3], v[2:3], v[4:5]
	v_cndmask_b32_e64 v4, 0, 1, vcc_lo
	v_cmp_ne_u32_e32 vcc_lo, 31, v6
	s_delay_alu instid0(VALU_DEP_2) | instskip(NEXT) | instid1(VALU_DEP_1)
	v_lshlrev_b32_e32 v4, 1, v4
	v_add_lshl_u32 v5, v4, v6, 2
	ds_bpermute_b32 v4, v5, v2
	ds_bpermute_b32 v5, v5, v3
	s_waitcnt lgkmcnt(0)
	v_add_f64 v[2:3], v[2:3], v[4:5]
	v_add_co_ci_u32_e32 v4, vcc_lo, 0, v6, vcc_lo
	v_cmp_eq_u32_e32 vcc_lo, 0, v8
	s_delay_alu instid0(VALU_DEP_2)
	v_lshlrev_b32_e32 v5, 2, v4
	ds_bpermute_b32 v4, v5, v2
	ds_bpermute_b32 v5, v5, v3
	s_and_b32 exec_lo, exec_lo, vcc_lo
	s_cbranch_execz .LBB589_7
; %bb.6:
	s_waitcnt lgkmcnt(0)
	v_add_f64 v[2:3], v[2:3], v[4:5]
	v_add_co_u32 v0, vcc_lo, s8, v0
	v_add_co_ci_u32_e32 v1, vcc_lo, s9, v1, vcc_lo
	global_store_b64 v[0:1], v[2:3], off
.LBB589_7:
	s_nop 0
	s_sendmsg sendmsg(MSG_DEALLOC_VGPRS)
	s_endpgm
	.section	.rodata,"a",@progbits
	.p2align	6, 0x0
	.amdhsa_kernel _ZL28rocblas_dot_batched_4_kernelIlLi64ELi4ELb1EddPKPKfEviT5_lT_lS4_lS5_liPT4_
		.amdhsa_group_segment_fixed_size 0
		.amdhsa_private_segment_fixed_size 0
		.amdhsa_kernarg_size 88
		.amdhsa_user_sgpr_count 15
		.amdhsa_user_sgpr_dispatch_ptr 0
		.amdhsa_user_sgpr_queue_ptr 0
		.amdhsa_user_sgpr_kernarg_segment_ptr 1
		.amdhsa_user_sgpr_dispatch_id 0
		.amdhsa_user_sgpr_private_segment_size 0
		.amdhsa_wavefront_size32 1
		.amdhsa_uses_dynamic_stack 0
		.amdhsa_enable_private_segment 0
		.amdhsa_system_sgpr_workgroup_id_x 1
		.amdhsa_system_sgpr_workgroup_id_y 0
		.amdhsa_system_sgpr_workgroup_id_z 0
		.amdhsa_system_sgpr_workgroup_info 0
		.amdhsa_system_vgpr_workitem_id 1
		.amdhsa_next_free_vgpr 15
		.amdhsa_next_free_sgpr 16
		.amdhsa_reserve_vcc 1
		.amdhsa_float_round_mode_32 0
		.amdhsa_float_round_mode_16_64 0
		.amdhsa_float_denorm_mode_32 3
		.amdhsa_float_denorm_mode_16_64 3
		.amdhsa_dx10_clamp 1
		.amdhsa_ieee_mode 1
		.amdhsa_fp16_overflow 0
		.amdhsa_workgroup_processor_mode 1
		.amdhsa_memory_ordered 1
		.amdhsa_forward_progress 0
		.amdhsa_shared_vgpr_count 0
		.amdhsa_exception_fp_ieee_invalid_op 0
		.amdhsa_exception_fp_denorm_src 0
		.amdhsa_exception_fp_ieee_div_zero 0
		.amdhsa_exception_fp_ieee_overflow 0
		.amdhsa_exception_fp_ieee_underflow 0
		.amdhsa_exception_fp_ieee_inexact 0
		.amdhsa_exception_int_div_zero 0
	.end_amdhsa_kernel
	.section	.text._ZL28rocblas_dot_batched_4_kernelIlLi64ELi4ELb1EddPKPKfEviT5_lT_lS4_lS5_liPT4_,"axG",@progbits,_ZL28rocblas_dot_batched_4_kernelIlLi64ELi4ELb1EddPKPKfEviT5_lT_lS4_lS5_liPT4_,comdat
.Lfunc_end589:
	.size	_ZL28rocblas_dot_batched_4_kernelIlLi64ELi4ELb1EddPKPKfEviT5_lT_lS4_lS5_liPT4_, .Lfunc_end589-_ZL28rocblas_dot_batched_4_kernelIlLi64ELi4ELb1EddPKPKfEviT5_lT_lS4_lS5_liPT4_
                                        ; -- End function
	.section	.AMDGPU.csdata,"",@progbits
; Kernel info:
; codeLenInByte = 832
; NumSgprs: 18
; NumVgprs: 15
; ScratchSize: 0
; MemoryBound: 0
; FloatMode: 240
; IeeeMode: 1
; LDSByteSize: 0 bytes/workgroup (compile time only)
; SGPRBlocks: 2
; VGPRBlocks: 1
; NumSGPRsForWavesPerEU: 18
; NumVGPRsForWavesPerEU: 15
; Occupancy: 16
; WaveLimiterHint : 0
; COMPUTE_PGM_RSRC2:SCRATCH_EN: 0
; COMPUTE_PGM_RSRC2:USER_SGPR: 15
; COMPUTE_PGM_RSRC2:TRAP_HANDLER: 0
; COMPUTE_PGM_RSRC2:TGID_X_EN: 1
; COMPUTE_PGM_RSRC2:TGID_Y_EN: 0
; COMPUTE_PGM_RSRC2:TGID_Z_EN: 0
; COMPUTE_PGM_RSRC2:TIDIG_COMP_CNT: 1
	.section	.text._ZL18rocblas_dot_kernelIlLb1ELi1024ELi32ELb1EdPKPKfdEviT5_lT_lS4_lS5_liPT6_PT4_,"axG",@progbits,_ZL18rocblas_dot_kernelIlLb1ELi1024ELi32ELb1EdPKPKfdEviT5_lT_lS4_lS5_liPT6_PT4_,comdat
	.globl	_ZL18rocblas_dot_kernelIlLb1ELi1024ELi32ELb1EdPKPKfdEviT5_lT_lS4_lS5_liPT6_PT4_ ; -- Begin function _ZL18rocblas_dot_kernelIlLb1ELi1024ELi32ELb1EdPKPKfdEviT5_lT_lS4_lS5_liPT6_PT4_
	.p2align	8
	.type	_ZL18rocblas_dot_kernelIlLb1ELi1024ELi32ELb1EdPKPKfdEviT5_lT_lS4_lS5_liPT6_PT4_,@function
_ZL18rocblas_dot_kernelIlLb1ELi1024ELi32ELb1EdPKPKfdEviT5_lT_lS4_lS5_liPT6_PT4_: ; @_ZL18rocblas_dot_kernelIlLb1ELi1024ELi32ELb1EdPKPKfdEviT5_lT_lS4_lS5_liPT6_PT4_
; %bb.0:
	s_clause 0x1
	s_load_b32 s14, s[0:1], 0x0
	s_load_b64 s[2:3], s[0:1], 0x58
	v_mov_b32_e32 v1, 0
	v_mov_b32_e32 v2, 0
	s_mov_b32 s12, s15
	s_mov_b32 s13, 0
	s_mov_b32 s15, exec_lo
	s_waitcnt lgkmcnt(0)
	v_cmpx_gt_i32_e64 s14, v0
	s_cbranch_execz .LBB590_4
; %bb.1:
	s_clause 0x4
	s_load_b64 s[16:17], s[0:1], 0x8
	s_load_b128 s[8:11], s[0:1], 0x10
	s_load_b128 s[4:7], s[0:1], 0x30
	s_load_b64 s[18:19], s[0:1], 0x28
	s_load_b32 s20, s[0:1], 0x60
	s_lshl_b64 s[0:1], s[12:13], 3
	s_waitcnt lgkmcnt(0)
	s_add_u32 s16, s16, s0
	s_addc_u32 s17, s17, s1
	v_mad_u64_u32 v[3:4], null, s10, v0, 0
	s_load_b64 s[16:17], s[16:17], 0x0
	v_mad_u64_u32 v[5:6], null, s6, v0, 0
	s_add_u32 s18, s18, s0
	s_addc_u32 s19, s19, s1
	s_lshl_b32 s1, s20, 10
	s_load_b64 s[18:19], s[18:19], 0x0
	v_or_b32_e32 v7, s1, v0
	s_lshl_b64 s[8:9], s[8:9], 2
	s_delay_alu instid0(VALU_DEP_2) | instskip(SKIP_1) | instid1(VALU_DEP_3)
	v_mad_u64_u32 v[8:9], null, s11, v0, v[4:5]
	v_mov_b32_e32 v1, 0
	v_mad_u64_u32 v[9:10], null, s7, v0, v[6:7]
	s_mul_hi_u32 s0, s10, s1
	s_mul_i32 s11, s11, s1
	s_mul_i32 s20, s10, s1
	s_delay_alu instid0(VALU_DEP_3)
	v_mov_b32_e32 v4, v8
	s_mul_hi_u32 s23, s6, s1
	s_mul_i32 s22, s6, s1
	s_waitcnt lgkmcnt(0)
	s_add_u32 s16, s16, s8
	v_mov_b32_e32 v6, v9
	s_addc_u32 s17, s17, s9
	s_ashr_i32 s24, s1, 31
	s_lshl_b64 s[8:9], s[4:5], 2
	s_mul_i32 s4, s10, s24
	v_lshlrev_b64 v[3:4], 2, v[3:4]
	s_add_i32 s0, s0, s4
	v_lshlrev_b64 v[5:6], 2, v[5:6]
	s_add_i32 s21, s0, s11
	s_mul_i32 s0, s6, s24
	s_lshl_b64 s[4:5], s[20:21], 2
	v_add_co_u32 v3, vcc_lo, s16, v3
	s_add_u32 s6, s18, s8
	v_add_co_ci_u32_e32 v4, vcc_lo, s17, v4, vcc_lo
	s_addc_u32 s8, s19, s9
	v_add_co_u32 v5, vcc_lo, s6, v5
	s_mul_i32 s7, s7, s1
	s_add_i32 s0, s23, s0
	v_mov_b32_e32 v2, 0
	v_add_co_ci_u32_e32 v6, vcc_lo, s8, v6, vcc_lo
	s_add_i32 s23, s0, s7
	s_mov_b32 s8, s13
	s_lshl_b64 s[6:7], s[22:23], 2
	s_mov_b32 s9, s13
	.p2align	6
.LBB590_2:                              ; =>This Inner Loop Header: Depth=1
	global_load_b32 v8, v[5:6], off
	global_load_b32 v10, v[3:4], off
	s_add_i32 s10, s9, 1
	v_cmp_le_i32_e32 vcc_lo, s14, v7
	v_add_co_u32 v3, s0, v3, s4
	s_cmp_gt_u32 s9, 30
	v_add_co_ci_u32_e64 v4, s0, s5, v4, s0
	s_cselect_b32 s9, -1, 0
	v_add_co_u32 v5, s0, v5, s6
	s_or_b32 s9, s9, vcc_lo
	v_add_nc_u32_e32 v7, s1, v7
	v_add_co_ci_u32_e64 v6, vcc_lo, s7, v6, s0
	s_and_b32 s0, exec_lo, s9
	s_mov_b32 s9, s10
	s_or_b32 s8, s0, s8
	s_waitcnt vmcnt(1)
	v_cvt_f64_f32_e32 v[8:9], v8
	s_waitcnt vmcnt(0)
	v_cvt_f64_f32_e32 v[10:11], v10
	s_delay_alu instid0(VALU_DEP_1)
	v_fma_f64 v[1:2], v[8:9], v[10:11], v[1:2]
	s_and_not1_b32 exec_lo, exec_lo, s8
	s_cbranch_execnz .LBB590_2
; %bb.3:
	s_or_b32 exec_lo, exec_lo, s8
.LBB590_4:
	s_delay_alu instid0(SALU_CYCLE_1) | instskip(SKIP_2) | instid1(VALU_DEP_2)
	s_or_b32 exec_lo, exec_lo, s15
	v_and_b32_e32 v11, 31, v0
	v_cmp_gt_u32_e32 vcc_lo, 32, v0
	v_lshlrev_b32_e32 v5, 3, v11
	s_and_saveexec_b32 s0, vcc_lo
	s_cbranch_execz .LBB590_6
; %bb.5:
	v_mov_b32_e32 v3, 0
	s_delay_alu instid0(VALU_DEP_1)
	v_mov_b32_e32 v4, v3
	ds_store_b64 v5, v[3:4]
.LBB590_6:
	s_or_b32 exec_lo, exec_lo, s0
	v_mbcnt_lo_u32_b32 v10, -1, 0
	s_mov_b32 s1, exec_lo
	s_waitcnt lgkmcnt(0)
	s_barrier
	buffer_gl0_inv
	v_cmp_gt_u32_e64 s0, 16, v10
	s_delay_alu instid0(VALU_DEP_1) | instskip(SKIP_1) | instid1(VALU_DEP_2)
	v_cndmask_b32_e64 v3, 0, 1, s0
	v_cmp_gt_u32_e64 s0, 24, v10
	v_lshlrev_b32_e32 v3, 4, v3
	s_delay_alu instid0(VALU_DEP_1)
	v_add_lshl_u32 v6, v3, v10, 2
	ds_bpermute_b32 v3, v6, v1
	ds_bpermute_b32 v4, v6, v2
	s_waitcnt lgkmcnt(0)
	v_add_f64 v[1:2], v[1:2], v[3:4]
	v_cndmask_b32_e64 v3, 0, 1, s0
	v_cmp_gt_u32_e64 s0, 28, v10
	s_delay_alu instid0(VALU_DEP_2) | instskip(NEXT) | instid1(VALU_DEP_1)
	v_lshlrev_b32_e32 v3, 3, v3
	v_add_lshl_u32 v7, v3, v10, 2
	ds_bpermute_b32 v3, v7, v1
	ds_bpermute_b32 v4, v7, v2
	s_waitcnt lgkmcnt(0)
	v_add_f64 v[1:2], v[1:2], v[3:4]
	v_cndmask_b32_e64 v3, 0, 1, s0
	v_cmp_gt_u32_e64 s0, 30, v10
	s_delay_alu instid0(VALU_DEP_2) | instskip(NEXT) | instid1(VALU_DEP_1)
	v_lshlrev_b32_e32 v3, 2, v3
	v_add_lshl_u32 v8, v3, v10, 2
	ds_bpermute_b32 v3, v8, v1
	ds_bpermute_b32 v4, v8, v2
	s_waitcnt lgkmcnt(0)
	v_add_f64 v[1:2], v[1:2], v[3:4]
	v_cndmask_b32_e64 v3, 0, 1, s0
	v_cmp_ne_u32_e64 s0, 31, v10
	s_delay_alu instid0(VALU_DEP_2) | instskip(NEXT) | instid1(VALU_DEP_1)
	v_lshlrev_b32_e32 v3, 1, v3
	v_add_lshl_u32 v9, v3, v10, 2
	ds_bpermute_b32 v3, v9, v1
	ds_bpermute_b32 v4, v9, v2
	s_waitcnt lgkmcnt(0)
	v_add_f64 v[1:2], v[1:2], v[3:4]
	v_add_co_ci_u32_e64 v3, s0, 0, v10, s0
	s_delay_alu instid0(VALU_DEP_1)
	v_lshlrev_b32_e32 v10, 2, v3
	ds_bpermute_b32 v3, v10, v1
	ds_bpermute_b32 v4, v10, v2
	v_cmpx_eq_u32_e32 0, v11
	s_cbranch_execz .LBB590_8
; %bb.7:
	s_waitcnt lgkmcnt(0)
	v_add_f64 v[1:2], v[1:2], v[3:4]
	v_lshrrev_b32_e32 v3, 2, v0
	s_delay_alu instid0(VALU_DEP_1)
	v_and_b32_e32 v3, 0xf8, v3
	ds_store_b64 v3, v[1:2]
.LBB590_8:
	s_or_b32 exec_lo, exec_lo, s1
	v_mov_b32_e32 v1, 0
	v_mov_b32_e32 v2, 0
	s_waitcnt lgkmcnt(0)
	s_barrier
	buffer_gl0_inv
	s_and_saveexec_b32 s0, vcc_lo
	s_cbranch_execz .LBB590_10
; %bb.9:
	ds_load_b64 v[1:2], v5
.LBB590_10:
	s_or_b32 exec_lo, exec_lo, s0
	s_and_saveexec_b32 s0, vcc_lo
	s_cbranch_execz .LBB590_12
; %bb.11:
	s_waitcnt lgkmcnt(0)
	ds_bpermute_b32 v3, v6, v1
	ds_bpermute_b32 v4, v6, v2
	s_waitcnt lgkmcnt(0)
	v_add_f64 v[1:2], v[1:2], v[3:4]
	ds_bpermute_b32 v3, v7, v1
	ds_bpermute_b32 v4, v7, v2
	s_waitcnt lgkmcnt(0)
	v_add_f64 v[1:2], v[1:2], v[3:4]
	;; [unrolled: 4-line block ×5, first 2 shown]
.LBB590_12:
	s_or_b32 exec_lo, exec_lo, s0
	s_delay_alu instid0(SALU_CYCLE_1)
	s_mov_b32 s0, exec_lo
	v_cmpx_eq_u32_e32 0, v0
	s_cbranch_execz .LBB590_14
; %bb.13:
	s_lshl_b64 s[0:1], s[12:13], 3
	v_mov_b32_e32 v0, 0
	s_add_u32 s0, s2, s0
	s_addc_u32 s1, s3, s1
	s_waitcnt lgkmcnt(0)
	global_store_b64 v0, v[1:2], s[0:1]
.LBB590_14:
	s_nop 0
	s_sendmsg sendmsg(MSG_DEALLOC_VGPRS)
	s_endpgm
	.section	.rodata,"a",@progbits
	.p2align	6, 0x0
	.amdhsa_kernel _ZL18rocblas_dot_kernelIlLb1ELi1024ELi32ELb1EdPKPKfdEviT5_lT_lS4_lS5_liPT6_PT4_
		.amdhsa_group_segment_fixed_size 256
		.amdhsa_private_segment_fixed_size 0
		.amdhsa_kernarg_size 352
		.amdhsa_user_sgpr_count 14
		.amdhsa_user_sgpr_dispatch_ptr 0
		.amdhsa_user_sgpr_queue_ptr 0
		.amdhsa_user_sgpr_kernarg_segment_ptr 1
		.amdhsa_user_sgpr_dispatch_id 0
		.amdhsa_user_sgpr_private_segment_size 0
		.amdhsa_wavefront_size32 1
		.amdhsa_uses_dynamic_stack 0
		.amdhsa_enable_private_segment 0
		.amdhsa_system_sgpr_workgroup_id_x 1
		.amdhsa_system_sgpr_workgroup_id_y 0
		.amdhsa_system_sgpr_workgroup_id_z 1
		.amdhsa_system_sgpr_workgroup_info 0
		.amdhsa_system_vgpr_workitem_id 0
		.amdhsa_next_free_vgpr 12
		.amdhsa_next_free_sgpr 25
		.amdhsa_reserve_vcc 1
		.amdhsa_float_round_mode_32 0
		.amdhsa_float_round_mode_16_64 0
		.amdhsa_float_denorm_mode_32 3
		.amdhsa_float_denorm_mode_16_64 3
		.amdhsa_dx10_clamp 1
		.amdhsa_ieee_mode 1
		.amdhsa_fp16_overflow 0
		.amdhsa_workgroup_processor_mode 1
		.amdhsa_memory_ordered 1
		.amdhsa_forward_progress 0
		.amdhsa_shared_vgpr_count 0
		.amdhsa_exception_fp_ieee_invalid_op 0
		.amdhsa_exception_fp_denorm_src 0
		.amdhsa_exception_fp_ieee_div_zero 0
		.amdhsa_exception_fp_ieee_overflow 0
		.amdhsa_exception_fp_ieee_underflow 0
		.amdhsa_exception_fp_ieee_inexact 0
		.amdhsa_exception_int_div_zero 0
	.end_amdhsa_kernel
	.section	.text._ZL18rocblas_dot_kernelIlLb1ELi1024ELi32ELb1EdPKPKfdEviT5_lT_lS4_lS5_liPT6_PT4_,"axG",@progbits,_ZL18rocblas_dot_kernelIlLb1ELi1024ELi32ELb1EdPKPKfdEviT5_lT_lS4_lS5_liPT6_PT4_,comdat
.Lfunc_end590:
	.size	_ZL18rocblas_dot_kernelIlLb1ELi1024ELi32ELb1EdPKPKfdEviT5_lT_lS4_lS5_liPT6_PT4_, .Lfunc_end590-_ZL18rocblas_dot_kernelIlLb1ELi1024ELi32ELb1EdPKPKfdEviT5_lT_lS4_lS5_liPT6_PT4_
                                        ; -- End function
	.section	.AMDGPU.csdata,"",@progbits
; Kernel info:
; codeLenInByte = 1132
; NumSgprs: 27
; NumVgprs: 12
; ScratchSize: 0
; MemoryBound: 0
; FloatMode: 240
; IeeeMode: 1
; LDSByteSize: 256 bytes/workgroup (compile time only)
; SGPRBlocks: 3
; VGPRBlocks: 1
; NumSGPRsForWavesPerEU: 27
; NumVGPRsForWavesPerEU: 12
; Occupancy: 16
; WaveLimiterHint : 0
; COMPUTE_PGM_RSRC2:SCRATCH_EN: 0
; COMPUTE_PGM_RSRC2:USER_SGPR: 14
; COMPUTE_PGM_RSRC2:TRAP_HANDLER: 0
; COMPUTE_PGM_RSRC2:TGID_X_EN: 1
; COMPUTE_PGM_RSRC2:TGID_Y_EN: 0
; COMPUTE_PGM_RSRC2:TGID_Z_EN: 1
; COMPUTE_PGM_RSRC2:TIDIG_COMP_CNT: 0
	.section	.text._ZL24rocblas_dot_kernel_magsqIlLb1ELi1024ELi32ELb1EdPKPKfdEviT5_lT_liPT6_PT4_,"axG",@progbits,_ZL24rocblas_dot_kernel_magsqIlLb1ELi1024ELi32ELb1EdPKPKfdEviT5_lT_liPT6_PT4_,comdat
	.globl	_ZL24rocblas_dot_kernel_magsqIlLb1ELi1024ELi32ELb1EdPKPKfdEviT5_lT_liPT6_PT4_ ; -- Begin function _ZL24rocblas_dot_kernel_magsqIlLb1ELi1024ELi32ELb1EdPKPKfdEviT5_lT_liPT6_PT4_
	.p2align	8
	.type	_ZL24rocblas_dot_kernel_magsqIlLb1ELi1024ELi32ELb1EdPKPKfdEviT5_lT_liPT6_PT4_,@function
_ZL24rocblas_dot_kernel_magsqIlLb1ELi1024ELi32ELb1EdPKPKfdEviT5_lT_liPT6_PT4_: ; @_ZL24rocblas_dot_kernel_magsqIlLb1ELi1024ELi32ELb1EdPKPKfdEviT5_lT_liPT6_PT4_
; %bb.0:
	s_clause 0x1
	s_load_b32 s10, s[0:1], 0x0
	s_load_b64 s[2:3], s[0:1], 0x38
	v_mov_b32_e32 v1, 0
	v_mov_b32_e32 v2, 0
	s_mov_b32 s8, s15
	s_mov_b32 s9, 0
	s_mov_b32 s11, exec_lo
	s_waitcnt lgkmcnt(0)
	v_cmpx_gt_i32_e64 s10, v0
	s_cbranch_execz .LBB591_4
; %bb.1:
	s_clause 0x1
	s_load_b64 s[12:13], s[0:1], 0x8
	s_load_b128 s[4:7], s[0:1], 0x10
	s_lshl_b64 s[14:15], s[8:9], 3
	s_load_b32 s16, s[0:1], 0x40
	s_waitcnt lgkmcnt(0)
	s_add_u32 s0, s12, s14
	v_mad_u64_u32 v[3:4], null, s6, v0, 0
	s_addc_u32 s1, s13, s15
	s_lshl_b64 s[4:5], s[4:5], 2
	s_load_b64 s[12:13], s[0:1], 0x0
	s_lshl_b32 s1, s16, 10
	s_delay_alu instid0(SALU_CYCLE_1) | instskip(NEXT) | instid1(VALU_DEP_1)
	s_mul_hi_u32 s0, s6, s1
	v_mov_b32_e32 v1, v4
	s_delay_alu instid0(VALU_DEP_1) | instskip(SKIP_3) | instid1(VALU_DEP_4)
	v_mad_u64_u32 v[4:5], null, s7, v0, v[1:2]
	v_mov_b32_e32 v1, 0
	v_mov_b32_e32 v2, 0
	v_or_b32_e32 v5, s1, v0
	v_lshlrev_b64 v[3:4], 2, v[3:4]
	s_waitcnt lgkmcnt(0)
	s_add_u32 s12, s12, s4
	s_addc_u32 s13, s13, s5
	s_ashr_i32 s4, s1, 31
	s_delay_alu instid0(VALU_DEP_1)
	v_add_co_u32 v3, vcc_lo, s12, v3
	s_mul_i32 s4, s6, s4
	s_mul_i32 s5, s7, s1
	s_add_i32 s0, s0, s4
	v_add_co_ci_u32_e32 v4, vcc_lo, s13, v4, vcc_lo
	s_mul_i32 s4, s6, s1
	s_add_i32 s5, s0, s5
	s_mov_b32 s6, s9
	s_lshl_b64 s[4:5], s[4:5], 2
	s_mov_b32 s7, s9
	.p2align	6
.LBB591_2:                              ; =>This Inner Loop Header: Depth=1
	global_load_b32 v6, v[3:4], off
	s_add_i32 s12, s7, 1
	v_cmp_le_i32_e32 vcc_lo, s10, v5
	s_cmp_gt_u32 s7, 30
	v_add_co_u32 v3, s0, v3, s4
	s_cselect_b32 s7, -1, 0
	v_add_nc_u32_e32 v5, s1, v5
	s_or_b32 s7, s7, vcc_lo
	v_add_co_ci_u32_e64 v4, vcc_lo, s5, v4, s0
	s_and_b32 s0, exec_lo, s7
	s_mov_b32 s7, s12
	s_or_b32 s6, s0, s6
	s_waitcnt vmcnt(0)
	v_cvt_f64_f32_e32 v[6:7], v6
	s_delay_alu instid0(VALU_DEP_1)
	v_fma_f64 v[1:2], v[6:7], v[6:7], v[1:2]
	s_and_not1_b32 exec_lo, exec_lo, s6
	s_cbranch_execnz .LBB591_2
; %bb.3:
	s_or_b32 exec_lo, exec_lo, s6
.LBB591_4:
	s_delay_alu instid0(SALU_CYCLE_1) | instskip(SKIP_2) | instid1(VALU_DEP_2)
	s_or_b32 exec_lo, exec_lo, s11
	v_and_b32_e32 v11, 31, v0
	v_cmp_gt_u32_e32 vcc_lo, 32, v0
	v_lshlrev_b32_e32 v5, 3, v11
	s_and_saveexec_b32 s0, vcc_lo
	s_cbranch_execz .LBB591_6
; %bb.5:
	v_mov_b32_e32 v3, 0
	s_delay_alu instid0(VALU_DEP_1)
	v_mov_b32_e32 v4, v3
	ds_store_b64 v5, v[3:4]
.LBB591_6:
	s_or_b32 exec_lo, exec_lo, s0
	v_mbcnt_lo_u32_b32 v10, -1, 0
	s_mov_b32 s1, exec_lo
	s_waitcnt lgkmcnt(0)
	s_barrier
	buffer_gl0_inv
	v_cmp_gt_u32_e64 s0, 16, v10
	s_delay_alu instid0(VALU_DEP_1) | instskip(SKIP_1) | instid1(VALU_DEP_2)
	v_cndmask_b32_e64 v3, 0, 1, s0
	v_cmp_gt_u32_e64 s0, 24, v10
	v_lshlrev_b32_e32 v3, 4, v3
	s_delay_alu instid0(VALU_DEP_1)
	v_add_lshl_u32 v6, v3, v10, 2
	ds_bpermute_b32 v3, v6, v1
	ds_bpermute_b32 v4, v6, v2
	s_waitcnt lgkmcnt(0)
	v_add_f64 v[1:2], v[1:2], v[3:4]
	v_cndmask_b32_e64 v3, 0, 1, s0
	v_cmp_gt_u32_e64 s0, 28, v10
	s_delay_alu instid0(VALU_DEP_2) | instskip(NEXT) | instid1(VALU_DEP_1)
	v_lshlrev_b32_e32 v3, 3, v3
	v_add_lshl_u32 v7, v3, v10, 2
	ds_bpermute_b32 v3, v7, v1
	ds_bpermute_b32 v4, v7, v2
	s_waitcnt lgkmcnt(0)
	v_add_f64 v[1:2], v[1:2], v[3:4]
	v_cndmask_b32_e64 v3, 0, 1, s0
	v_cmp_gt_u32_e64 s0, 30, v10
	s_delay_alu instid0(VALU_DEP_2) | instskip(NEXT) | instid1(VALU_DEP_1)
	v_lshlrev_b32_e32 v3, 2, v3
	v_add_lshl_u32 v8, v3, v10, 2
	ds_bpermute_b32 v3, v8, v1
	ds_bpermute_b32 v4, v8, v2
	s_waitcnt lgkmcnt(0)
	v_add_f64 v[1:2], v[1:2], v[3:4]
	v_cndmask_b32_e64 v3, 0, 1, s0
	v_cmp_ne_u32_e64 s0, 31, v10
	s_delay_alu instid0(VALU_DEP_2) | instskip(NEXT) | instid1(VALU_DEP_1)
	v_lshlrev_b32_e32 v3, 1, v3
	v_add_lshl_u32 v9, v3, v10, 2
	ds_bpermute_b32 v3, v9, v1
	ds_bpermute_b32 v4, v9, v2
	s_waitcnt lgkmcnt(0)
	v_add_f64 v[1:2], v[1:2], v[3:4]
	v_add_co_ci_u32_e64 v3, s0, 0, v10, s0
	s_delay_alu instid0(VALU_DEP_1)
	v_lshlrev_b32_e32 v10, 2, v3
	ds_bpermute_b32 v3, v10, v1
	ds_bpermute_b32 v4, v10, v2
	v_cmpx_eq_u32_e32 0, v11
	s_cbranch_execz .LBB591_8
; %bb.7:
	s_waitcnt lgkmcnt(0)
	v_add_f64 v[1:2], v[1:2], v[3:4]
	v_lshrrev_b32_e32 v3, 2, v0
	s_delay_alu instid0(VALU_DEP_1)
	v_and_b32_e32 v3, 0xf8, v3
	ds_store_b64 v3, v[1:2]
.LBB591_8:
	s_or_b32 exec_lo, exec_lo, s1
	v_mov_b32_e32 v1, 0
	v_mov_b32_e32 v2, 0
	s_waitcnt lgkmcnt(0)
	s_barrier
	buffer_gl0_inv
	s_and_saveexec_b32 s0, vcc_lo
	s_cbranch_execz .LBB591_10
; %bb.9:
	ds_load_b64 v[1:2], v5
.LBB591_10:
	s_or_b32 exec_lo, exec_lo, s0
	s_and_saveexec_b32 s0, vcc_lo
	s_cbranch_execz .LBB591_12
; %bb.11:
	s_waitcnt lgkmcnt(0)
	ds_bpermute_b32 v3, v6, v1
	ds_bpermute_b32 v4, v6, v2
	s_waitcnt lgkmcnt(0)
	v_add_f64 v[1:2], v[1:2], v[3:4]
	ds_bpermute_b32 v3, v7, v1
	ds_bpermute_b32 v4, v7, v2
	s_waitcnt lgkmcnt(0)
	v_add_f64 v[1:2], v[1:2], v[3:4]
	;; [unrolled: 4-line block ×5, first 2 shown]
.LBB591_12:
	s_or_b32 exec_lo, exec_lo, s0
	s_delay_alu instid0(SALU_CYCLE_1)
	s_mov_b32 s0, exec_lo
	v_cmpx_eq_u32_e32 0, v0
	s_cbranch_execz .LBB591_14
; %bb.13:
	s_lshl_b64 s[0:1], s[8:9], 3
	v_mov_b32_e32 v0, 0
	s_add_u32 s0, s2, s0
	s_addc_u32 s1, s3, s1
	s_waitcnt lgkmcnt(0)
	global_store_b64 v0, v[1:2], s[0:1]
.LBB591_14:
	s_nop 0
	s_sendmsg sendmsg(MSG_DEALLOC_VGPRS)
	s_endpgm
	.section	.rodata,"a",@progbits
	.p2align	6, 0x0
	.amdhsa_kernel _ZL24rocblas_dot_kernel_magsqIlLb1ELi1024ELi32ELb1EdPKPKfdEviT5_lT_liPT6_PT4_
		.amdhsa_group_segment_fixed_size 256
		.amdhsa_private_segment_fixed_size 0
		.amdhsa_kernarg_size 320
		.amdhsa_user_sgpr_count 14
		.amdhsa_user_sgpr_dispatch_ptr 0
		.amdhsa_user_sgpr_queue_ptr 0
		.amdhsa_user_sgpr_kernarg_segment_ptr 1
		.amdhsa_user_sgpr_dispatch_id 0
		.amdhsa_user_sgpr_private_segment_size 0
		.amdhsa_wavefront_size32 1
		.amdhsa_uses_dynamic_stack 0
		.amdhsa_enable_private_segment 0
		.amdhsa_system_sgpr_workgroup_id_x 1
		.amdhsa_system_sgpr_workgroup_id_y 0
		.amdhsa_system_sgpr_workgroup_id_z 1
		.amdhsa_system_sgpr_workgroup_info 0
		.amdhsa_system_vgpr_workitem_id 0
		.amdhsa_next_free_vgpr 12
		.amdhsa_next_free_sgpr 17
		.amdhsa_reserve_vcc 1
		.amdhsa_float_round_mode_32 0
		.amdhsa_float_round_mode_16_64 0
		.amdhsa_float_denorm_mode_32 3
		.amdhsa_float_denorm_mode_16_64 3
		.amdhsa_dx10_clamp 1
		.amdhsa_ieee_mode 1
		.amdhsa_fp16_overflow 0
		.amdhsa_workgroup_processor_mode 1
		.amdhsa_memory_ordered 1
		.amdhsa_forward_progress 0
		.amdhsa_shared_vgpr_count 0
		.amdhsa_exception_fp_ieee_invalid_op 0
		.amdhsa_exception_fp_denorm_src 0
		.amdhsa_exception_fp_ieee_div_zero 0
		.amdhsa_exception_fp_ieee_overflow 0
		.amdhsa_exception_fp_ieee_underflow 0
		.amdhsa_exception_fp_ieee_inexact 0
		.amdhsa_exception_int_div_zero 0
	.end_amdhsa_kernel
	.section	.text._ZL24rocblas_dot_kernel_magsqIlLb1ELi1024ELi32ELb1EdPKPKfdEviT5_lT_liPT6_PT4_,"axG",@progbits,_ZL24rocblas_dot_kernel_magsqIlLb1ELi1024ELi32ELb1EdPKPKfdEviT5_lT_liPT6_PT4_,comdat
.Lfunc_end591:
	.size	_ZL24rocblas_dot_kernel_magsqIlLb1ELi1024ELi32ELb1EdPKPKfdEviT5_lT_liPT6_PT4_, .Lfunc_end591-_ZL24rocblas_dot_kernel_magsqIlLb1ELi1024ELi32ELb1EdPKPKfdEviT5_lT_liPT6_PT4_
                                        ; -- End function
	.section	.AMDGPU.csdata,"",@progbits
; Kernel info:
; codeLenInByte = 992
; NumSgprs: 19
; NumVgprs: 12
; ScratchSize: 0
; MemoryBound: 0
; FloatMode: 240
; IeeeMode: 1
; LDSByteSize: 256 bytes/workgroup (compile time only)
; SGPRBlocks: 2
; VGPRBlocks: 1
; NumSGPRsForWavesPerEU: 19
; NumVGPRsForWavesPerEU: 12
; Occupancy: 16
; WaveLimiterHint : 0
; COMPUTE_PGM_RSRC2:SCRATCH_EN: 0
; COMPUTE_PGM_RSRC2:USER_SGPR: 14
; COMPUTE_PGM_RSRC2:TRAP_HANDLER: 0
; COMPUTE_PGM_RSRC2:TGID_X_EN: 1
; COMPUTE_PGM_RSRC2:TGID_Y_EN: 0
; COMPUTE_PGM_RSRC2:TGID_Z_EN: 1
; COMPUTE_PGM_RSRC2:TIDIG_COMP_CNT: 0
	.section	.text._ZL18rocblas_dot_kernelIlLb0ELi512ELi2ELb1EdPKPKfdEviT5_lT_lS4_lS5_liPT6_PT4_,"axG",@progbits,_ZL18rocblas_dot_kernelIlLb0ELi512ELi2ELb1EdPKPKfdEviT5_lT_lS4_lS5_liPT6_PT4_,comdat
	.globl	_ZL18rocblas_dot_kernelIlLb0ELi512ELi2ELb1EdPKPKfdEviT5_lT_lS4_lS5_liPT6_PT4_ ; -- Begin function _ZL18rocblas_dot_kernelIlLb0ELi512ELi2ELb1EdPKPKfdEviT5_lT_lS4_lS5_liPT6_PT4_
	.p2align	8
	.type	_ZL18rocblas_dot_kernelIlLb0ELi512ELi2ELb1EdPKPKfdEviT5_lT_lS4_lS5_liPT6_PT4_,@function
_ZL18rocblas_dot_kernelIlLb0ELi512ELi2ELb1EdPKPKfdEviT5_lT_lS4_lS5_liPT6_PT4_: ; @_ZL18rocblas_dot_kernelIlLb0ELi512ELi2ELb1EdPKPKfdEviT5_lT_lS4_lS5_liPT6_PT4_
; %bb.0:
	s_mov_b32 s12, s15
	s_clause 0x1
	s_load_b32 s15, s[0:1], 0x0
	s_load_b32 s3, s[0:1], 0x60
	v_mov_b32_e32 v1, 0
	v_lshl_or_b32 v3, s14, 9, v0
	v_mov_b32_e32 v2, 0
	s_mov_b32 s13, 0
	s_mov_b32 s2, exec_lo
	s_waitcnt lgkmcnt(0)
	v_cmpx_gt_i32_e64 s15, v3
	s_cbranch_execz .LBB592_4
; %bb.1:
	s_clause 0x1
	s_load_b64 s[8:9], s[0:1], 0x8
	s_load_b128 s[4:7], s[0:1], 0x10
	s_lshl_b64 s[16:17], s[12:13], 3
	v_ashrrev_i32_e32 v4, 31, v3
	s_waitcnt lgkmcnt(0)
	s_add_u32 s18, s8, s16
	s_addc_u32 s19, s9, s17
	s_load_b128 s[8:11], s[0:1], 0x30
	s_load_b64 s[18:19], s[18:19], 0x0
	s_load_b64 s[20:21], s[0:1], 0x28
	s_lshl_b64 s[4:5], s[4:5], 2
	v_mul_lo_u32 v8, v3, s7
	v_mul_lo_u32 v9, v4, s6
	s_waitcnt lgkmcnt(0)
	v_mul_lo_u32 v6, v3, s11
	s_add_u32 s4, s18, s4
	s_addc_u32 s5, s19, s5
	s_add_u32 s16, s20, s16
	s_addc_u32 s17, s21, s17
	v_mul_lo_u32 v7, v4, s10
	s_load_b64 s[16:17], s[16:17], 0x0
	v_mad_u64_u32 v[1:2], null, v3, s10, 0
	v_mad_u64_u32 v[4:5], null, v3, s6, 0
	s_lshl_b64 s[8:9], s[8:9], 2
	s_delay_alu instid0(VALU_DEP_2) | instskip(NEXT) | instid1(VALU_DEP_2)
	v_add3_u32 v2, v2, v6, v7
	v_add3_u32 v5, v5, v8, v9
	s_delay_alu instid0(VALU_DEP_2) | instskip(NEXT) | instid1(VALU_DEP_2)
	v_lshlrev_b64 v[1:2], 2, v[1:2]
	v_lshlrev_b64 v[3:4], 2, v[4:5]
	s_waitcnt lgkmcnt(0)
	s_add_u32 s8, s16, s8
	s_addc_u32 s9, s17, s9
	s_delay_alu instid0(VALU_DEP_2)
	v_add_co_u32 v1, vcc_lo, s8, v1
	v_add_co_ci_u32_e32 v2, vcc_lo, s9, v2, vcc_lo
	v_add_co_u32 v3, vcc_lo, s4, v3
	v_add_co_ci_u32_e32 v4, vcc_lo, s5, v4, vcc_lo
	s_add_i32 s16, s14, s3
	global_load_b32 v1, v[1:2], off
	global_load_b32 v3, v[3:4], off
	s_waitcnt vmcnt(1)
	v_cvt_f64_f32_e32 v[1:2], v1
	s_waitcnt vmcnt(0)
	v_cvt_f64_f32_e32 v[3:4], v3
	s_delay_alu instid0(VALU_DEP_1) | instskip(SKIP_1) | instid1(VALU_DEP_1)
	v_fma_f64 v[1:2], v[1:2], v[3:4], 0
	v_lshl_or_b32 v3, s16, 9, v0
	v_cmp_gt_i32_e32 vcc_lo, s15, v3
	s_and_saveexec_b32 s15, vcc_lo
	s_cbranch_execz .LBB592_3
; %bb.2:
	v_ashrrev_i32_e32 v8, 31, v3
	v_mul_lo_u32 v9, v3, s11
	v_mad_u64_u32 v[4:5], null, v3, s10, 0
	v_mul_lo_u32 v11, v3, s7
	s_delay_alu instid0(VALU_DEP_4) | instskip(SKIP_2) | instid1(VALU_DEP_3)
	v_mul_lo_u32 v10, v8, s10
	v_mad_u64_u32 v[6:7], null, v3, s6, 0
	v_mul_lo_u32 v3, v8, s6
	v_add3_u32 v5, v5, v9, v10
	s_delay_alu instid0(VALU_DEP_2) | instskip(NEXT) | instid1(VALU_DEP_2)
	v_add3_u32 v7, v7, v11, v3
	v_lshlrev_b64 v[3:4], 2, v[4:5]
	s_delay_alu instid0(VALU_DEP_2) | instskip(NEXT) | instid1(VALU_DEP_2)
	v_lshlrev_b64 v[5:6], 2, v[6:7]
	v_add_co_u32 v3, vcc_lo, s8, v3
	s_delay_alu instid0(VALU_DEP_3) | instskip(NEXT) | instid1(VALU_DEP_3)
	v_add_co_ci_u32_e32 v4, vcc_lo, s9, v4, vcc_lo
	v_add_co_u32 v5, vcc_lo, s4, v5
	s_delay_alu instid0(VALU_DEP_4)
	v_add_co_ci_u32_e32 v6, vcc_lo, s5, v6, vcc_lo
	global_load_b32 v3, v[3:4], off
	global_load_b32 v5, v[5:6], off
	s_waitcnt vmcnt(1)
	v_cvt_f64_f32_e32 v[3:4], v3
	s_waitcnt vmcnt(0)
	v_cvt_f64_f32_e32 v[5:6], v5
	s_delay_alu instid0(VALU_DEP_1)
	v_fma_f64 v[1:2], v[3:4], v[5:6], v[1:2]
.LBB592_3:
	s_or_b32 exec_lo, exec_lo, s15
.LBB592_4:
	s_delay_alu instid0(SALU_CYCLE_1) | instskip(SKIP_2) | instid1(VALU_DEP_2)
	s_or_b32 exec_lo, exec_lo, s2
	v_and_b32_e32 v10, 31, v0
	v_cmp_gt_u32_e32 vcc_lo, 32, v0
	v_lshlrev_b32_e32 v5, 3, v10
	s_and_saveexec_b32 s2, vcc_lo
	s_cbranch_execz .LBB592_6
; %bb.5:
	v_mov_b32_e32 v3, 0
	s_delay_alu instid0(VALU_DEP_1)
	v_mov_b32_e32 v4, v3
	ds_store_b64 v5, v[3:4]
.LBB592_6:
	s_or_b32 exec_lo, exec_lo, s2
	v_mbcnt_lo_u32_b32 v9, -1, 0
	s_mov_b32 s4, exec_lo
	s_waitcnt lgkmcnt(0)
	s_barrier
	buffer_gl0_inv
	v_cmp_gt_u32_e64 s2, 16, v9
	s_delay_alu instid0(VALU_DEP_1) | instskip(SKIP_1) | instid1(VALU_DEP_2)
	v_cndmask_b32_e64 v3, 0, 1, s2
	v_cmp_gt_u32_e64 s2, 24, v9
	v_lshlrev_b32_e32 v3, 4, v3
	s_delay_alu instid0(VALU_DEP_1)
	v_add_lshl_u32 v4, v3, v9, 2
	ds_bpermute_b32 v3, v4, v1
	ds_bpermute_b32 v4, v4, v2
	s_waitcnt lgkmcnt(0)
	v_add_f64 v[1:2], v[1:2], v[3:4]
	v_cndmask_b32_e64 v3, 0, 1, s2
	v_cmp_gt_u32_e64 s2, 28, v9
	s_delay_alu instid0(VALU_DEP_2) | instskip(NEXT) | instid1(VALU_DEP_1)
	v_lshlrev_b32_e32 v3, 3, v3
	v_add_lshl_u32 v6, v3, v9, 2
	ds_bpermute_b32 v3, v6, v1
	ds_bpermute_b32 v4, v6, v2
	s_waitcnt lgkmcnt(0)
	v_add_f64 v[1:2], v[1:2], v[3:4]
	v_cndmask_b32_e64 v3, 0, 1, s2
	v_cmp_gt_u32_e64 s2, 30, v9
	s_delay_alu instid0(VALU_DEP_2) | instskip(NEXT) | instid1(VALU_DEP_1)
	v_lshlrev_b32_e32 v3, 2, v3
	v_add_lshl_u32 v7, v3, v9, 2
	ds_bpermute_b32 v3, v7, v1
	ds_bpermute_b32 v4, v7, v2
	s_waitcnt lgkmcnt(0)
	v_add_f64 v[1:2], v[1:2], v[3:4]
	v_cndmask_b32_e64 v3, 0, 1, s2
	v_cmp_ne_u32_e64 s2, 31, v9
	s_delay_alu instid0(VALU_DEP_2) | instskip(NEXT) | instid1(VALU_DEP_1)
	v_lshlrev_b32_e32 v3, 1, v3
	v_add_lshl_u32 v8, v3, v9, 2
	ds_bpermute_b32 v3, v8, v1
	ds_bpermute_b32 v4, v8, v2
	s_waitcnt lgkmcnt(0)
	v_add_f64 v[1:2], v[1:2], v[3:4]
	v_add_co_ci_u32_e64 v3, s2, 0, v9, s2
	s_delay_alu instid0(VALU_DEP_1)
	v_lshlrev_b32_e32 v9, 2, v3
	ds_bpermute_b32 v3, v9, v1
	ds_bpermute_b32 v4, v9, v2
	v_cmpx_eq_u32_e32 0, v10
	s_cbranch_execz .LBB592_8
; %bb.7:
	s_waitcnt lgkmcnt(0)
	v_add_f64 v[1:2], v[1:2], v[3:4]
	v_lshrrev_b32_e32 v3, 2, v0
	s_delay_alu instid0(VALU_DEP_1)
	v_and_b32_e32 v3, 0x78, v3
	ds_store_b64 v3, v[1:2]
.LBB592_8:
	s_or_b32 exec_lo, exec_lo, s4
	v_mov_b32_e32 v1, 0
	v_mov_b32_e32 v2, 0
	s_mov_b32 s4, exec_lo
	s_waitcnt lgkmcnt(0)
	s_barrier
	buffer_gl0_inv
	v_cmpx_gt_u32_e32 16, v0
	s_cbranch_execz .LBB592_10
; %bb.9:
	ds_load_b64 v[1:2], v5
.LBB592_10:
	s_or_b32 exec_lo, exec_lo, s4
	s_and_saveexec_b32 s2, vcc_lo
	s_cbranch_execz .LBB592_12
; %bb.11:
	s_waitcnt lgkmcnt(0)
	ds_bpermute_b32 v3, v6, v1
	ds_bpermute_b32 v4, v6, v2
	s_waitcnt lgkmcnt(0)
	v_add_f64 v[1:2], v[1:2], v[3:4]
	ds_bpermute_b32 v3, v7, v1
	ds_bpermute_b32 v4, v7, v2
	s_waitcnt lgkmcnt(0)
	v_add_f64 v[1:2], v[1:2], v[3:4]
	;; [unrolled: 4-line block ×4, first 2 shown]
.LBB592_12:
	s_or_b32 exec_lo, exec_lo, s2
	s_delay_alu instid0(SALU_CYCLE_1)
	s_mov_b32 s2, exec_lo
	v_cmpx_eq_u32_e32 0, v0
	s_cbranch_execz .LBB592_18
; %bb.13:
	s_cmp_lg_u32 s3, 1
	s_cbranch_scc0 .LBB592_15
; %bb.14:
	s_load_b64 s[4:5], s[0:1], 0x50
	s_mul_hi_u32 s7, s3, s12
	s_mul_i32 s6, s3, s12
	s_mov_b32 s15, 0
	s_lshl_b64 s[2:3], s[6:7], 3
	s_waitcnt lgkmcnt(0)
	s_add_u32 s4, s4, s2
	s_addc_u32 s5, s5, s3
	s_lshl_b64 s[2:3], s[14:15], 3
	s_delay_alu instid0(SALU_CYCLE_1)
	s_add_u32 s2, s4, s2
	s_addc_u32 s3, s5, s3
	s_cbranch_execz .LBB592_16
	s_branch .LBB592_17
.LBB592_15:
                                        ; implicit-def: $sgpr2_sgpr3
.LBB592_16:
	s_load_b64 s[0:1], s[0:1], 0x58
	s_lshl_b64 s[2:3], s[12:13], 3
	s_waitcnt lgkmcnt(0)
	s_add_u32 s2, s0, s2
	s_addc_u32 s3, s1, s3
.LBB592_17:
	v_mov_b32_e32 v0, 0
	s_waitcnt lgkmcnt(0)
	global_store_b64 v0, v[1:2], s[2:3]
.LBB592_18:
	s_nop 0
	s_sendmsg sendmsg(MSG_DEALLOC_VGPRS)
	s_endpgm
	.section	.rodata,"a",@progbits
	.p2align	6, 0x0
	.amdhsa_kernel _ZL18rocblas_dot_kernelIlLb0ELi512ELi2ELb1EdPKPKfdEviT5_lT_lS4_lS5_liPT6_PT4_
		.amdhsa_group_segment_fixed_size 256
		.amdhsa_private_segment_fixed_size 0
		.amdhsa_kernarg_size 352
		.amdhsa_user_sgpr_count 14
		.amdhsa_user_sgpr_dispatch_ptr 0
		.amdhsa_user_sgpr_queue_ptr 0
		.amdhsa_user_sgpr_kernarg_segment_ptr 1
		.amdhsa_user_sgpr_dispatch_id 0
		.amdhsa_user_sgpr_private_segment_size 0
		.amdhsa_wavefront_size32 1
		.amdhsa_uses_dynamic_stack 0
		.amdhsa_enable_private_segment 0
		.amdhsa_system_sgpr_workgroup_id_x 1
		.amdhsa_system_sgpr_workgroup_id_y 0
		.amdhsa_system_sgpr_workgroup_id_z 1
		.amdhsa_system_sgpr_workgroup_info 0
		.amdhsa_system_vgpr_workitem_id 0
		.amdhsa_next_free_vgpr 12
		.amdhsa_next_free_sgpr 22
		.amdhsa_reserve_vcc 1
		.amdhsa_float_round_mode_32 0
		.amdhsa_float_round_mode_16_64 0
		.amdhsa_float_denorm_mode_32 3
		.amdhsa_float_denorm_mode_16_64 3
		.amdhsa_dx10_clamp 1
		.amdhsa_ieee_mode 1
		.amdhsa_fp16_overflow 0
		.amdhsa_workgroup_processor_mode 1
		.amdhsa_memory_ordered 1
		.amdhsa_forward_progress 0
		.amdhsa_shared_vgpr_count 0
		.amdhsa_exception_fp_ieee_invalid_op 0
		.amdhsa_exception_fp_denorm_src 0
		.amdhsa_exception_fp_ieee_div_zero 0
		.amdhsa_exception_fp_ieee_overflow 0
		.amdhsa_exception_fp_ieee_underflow 0
		.amdhsa_exception_fp_ieee_inexact 0
		.amdhsa_exception_int_div_zero 0
	.end_amdhsa_kernel
	.section	.text._ZL18rocblas_dot_kernelIlLb0ELi512ELi2ELb1EdPKPKfdEviT5_lT_lS4_lS5_liPT6_PT4_,"axG",@progbits,_ZL18rocblas_dot_kernelIlLb0ELi512ELi2ELb1EdPKPKfdEviT5_lT_lS4_lS5_liPT6_PT4_,comdat
.Lfunc_end592:
	.size	_ZL18rocblas_dot_kernelIlLb0ELi512ELi2ELb1EdPKPKfdEviT5_lT_lS4_lS5_liPT6_PT4_, .Lfunc_end592-_ZL18rocblas_dot_kernelIlLb0ELi512ELi2ELb1EdPKPKfdEviT5_lT_lS4_lS5_liPT6_PT4_
                                        ; -- End function
	.section	.AMDGPU.csdata,"",@progbits
; Kernel info:
; codeLenInByte = 1260
; NumSgprs: 24
; NumVgprs: 12
; ScratchSize: 0
; MemoryBound: 0
; FloatMode: 240
; IeeeMode: 1
; LDSByteSize: 256 bytes/workgroup (compile time only)
; SGPRBlocks: 2
; VGPRBlocks: 1
; NumSGPRsForWavesPerEU: 24
; NumVGPRsForWavesPerEU: 12
; Occupancy: 16
; WaveLimiterHint : 1
; COMPUTE_PGM_RSRC2:SCRATCH_EN: 0
; COMPUTE_PGM_RSRC2:USER_SGPR: 14
; COMPUTE_PGM_RSRC2:TRAP_HANDLER: 0
; COMPUTE_PGM_RSRC2:TGID_X_EN: 1
; COMPUTE_PGM_RSRC2:TGID_Y_EN: 0
; COMPUTE_PGM_RSRC2:TGID_Z_EN: 1
; COMPUTE_PGM_RSRC2:TIDIG_COMP_CNT: 0
	.section	.text._ZL24rocblas_dot_kernel_magsqIlLb0ELi512ELi2ELb1EdPKPKfdEviT5_lT_liPT6_PT4_,"axG",@progbits,_ZL24rocblas_dot_kernel_magsqIlLb0ELi512ELi2ELb1EdPKPKfdEviT5_lT_liPT6_PT4_,comdat
	.globl	_ZL24rocblas_dot_kernel_magsqIlLb0ELi512ELi2ELb1EdPKPKfdEviT5_lT_liPT6_PT4_ ; -- Begin function _ZL24rocblas_dot_kernel_magsqIlLb0ELi512ELi2ELb1EdPKPKfdEviT5_lT_liPT6_PT4_
	.p2align	8
	.type	_ZL24rocblas_dot_kernel_magsqIlLb0ELi512ELi2ELb1EdPKPKfdEviT5_lT_liPT6_PT4_,@function
_ZL24rocblas_dot_kernel_magsqIlLb0ELi512ELi2ELb1EdPKPKfdEviT5_lT_liPT6_PT4_: ; @_ZL24rocblas_dot_kernel_magsqIlLb0ELi512ELi2ELb1EdPKPKfdEviT5_lT_liPT6_PT4_
; %bb.0:
	s_clause 0x1
	s_load_b32 s10, s[0:1], 0x0
	s_load_b32 s3, s[0:1], 0x40
	v_mov_b32_e32 v1, 0
	v_lshl_or_b32 v3, s14, 9, v0
	v_mov_b32_e32 v2, 0
	s_mov_b32 s8, s15
	s_mov_b32 s9, 0
	s_mov_b32 s2, exec_lo
	s_waitcnt lgkmcnt(0)
	v_cmpx_gt_i32_e64 s10, v3
	s_cbranch_execz .LBB593_4
; %bb.1:
	s_clause 0x1
	s_load_b64 s[12:13], s[0:1], 0x8
	s_load_b128 s[4:7], s[0:1], 0x10
	s_lshl_b64 s[16:17], s[8:9], 3
	v_ashrrev_i32_e32 v1, 31, v3
	s_waitcnt lgkmcnt(0)
	s_add_u32 s12, s12, s16
	s_addc_u32 s13, s13, s17
	v_mul_lo_u32 v4, v3, s7
	s_load_b64 s[12:13], s[12:13], 0x0
	v_mul_lo_u32 v5, v1, s6
	v_mad_u64_u32 v[1:2], null, v3, s6, 0
	s_lshl_b64 s[4:5], s[4:5], 2
	s_delay_alu instid0(VALU_DEP_1) | instskip(NEXT) | instid1(VALU_DEP_1)
	v_add3_u32 v2, v2, v4, v5
	v_lshlrev_b64 v[1:2], 2, v[1:2]
	s_waitcnt lgkmcnt(0)
	s_add_u32 s4, s12, s4
	s_addc_u32 s5, s13, s5
	s_delay_alu instid0(VALU_DEP_1) | instskip(NEXT) | instid1(VALU_DEP_2)
	v_add_co_u32 v1, vcc_lo, s4, v1
	v_add_co_ci_u32_e32 v2, vcc_lo, s5, v2, vcc_lo
	s_add_i32 s11, s14, s3
	s_delay_alu instid0(SALU_CYCLE_1) | instskip(SKIP_4) | instid1(VALU_DEP_1)
	v_lshl_or_b32 v3, s11, 9, v0
	global_load_b32 v1, v[1:2], off
	v_cmp_gt_i32_e32 vcc_lo, s10, v3
	s_waitcnt vmcnt(0)
	v_cvt_f64_f32_e32 v[1:2], v1
	v_mul_f64 v[1:2], v[1:2], v[1:2]
	s_and_saveexec_b32 s10, vcc_lo
	s_cbranch_execz .LBB593_3
; %bb.2:
	v_ashrrev_i32_e32 v6, 31, v3
	v_mul_lo_u32 v7, v3, s7
	v_mad_u64_u32 v[4:5], null, v3, s6, 0
	s_delay_alu instid0(VALU_DEP_3) | instskip(NEXT) | instid1(VALU_DEP_1)
	v_mul_lo_u32 v3, v6, s6
	v_add3_u32 v5, v5, v7, v3
	s_delay_alu instid0(VALU_DEP_1) | instskip(NEXT) | instid1(VALU_DEP_1)
	v_lshlrev_b64 v[3:4], 2, v[4:5]
	v_add_co_u32 v3, vcc_lo, s4, v3
	s_delay_alu instid0(VALU_DEP_2) | instskip(SKIP_3) | instid1(VALU_DEP_1)
	v_add_co_ci_u32_e32 v4, vcc_lo, s5, v4, vcc_lo
	global_load_b32 v3, v[3:4], off
	s_waitcnt vmcnt(0)
	v_cvt_f64_f32_e32 v[3:4], v3
	v_fma_f64 v[1:2], v[3:4], v[3:4], v[1:2]
.LBB593_3:
	s_or_b32 exec_lo, exec_lo, s10
.LBB593_4:
	s_delay_alu instid0(SALU_CYCLE_1) | instskip(SKIP_2) | instid1(VALU_DEP_2)
	s_or_b32 exec_lo, exec_lo, s2
	v_and_b32_e32 v10, 31, v0
	v_cmp_gt_u32_e32 vcc_lo, 32, v0
	v_lshlrev_b32_e32 v5, 3, v10
	s_and_saveexec_b32 s2, vcc_lo
	s_cbranch_execz .LBB593_6
; %bb.5:
	v_mov_b32_e32 v3, 0
	s_delay_alu instid0(VALU_DEP_1)
	v_mov_b32_e32 v4, v3
	ds_store_b64 v5, v[3:4]
.LBB593_6:
	s_or_b32 exec_lo, exec_lo, s2
	v_mbcnt_lo_u32_b32 v9, -1, 0
	s_mov_b32 s4, exec_lo
	s_waitcnt lgkmcnt(0)
	s_barrier
	buffer_gl0_inv
	v_cmp_gt_u32_e64 s2, 16, v9
	s_delay_alu instid0(VALU_DEP_1) | instskip(SKIP_1) | instid1(VALU_DEP_2)
	v_cndmask_b32_e64 v3, 0, 1, s2
	v_cmp_gt_u32_e64 s2, 24, v9
	v_lshlrev_b32_e32 v3, 4, v3
	s_delay_alu instid0(VALU_DEP_1)
	v_add_lshl_u32 v4, v3, v9, 2
	ds_bpermute_b32 v3, v4, v1
	ds_bpermute_b32 v4, v4, v2
	s_waitcnt lgkmcnt(0)
	v_add_f64 v[1:2], v[1:2], v[3:4]
	v_cndmask_b32_e64 v3, 0, 1, s2
	v_cmp_gt_u32_e64 s2, 28, v9
	s_delay_alu instid0(VALU_DEP_2) | instskip(NEXT) | instid1(VALU_DEP_1)
	v_lshlrev_b32_e32 v3, 3, v3
	v_add_lshl_u32 v6, v3, v9, 2
	ds_bpermute_b32 v3, v6, v1
	ds_bpermute_b32 v4, v6, v2
	s_waitcnt lgkmcnt(0)
	v_add_f64 v[1:2], v[1:2], v[3:4]
	v_cndmask_b32_e64 v3, 0, 1, s2
	v_cmp_gt_u32_e64 s2, 30, v9
	s_delay_alu instid0(VALU_DEP_2) | instskip(NEXT) | instid1(VALU_DEP_1)
	v_lshlrev_b32_e32 v3, 2, v3
	v_add_lshl_u32 v7, v3, v9, 2
	ds_bpermute_b32 v3, v7, v1
	ds_bpermute_b32 v4, v7, v2
	s_waitcnt lgkmcnt(0)
	v_add_f64 v[1:2], v[1:2], v[3:4]
	v_cndmask_b32_e64 v3, 0, 1, s2
	v_cmp_ne_u32_e64 s2, 31, v9
	s_delay_alu instid0(VALU_DEP_2) | instskip(NEXT) | instid1(VALU_DEP_1)
	v_lshlrev_b32_e32 v3, 1, v3
	v_add_lshl_u32 v8, v3, v9, 2
	ds_bpermute_b32 v3, v8, v1
	ds_bpermute_b32 v4, v8, v2
	s_waitcnt lgkmcnt(0)
	v_add_f64 v[1:2], v[1:2], v[3:4]
	v_add_co_ci_u32_e64 v3, s2, 0, v9, s2
	s_delay_alu instid0(VALU_DEP_1)
	v_lshlrev_b32_e32 v9, 2, v3
	ds_bpermute_b32 v3, v9, v1
	ds_bpermute_b32 v4, v9, v2
	v_cmpx_eq_u32_e32 0, v10
	s_cbranch_execz .LBB593_8
; %bb.7:
	s_waitcnt lgkmcnt(0)
	v_add_f64 v[1:2], v[1:2], v[3:4]
	v_lshrrev_b32_e32 v3, 2, v0
	s_delay_alu instid0(VALU_DEP_1)
	v_and_b32_e32 v3, 0x78, v3
	ds_store_b64 v3, v[1:2]
.LBB593_8:
	s_or_b32 exec_lo, exec_lo, s4
	v_mov_b32_e32 v1, 0
	v_mov_b32_e32 v2, 0
	s_mov_b32 s4, exec_lo
	s_waitcnt lgkmcnt(0)
	s_barrier
	buffer_gl0_inv
	v_cmpx_gt_u32_e32 16, v0
	s_cbranch_execz .LBB593_10
; %bb.9:
	ds_load_b64 v[1:2], v5
.LBB593_10:
	s_or_b32 exec_lo, exec_lo, s4
	s_and_saveexec_b32 s2, vcc_lo
	s_cbranch_execz .LBB593_12
; %bb.11:
	s_waitcnt lgkmcnt(0)
	ds_bpermute_b32 v3, v6, v1
	ds_bpermute_b32 v4, v6, v2
	s_waitcnt lgkmcnt(0)
	v_add_f64 v[1:2], v[1:2], v[3:4]
	ds_bpermute_b32 v3, v7, v1
	ds_bpermute_b32 v4, v7, v2
	s_waitcnt lgkmcnt(0)
	v_add_f64 v[1:2], v[1:2], v[3:4]
	;; [unrolled: 4-line block ×4, first 2 shown]
.LBB593_12:
	s_or_b32 exec_lo, exec_lo, s2
	s_delay_alu instid0(SALU_CYCLE_1)
	s_mov_b32 s2, exec_lo
	v_cmpx_eq_u32_e32 0, v0
	s_cbranch_execz .LBB593_18
; %bb.13:
	s_cmp_lg_u32 s3, 1
	s_cbranch_scc0 .LBB593_15
; %bb.14:
	s_load_b64 s[4:5], s[0:1], 0x30
	s_mul_hi_u32 s7, s3, s8
	s_mul_i32 s6, s3, s8
	s_mov_b32 s15, 0
	s_lshl_b64 s[2:3], s[6:7], 3
	s_waitcnt lgkmcnt(0)
	s_add_u32 s4, s4, s2
	s_addc_u32 s5, s5, s3
	s_lshl_b64 s[2:3], s[14:15], 3
	s_delay_alu instid0(SALU_CYCLE_1)
	s_add_u32 s2, s4, s2
	s_addc_u32 s3, s5, s3
	s_cbranch_execz .LBB593_16
	s_branch .LBB593_17
.LBB593_15:
                                        ; implicit-def: $sgpr2_sgpr3
.LBB593_16:
	s_load_b64 s[0:1], s[0:1], 0x38
	s_lshl_b64 s[2:3], s[8:9], 3
	s_waitcnt lgkmcnt(0)
	s_add_u32 s2, s0, s2
	s_addc_u32 s3, s1, s3
.LBB593_17:
	v_mov_b32_e32 v0, 0
	s_waitcnt lgkmcnt(0)
	global_store_b64 v0, v[1:2], s[2:3]
.LBB593_18:
	s_nop 0
	s_sendmsg sendmsg(MSG_DEALLOC_VGPRS)
	s_endpgm
	.section	.rodata,"a",@progbits
	.p2align	6, 0x0
	.amdhsa_kernel _ZL24rocblas_dot_kernel_magsqIlLb0ELi512ELi2ELb1EdPKPKfdEviT5_lT_liPT6_PT4_
		.amdhsa_group_segment_fixed_size 256
		.amdhsa_private_segment_fixed_size 0
		.amdhsa_kernarg_size 320
		.amdhsa_user_sgpr_count 14
		.amdhsa_user_sgpr_dispatch_ptr 0
		.amdhsa_user_sgpr_queue_ptr 0
		.amdhsa_user_sgpr_kernarg_segment_ptr 1
		.amdhsa_user_sgpr_dispatch_id 0
		.amdhsa_user_sgpr_private_segment_size 0
		.amdhsa_wavefront_size32 1
		.amdhsa_uses_dynamic_stack 0
		.amdhsa_enable_private_segment 0
		.amdhsa_system_sgpr_workgroup_id_x 1
		.amdhsa_system_sgpr_workgroup_id_y 0
		.amdhsa_system_sgpr_workgroup_id_z 1
		.amdhsa_system_sgpr_workgroup_info 0
		.amdhsa_system_vgpr_workitem_id 0
		.amdhsa_next_free_vgpr 11
		.amdhsa_next_free_sgpr 18
		.amdhsa_reserve_vcc 1
		.amdhsa_float_round_mode_32 0
		.amdhsa_float_round_mode_16_64 0
		.amdhsa_float_denorm_mode_32 3
		.amdhsa_float_denorm_mode_16_64 3
		.amdhsa_dx10_clamp 1
		.amdhsa_ieee_mode 1
		.amdhsa_fp16_overflow 0
		.amdhsa_workgroup_processor_mode 1
		.amdhsa_memory_ordered 1
		.amdhsa_forward_progress 0
		.amdhsa_shared_vgpr_count 0
		.amdhsa_exception_fp_ieee_invalid_op 0
		.amdhsa_exception_fp_denorm_src 0
		.amdhsa_exception_fp_ieee_div_zero 0
		.amdhsa_exception_fp_ieee_overflow 0
		.amdhsa_exception_fp_ieee_underflow 0
		.amdhsa_exception_fp_ieee_inexact 0
		.amdhsa_exception_int_div_zero 0
	.end_amdhsa_kernel
	.section	.text._ZL24rocblas_dot_kernel_magsqIlLb0ELi512ELi2ELb1EdPKPKfdEviT5_lT_liPT6_PT4_,"axG",@progbits,_ZL24rocblas_dot_kernel_magsqIlLb0ELi512ELi2ELb1EdPKPKfdEviT5_lT_liPT6_PT4_,comdat
.Lfunc_end593:
	.size	_ZL24rocblas_dot_kernel_magsqIlLb0ELi512ELi2ELb1EdPKPKfdEviT5_lT_liPT6_PT4_, .Lfunc_end593-_ZL24rocblas_dot_kernel_magsqIlLb0ELi512ELi2ELb1EdPKPKfdEviT5_lT_liPT6_PT4_
                                        ; -- End function
	.section	.AMDGPU.csdata,"",@progbits
; Kernel info:
; codeLenInByte = 1060
; NumSgprs: 20
; NumVgprs: 11
; ScratchSize: 0
; MemoryBound: 0
; FloatMode: 240
; IeeeMode: 1
; LDSByteSize: 256 bytes/workgroup (compile time only)
; SGPRBlocks: 2
; VGPRBlocks: 1
; NumSGPRsForWavesPerEU: 20
; NumVGPRsForWavesPerEU: 11
; Occupancy: 16
; WaveLimiterHint : 1
; COMPUTE_PGM_RSRC2:SCRATCH_EN: 0
; COMPUTE_PGM_RSRC2:USER_SGPR: 14
; COMPUTE_PGM_RSRC2:TRAP_HANDLER: 0
; COMPUTE_PGM_RSRC2:TGID_X_EN: 1
; COMPUTE_PGM_RSRC2:TGID_Y_EN: 0
; COMPUTE_PGM_RSRC2:TGID_Z_EN: 1
; COMPUTE_PGM_RSRC2:TIDIG_COMP_CNT: 0
	.section	.text._ZL28rocblas_dot_batched_4_kernelIiLi32ELi4ELb1EffPKfEviT5_lT_lS2_lS3_liPT4_,"axG",@progbits,_ZL28rocblas_dot_batched_4_kernelIiLi32ELi4ELb1EffPKfEviT5_lT_lS2_lS3_liPT4_,comdat
	.globl	_ZL28rocblas_dot_batched_4_kernelIiLi32ELi4ELb1EffPKfEviT5_lT_lS2_lS3_liPT4_ ; -- Begin function _ZL28rocblas_dot_batched_4_kernelIiLi32ELi4ELb1EffPKfEviT5_lT_lS2_lS3_liPT4_
	.p2align	8
	.type	_ZL28rocblas_dot_batched_4_kernelIiLi32ELi4ELb1EffPKfEviT5_lT_lS2_lS3_liPT4_,@function
_ZL28rocblas_dot_batched_4_kernelIiLi32ELi4ELb1EffPKfEviT5_lT_lS2_lS3_liPT4_: ; @_ZL28rocblas_dot_batched_4_kernelIiLi32ELi4ELb1EffPKfEviT5_lT_lS2_lS3_liPT4_
; %bb.0:
	s_load_b32 s2, s[0:1], 0x48
	v_bfe_u32 v1, v0, 10, 10
	s_delay_alu instid0(VALU_DEP_1) | instskip(SKIP_1) | instid1(VALU_DEP_1)
	v_lshl_add_u32 v1, s15, 2, v1
	s_waitcnt lgkmcnt(0)
	v_cmp_gt_u32_e32 vcc_lo, s2, v1
	s_and_saveexec_b32 s2, vcc_lo
	s_cbranch_execz .LBB594_7
; %bb.1:
	s_clause 0x1
	s_load_b32 s12, s[0:1], 0x0
	s_load_b64 s[2:3], s[0:1], 0x50
	v_mov_b32_e32 v2, 0
	v_and_b32_e32 v0, 0x3ff, v0
	s_mov_b32 s13, exec_lo
	s_delay_alu instid0(VALU_DEP_2) | instskip(SKIP_1) | instid1(VALU_DEP_2)
	v_mov_b32_e32 v7, v2
	s_waitcnt lgkmcnt(0)
	v_cmpx_gt_i32_e64 s12, v0
	s_cbranch_execz .LBB594_5
; %bb.2:
	s_clause 0x5
	s_load_b128 s[4:7], s[0:1], 0x20
	s_load_b64 s[14:15], s[0:1], 0x40
	s_load_b32 s16, s[0:1], 0x18
	s_load_b32 s18, s[0:1], 0x38
	s_load_b128 s[8:11], s[0:1], 0x8
	s_load_b64 s[0:1], s[0:1], 0x30
	s_waitcnt lgkmcnt(0)
	v_mad_u64_u32 v[3:4], null, s4, v1, 0
	v_mad_u64_u32 v[5:6], null, s14, v1, 0
	v_mad_i64_i32 v[8:9], null, s16, v0, 0
	s_ashr_i32 s17, s16, 31
	s_ashr_i32 s19, s18, 31
	s_delay_alu instid0(VALU_DEP_2) | instskip(SKIP_1) | instid1(VALU_DEP_3)
	v_mad_u64_u32 v[10:11], null, s5, v1, v[4:5]
	v_mov_b32_e32 v7, 0
	v_lshlrev_b64 v[8:9], 2, v[8:9]
	s_lshl_b64 s[4:5], s[10:11], 2
	s_delay_alu instid0(SALU_CYCLE_1) | instskip(SKIP_1) | instid1(VALU_DEP_3)
	s_add_u32 s8, s8, s4
	s_addc_u32 s9, s9, s5
	v_mov_b32_e32 v4, v10
	v_mad_u64_u32 v[11:12], null, s15, v1, v[6:7]
	v_mad_i64_i32 v[12:13], null, s18, v0, 0
	s_delay_alu instid0(VALU_DEP_3) | instskip(SKIP_3) | instid1(VALU_DEP_3)
	v_lshlrev_b64 v[3:4], 2, v[3:4]
	s_lshl_b64 s[0:1], s[0:1], 2
	s_lshl_b64 s[4:5], s[16:17], 7
	s_add_u32 s0, s6, s0
	v_mov_b32_e32 v6, v11
	s_addc_u32 s1, s7, s1
	s_delay_alu instid0(VALU_DEP_3) | instskip(SKIP_1) | instid1(VALU_DEP_3)
	v_lshlrev_b64 v[10:11], 2, v[12:13]
	v_add_co_u32 v3, vcc_lo, v8, v3
	v_lshlrev_b64 v[5:6], 2, v[5:6]
	v_add_co_ci_u32_e32 v4, vcc_lo, v9, v4, vcc_lo
	v_mov_b32_e32 v8, v0
	s_lshl_b64 s[6:7], s[18:19], 7
	s_delay_alu instid0(VALU_DEP_3) | instskip(NEXT) | instid1(VALU_DEP_4)
	v_add_co_u32 v5, vcc_lo, v10, v5
	v_add_co_ci_u32_e32 v6, vcc_lo, v11, v6, vcc_lo
	v_add_co_u32 v3, vcc_lo, s8, v3
	v_add_co_ci_u32_e32 v4, vcc_lo, s9, v4, vcc_lo
	s_delay_alu instid0(VALU_DEP_4) | instskip(NEXT) | instid1(VALU_DEP_4)
	v_add_co_u32 v5, vcc_lo, s0, v5
	v_add_co_ci_u32_e32 v6, vcc_lo, s1, v6, vcc_lo
	s_mov_b32 s1, 0
	.p2align	6
.LBB594_3:                              ; =>This Inner Loop Header: Depth=1
	global_load_b32 v9, v[3:4], off
	global_load_b32 v10, v[5:6], off
	v_add_nc_u32_e32 v8, 32, v8
	v_add_co_u32 v3, vcc_lo, v3, s4
	v_add_co_ci_u32_e32 v4, vcc_lo, s5, v4, vcc_lo
	v_add_co_u32 v5, vcc_lo, v5, s6
	v_add_co_ci_u32_e32 v6, vcc_lo, s7, v6, vcc_lo
	s_waitcnt vmcnt(0)
	v_fmac_f32_e32 v7, v9, v10
	v_cmp_le_i32_e64 s0, s12, v8
	s_delay_alu instid0(VALU_DEP_1) | instskip(NEXT) | instid1(SALU_CYCLE_1)
	s_or_b32 s1, s0, s1
	s_and_not1_b32 exec_lo, exec_lo, s1
	s_cbranch_execnz .LBB594_3
; %bb.4:
	s_or_b32 exec_lo, exec_lo, s1
.LBB594_5:
	s_delay_alu instid0(SALU_CYCLE_1)
	s_or_b32 exec_lo, exec_lo, s13
	v_mbcnt_lo_u32_b32 v3, -1, 0
	s_barrier
	buffer_gl0_inv
	v_cmp_gt_u32_e32 vcc_lo, 16, v3
	v_cndmask_b32_e64 v4, 0, 1, vcc_lo
	v_cmp_gt_u32_e32 vcc_lo, 24, v3
	s_delay_alu instid0(VALU_DEP_2) | instskip(SKIP_2) | instid1(VALU_DEP_3)
	v_lshlrev_b32_e32 v4, 4, v4
	v_cndmask_b32_e64 v5, 0, 1, vcc_lo
	v_cmp_gt_u32_e32 vcc_lo, 28, v3
	v_add_lshl_u32 v4, v4, v3, 2
	v_cndmask_b32_e64 v6, 0, 1, vcc_lo
	v_cmp_gt_u32_e32 vcc_lo, 30, v3
	ds_bpermute_b32 v4, v4, v7
	v_lshlrev_b32_e32 v5, 3, v5
	v_lshlrev_b32_e32 v6, 2, v6
	s_delay_alu instid0(VALU_DEP_1)
	v_add_lshl_u32 v6, v6, v3, 2
	s_waitcnt lgkmcnt(0)
	v_add_f32_e32 v4, v7, v4
	v_add_lshl_u32 v5, v5, v3, 2
	ds_bpermute_b32 v5, v5, v4
	s_waitcnt lgkmcnt(0)
	v_add_f32_e32 v4, v4, v5
	ds_bpermute_b32 v5, v6, v4
	v_cndmask_b32_e64 v6, 0, 1, vcc_lo
	v_cmp_ne_u32_e32 vcc_lo, 31, v3
	s_delay_alu instid0(VALU_DEP_2) | instskip(NEXT) | instid1(VALU_DEP_1)
	v_lshlrev_b32_e32 v6, 1, v6
	v_add_lshl_u32 v6, v6, v3, 2
	s_waitcnt lgkmcnt(0)
	v_add_f32_e32 v4, v4, v5
	ds_bpermute_b32 v5, v6, v4
	v_add_co_ci_u32_e32 v6, vcc_lo, 0, v3, vcc_lo
	v_cmp_eq_u32_e32 vcc_lo, 0, v0
	s_waitcnt lgkmcnt(0)
	s_delay_alu instid0(VALU_DEP_2)
	v_dual_add_f32 v3, v4, v5 :: v_dual_lshlrev_b32 v4, 2, v6
	ds_bpermute_b32 v4, v4, v3
	s_and_b32 exec_lo, exec_lo, vcc_lo
	s_cbranch_execz .LBB594_7
; %bb.6:
	v_lshlrev_b64 v[0:1], 2, v[1:2]
	s_waitcnt lgkmcnt(0)
	v_add_f32_e32 v2, v3, v4
	s_delay_alu instid0(VALU_DEP_2) | instskip(NEXT) | instid1(VALU_DEP_3)
	v_add_co_u32 v0, vcc_lo, s2, v0
	v_add_co_ci_u32_e32 v1, vcc_lo, s3, v1, vcc_lo
	global_store_b32 v[0:1], v2, off
.LBB594_7:
	s_nop 0
	s_sendmsg sendmsg(MSG_DEALLOC_VGPRS)
	s_endpgm
	.section	.rodata,"a",@progbits
	.p2align	6, 0x0
	.amdhsa_kernel _ZL28rocblas_dot_batched_4_kernelIiLi32ELi4ELb1EffPKfEviT5_lT_lS2_lS3_liPT4_
		.amdhsa_group_segment_fixed_size 0
		.amdhsa_private_segment_fixed_size 0
		.amdhsa_kernarg_size 88
		.amdhsa_user_sgpr_count 15
		.amdhsa_user_sgpr_dispatch_ptr 0
		.amdhsa_user_sgpr_queue_ptr 0
		.amdhsa_user_sgpr_kernarg_segment_ptr 1
		.amdhsa_user_sgpr_dispatch_id 0
		.amdhsa_user_sgpr_private_segment_size 0
		.amdhsa_wavefront_size32 1
		.amdhsa_uses_dynamic_stack 0
		.amdhsa_enable_private_segment 0
		.amdhsa_system_sgpr_workgroup_id_x 1
		.amdhsa_system_sgpr_workgroup_id_y 0
		.amdhsa_system_sgpr_workgroup_id_z 0
		.amdhsa_system_sgpr_workgroup_info 0
		.amdhsa_system_vgpr_workitem_id 1
		.amdhsa_next_free_vgpr 14
		.amdhsa_next_free_sgpr 20
		.amdhsa_reserve_vcc 1
		.amdhsa_float_round_mode_32 0
		.amdhsa_float_round_mode_16_64 0
		.amdhsa_float_denorm_mode_32 3
		.amdhsa_float_denorm_mode_16_64 3
		.amdhsa_dx10_clamp 1
		.amdhsa_ieee_mode 1
		.amdhsa_fp16_overflow 0
		.amdhsa_workgroup_processor_mode 1
		.amdhsa_memory_ordered 1
		.amdhsa_forward_progress 0
		.amdhsa_shared_vgpr_count 0
		.amdhsa_exception_fp_ieee_invalid_op 0
		.amdhsa_exception_fp_denorm_src 0
		.amdhsa_exception_fp_ieee_div_zero 0
		.amdhsa_exception_fp_ieee_overflow 0
		.amdhsa_exception_fp_ieee_underflow 0
		.amdhsa_exception_fp_ieee_inexact 0
		.amdhsa_exception_int_div_zero 0
	.end_amdhsa_kernel
	.section	.text._ZL28rocblas_dot_batched_4_kernelIiLi32ELi4ELb1EffPKfEviT5_lT_lS2_lS3_liPT4_,"axG",@progbits,_ZL28rocblas_dot_batched_4_kernelIiLi32ELi4ELb1EffPKfEviT5_lT_lS2_lS3_liPT4_,comdat
.Lfunc_end594:
	.size	_ZL28rocblas_dot_batched_4_kernelIiLi32ELi4ELb1EffPKfEviT5_lT_lS2_lS3_liPT4_, .Lfunc_end594-_ZL28rocblas_dot_batched_4_kernelIiLi32ELi4ELb1EffPKfEviT5_lT_lS2_lS3_liPT4_
                                        ; -- End function
	.section	.AMDGPU.csdata,"",@progbits
; Kernel info:
; codeLenInByte = 740
; NumSgprs: 22
; NumVgprs: 14
; ScratchSize: 0
; MemoryBound: 0
; FloatMode: 240
; IeeeMode: 1
; LDSByteSize: 0 bytes/workgroup (compile time only)
; SGPRBlocks: 2
; VGPRBlocks: 1
; NumSGPRsForWavesPerEU: 22
; NumVGPRsForWavesPerEU: 14
; Occupancy: 16
; WaveLimiterHint : 0
; COMPUTE_PGM_RSRC2:SCRATCH_EN: 0
; COMPUTE_PGM_RSRC2:USER_SGPR: 15
; COMPUTE_PGM_RSRC2:TRAP_HANDLER: 0
; COMPUTE_PGM_RSRC2:TGID_X_EN: 1
; COMPUTE_PGM_RSRC2:TGID_Y_EN: 0
; COMPUTE_PGM_RSRC2:TGID_Z_EN: 0
; COMPUTE_PGM_RSRC2:TIDIG_COMP_CNT: 1
	.section	.text._ZL28rocblas_dot_batched_4_kernelIiLi64ELi4ELb1EffPKfEviT5_lT_lS2_lS3_liPT4_,"axG",@progbits,_ZL28rocblas_dot_batched_4_kernelIiLi64ELi4ELb1EffPKfEviT5_lT_lS2_lS3_liPT4_,comdat
	.globl	_ZL28rocblas_dot_batched_4_kernelIiLi64ELi4ELb1EffPKfEviT5_lT_lS2_lS3_liPT4_ ; -- Begin function _ZL28rocblas_dot_batched_4_kernelIiLi64ELi4ELb1EffPKfEviT5_lT_lS2_lS3_liPT4_
	.p2align	8
	.type	_ZL28rocblas_dot_batched_4_kernelIiLi64ELi4ELb1EffPKfEviT5_lT_lS2_lS3_liPT4_,@function
_ZL28rocblas_dot_batched_4_kernelIiLi64ELi4ELb1EffPKfEviT5_lT_lS2_lS3_liPT4_: ; @_ZL28rocblas_dot_batched_4_kernelIiLi64ELi4ELb1EffPKfEviT5_lT_lS2_lS3_liPT4_
; %bb.0:
	s_load_b32 s2, s[0:1], 0x48
	v_bfe_u32 v1, v0, 10, 10
	s_delay_alu instid0(VALU_DEP_1) | instskip(SKIP_1) | instid1(VALU_DEP_1)
	v_lshl_add_u32 v1, s15, 2, v1
	s_waitcnt lgkmcnt(0)
	v_cmp_gt_u32_e32 vcc_lo, s2, v1
	s_and_saveexec_b32 s2, vcc_lo
	s_cbranch_execz .LBB595_7
; %bb.1:
	s_clause 0x1
	s_load_b32 s12, s[0:1], 0x0
	s_load_b64 s[2:3], s[0:1], 0x50
	v_mov_b32_e32 v2, 0
	v_and_b32_e32 v0, 0x3ff, v0
	s_mov_b32 s13, exec_lo
	s_delay_alu instid0(VALU_DEP_2) | instskip(SKIP_1) | instid1(VALU_DEP_2)
	v_mov_b32_e32 v7, v2
	s_waitcnt lgkmcnt(0)
	v_cmpx_gt_i32_e64 s12, v0
	s_cbranch_execz .LBB595_5
; %bb.2:
	s_clause 0x5
	s_load_b128 s[4:7], s[0:1], 0x20
	s_load_b64 s[14:15], s[0:1], 0x40
	s_load_b32 s16, s[0:1], 0x18
	s_load_b32 s18, s[0:1], 0x38
	s_load_b128 s[8:11], s[0:1], 0x8
	s_load_b64 s[0:1], s[0:1], 0x30
	s_waitcnt lgkmcnt(0)
	v_mad_u64_u32 v[3:4], null, s4, v1, 0
	v_mad_u64_u32 v[5:6], null, s14, v1, 0
	v_mad_i64_i32 v[8:9], null, s16, v0, 0
	s_ashr_i32 s17, s16, 31
	s_ashr_i32 s19, s18, 31
	s_delay_alu instid0(VALU_DEP_2) | instskip(SKIP_1) | instid1(VALU_DEP_3)
	v_mad_u64_u32 v[10:11], null, s5, v1, v[4:5]
	v_mov_b32_e32 v7, 0
	v_lshlrev_b64 v[8:9], 2, v[8:9]
	s_lshl_b64 s[4:5], s[10:11], 2
	s_delay_alu instid0(SALU_CYCLE_1) | instskip(SKIP_1) | instid1(VALU_DEP_3)
	s_add_u32 s8, s8, s4
	s_addc_u32 s9, s9, s5
	v_mov_b32_e32 v4, v10
	v_mad_u64_u32 v[11:12], null, s15, v1, v[6:7]
	v_mad_i64_i32 v[12:13], null, s18, v0, 0
	s_delay_alu instid0(VALU_DEP_3) | instskip(SKIP_3) | instid1(VALU_DEP_3)
	v_lshlrev_b64 v[3:4], 2, v[3:4]
	s_lshl_b64 s[0:1], s[0:1], 2
	s_lshl_b64 s[4:5], s[16:17], 8
	s_add_u32 s0, s6, s0
	v_mov_b32_e32 v6, v11
	s_addc_u32 s1, s7, s1
	s_delay_alu instid0(VALU_DEP_3) | instskip(SKIP_1) | instid1(VALU_DEP_3)
	v_lshlrev_b64 v[10:11], 2, v[12:13]
	v_add_co_u32 v3, vcc_lo, v8, v3
	v_lshlrev_b64 v[5:6], 2, v[5:6]
	v_add_co_ci_u32_e32 v4, vcc_lo, v9, v4, vcc_lo
	v_mov_b32_e32 v8, v0
	s_lshl_b64 s[6:7], s[18:19], 8
	s_delay_alu instid0(VALU_DEP_3) | instskip(NEXT) | instid1(VALU_DEP_4)
	v_add_co_u32 v5, vcc_lo, v10, v5
	v_add_co_ci_u32_e32 v6, vcc_lo, v11, v6, vcc_lo
	v_add_co_u32 v3, vcc_lo, s8, v3
	v_add_co_ci_u32_e32 v4, vcc_lo, s9, v4, vcc_lo
	s_delay_alu instid0(VALU_DEP_4) | instskip(NEXT) | instid1(VALU_DEP_4)
	v_add_co_u32 v5, vcc_lo, s0, v5
	v_add_co_ci_u32_e32 v6, vcc_lo, s1, v6, vcc_lo
	s_mov_b32 s1, 0
	.p2align	6
.LBB595_3:                              ; =>This Inner Loop Header: Depth=1
	global_load_b32 v9, v[3:4], off
	global_load_b32 v10, v[5:6], off
	v_add_nc_u32_e32 v8, 64, v8
	v_add_co_u32 v3, vcc_lo, v3, s4
	v_add_co_ci_u32_e32 v4, vcc_lo, s5, v4, vcc_lo
	v_add_co_u32 v5, vcc_lo, v5, s6
	v_add_co_ci_u32_e32 v6, vcc_lo, s7, v6, vcc_lo
	s_waitcnt vmcnt(0)
	v_fmac_f32_e32 v7, v9, v10
	v_cmp_le_i32_e64 s0, s12, v8
	s_delay_alu instid0(VALU_DEP_1) | instskip(NEXT) | instid1(SALU_CYCLE_1)
	s_or_b32 s1, s0, s1
	s_and_not1_b32 exec_lo, exec_lo, s1
	s_cbranch_execnz .LBB595_3
; %bb.4:
	s_or_b32 exec_lo, exec_lo, s1
.LBB595_5:
	s_delay_alu instid0(SALU_CYCLE_1)
	s_or_b32 exec_lo, exec_lo, s13
	v_mbcnt_lo_u32_b32 v3, -1, 0
	s_barrier
	buffer_gl0_inv
	v_lshlrev_b32_e32 v4, 2, v3
	v_cmp_gt_u32_e32 vcc_lo, 16, v3
	ds_bpermute_b32 v4, v4, v7
	v_cndmask_b32_e64 v5, 0, 1, vcc_lo
	v_cmp_gt_u32_e32 vcc_lo, 24, v3
	s_delay_alu instid0(VALU_DEP_2) | instskip(SKIP_2) | instid1(VALU_DEP_2)
	v_lshlrev_b32_e32 v5, 4, v5
	v_cndmask_b32_e64 v6, 0, 1, vcc_lo
	v_cmp_gt_u32_e32 vcc_lo, 28, v3
	v_lshlrev_b32_e32 v6, 3, v6
	s_delay_alu instid0(VALU_DEP_1)
	v_add_lshl_u32 v6, v6, v3, 2
	s_waitcnt lgkmcnt(0)
	v_add_f32_e32 v4, v7, v4
	v_add_lshl_u32 v5, v5, v3, 2
	ds_bpermute_b32 v5, v5, v4
	s_waitcnt lgkmcnt(0)
	v_add_f32_e32 v4, v4, v5
	ds_bpermute_b32 v5, v6, v4
	v_cndmask_b32_e64 v6, 0, 1, vcc_lo
	v_cmp_gt_u32_e32 vcc_lo, 30, v3
	s_delay_alu instid0(VALU_DEP_2) | instskip(NEXT) | instid1(VALU_DEP_1)
	v_lshlrev_b32_e32 v6, 2, v6
	v_add_lshl_u32 v6, v6, v3, 2
	s_waitcnt lgkmcnt(0)
	v_add_f32_e32 v4, v4, v5
	ds_bpermute_b32 v5, v6, v4
	v_cndmask_b32_e64 v6, 0, 1, vcc_lo
	v_cmp_ne_u32_e32 vcc_lo, 31, v3
	s_delay_alu instid0(VALU_DEP_2) | instskip(NEXT) | instid1(VALU_DEP_1)
	v_lshlrev_b32_e32 v6, 1, v6
	v_add_lshl_u32 v6, v6, v3, 2
	s_waitcnt lgkmcnt(0)
	v_add_f32_e32 v4, v4, v5
	ds_bpermute_b32 v5, v6, v4
	v_add_co_ci_u32_e32 v6, vcc_lo, 0, v3, vcc_lo
	v_cmp_eq_u32_e32 vcc_lo, 0, v0
	s_waitcnt lgkmcnt(0)
	s_delay_alu instid0(VALU_DEP_2)
	v_dual_add_f32 v3, v4, v5 :: v_dual_lshlrev_b32 v4, 2, v6
	ds_bpermute_b32 v4, v4, v3
	s_and_b32 exec_lo, exec_lo, vcc_lo
	s_cbranch_execz .LBB595_7
; %bb.6:
	v_lshlrev_b64 v[0:1], 2, v[1:2]
	s_waitcnt lgkmcnt(0)
	v_add_f32_e32 v2, v3, v4
	s_delay_alu instid0(VALU_DEP_2) | instskip(NEXT) | instid1(VALU_DEP_3)
	v_add_co_u32 v0, vcc_lo, s2, v0
	v_add_co_ci_u32_e32 v1, vcc_lo, s3, v1, vcc_lo
	global_store_b32 v[0:1], v2, off
.LBB595_7:
	s_nop 0
	s_sendmsg sendmsg(MSG_DEALLOC_VGPRS)
	s_endpgm
	.section	.rodata,"a",@progbits
	.p2align	6, 0x0
	.amdhsa_kernel _ZL28rocblas_dot_batched_4_kernelIiLi64ELi4ELb1EffPKfEviT5_lT_lS2_lS3_liPT4_
		.amdhsa_group_segment_fixed_size 0
		.amdhsa_private_segment_fixed_size 0
		.amdhsa_kernarg_size 88
		.amdhsa_user_sgpr_count 15
		.amdhsa_user_sgpr_dispatch_ptr 0
		.amdhsa_user_sgpr_queue_ptr 0
		.amdhsa_user_sgpr_kernarg_segment_ptr 1
		.amdhsa_user_sgpr_dispatch_id 0
		.amdhsa_user_sgpr_private_segment_size 0
		.amdhsa_wavefront_size32 1
		.amdhsa_uses_dynamic_stack 0
		.amdhsa_enable_private_segment 0
		.amdhsa_system_sgpr_workgroup_id_x 1
		.amdhsa_system_sgpr_workgroup_id_y 0
		.amdhsa_system_sgpr_workgroup_id_z 0
		.amdhsa_system_sgpr_workgroup_info 0
		.amdhsa_system_vgpr_workitem_id 1
		.amdhsa_next_free_vgpr 14
		.amdhsa_next_free_sgpr 20
		.amdhsa_reserve_vcc 1
		.amdhsa_float_round_mode_32 0
		.amdhsa_float_round_mode_16_64 0
		.amdhsa_float_denorm_mode_32 3
		.amdhsa_float_denorm_mode_16_64 3
		.amdhsa_dx10_clamp 1
		.amdhsa_ieee_mode 1
		.amdhsa_fp16_overflow 0
		.amdhsa_workgroup_processor_mode 1
		.amdhsa_memory_ordered 1
		.amdhsa_forward_progress 0
		.amdhsa_shared_vgpr_count 0
		.amdhsa_exception_fp_ieee_invalid_op 0
		.amdhsa_exception_fp_denorm_src 0
		.amdhsa_exception_fp_ieee_div_zero 0
		.amdhsa_exception_fp_ieee_overflow 0
		.amdhsa_exception_fp_ieee_underflow 0
		.amdhsa_exception_fp_ieee_inexact 0
		.amdhsa_exception_int_div_zero 0
	.end_amdhsa_kernel
	.section	.text._ZL28rocblas_dot_batched_4_kernelIiLi64ELi4ELb1EffPKfEviT5_lT_lS2_lS3_liPT4_,"axG",@progbits,_ZL28rocblas_dot_batched_4_kernelIiLi64ELi4ELb1EffPKfEviT5_lT_lS2_lS3_liPT4_,comdat
.Lfunc_end595:
	.size	_ZL28rocblas_dot_batched_4_kernelIiLi64ELi4ELb1EffPKfEviT5_lT_lS2_lS3_liPT4_, .Lfunc_end595-_ZL28rocblas_dot_batched_4_kernelIiLi64ELi4ELb1EffPKfEviT5_lT_lS2_lS3_liPT4_
                                        ; -- End function
	.section	.AMDGPU.csdata,"",@progbits
; Kernel info:
; codeLenInByte = 764
; NumSgprs: 22
; NumVgprs: 14
; ScratchSize: 0
; MemoryBound: 0
; FloatMode: 240
; IeeeMode: 1
; LDSByteSize: 0 bytes/workgroup (compile time only)
; SGPRBlocks: 2
; VGPRBlocks: 1
; NumSGPRsForWavesPerEU: 22
; NumVGPRsForWavesPerEU: 14
; Occupancy: 16
; WaveLimiterHint : 0
; COMPUTE_PGM_RSRC2:SCRATCH_EN: 0
; COMPUTE_PGM_RSRC2:USER_SGPR: 15
; COMPUTE_PGM_RSRC2:TRAP_HANDLER: 0
; COMPUTE_PGM_RSRC2:TGID_X_EN: 1
; COMPUTE_PGM_RSRC2:TGID_Y_EN: 0
; COMPUTE_PGM_RSRC2:TGID_Z_EN: 0
; COMPUTE_PGM_RSRC2:TIDIG_COMP_CNT: 1
	.section	.text._ZL26rocblas_dot_kernel_inc1by2ILb1ELi1024ELi32ELb1EfPKffEviT4_llS2_lliPT5_PT3_,"axG",@progbits,_ZL26rocblas_dot_kernel_inc1by2ILb1ELi1024ELi32ELb1EfPKffEviT4_llS2_lliPT5_PT3_,comdat
	.globl	_ZL26rocblas_dot_kernel_inc1by2ILb1ELi1024ELi32ELb1EfPKffEviT4_llS2_lliPT5_PT3_ ; -- Begin function _ZL26rocblas_dot_kernel_inc1by2ILb1ELi1024ELi32ELb1EfPKffEviT4_llS2_lliPT5_PT3_
	.p2align	8
	.type	_ZL26rocblas_dot_kernel_inc1by2ILb1ELi1024ELi32ELb1EfPKffEviT4_llS2_lliPT5_PT3_,@function
_ZL26rocblas_dot_kernel_inc1by2ILb1ELi1024ELi32ELb1EfPKffEviT4_llS2_lliPT5_PT3_: ; @_ZL26rocblas_dot_kernel_inc1by2ILb1ELi1024ELi32ELb1EfPKffEviT4_llS2_lliPT5_PT3_
; %bb.0:
	s_mov_b32 s2, s15
	s_clause 0x5
	s_load_b128 s[8:11], s[0:1], 0x10
	s_load_b128 s[4:7], s[0:1], 0x28
	s_load_b32 s17, s[0:1], 0x0
	s_load_b64 s[12:13], s[0:1], 0x48
	s_load_b64 s[14:15], s[0:1], 0x8
	;; [unrolled: 1-line block ×3, first 2 shown]
	v_dual_mov_b32 v5, 0 :: v_dual_lshlrev_b32 v6, 1, v0
	s_mov_b32 s3, 0
	s_waitcnt lgkmcnt(0)
	s_mul_i32 s11, s2, s11
	s_mul_hi_u32 s18, s2, s10
	s_mul_i32 s7, s2, s7
	s_mul_hi_u32 s19, s2, s6
	s_add_i32 s16, s17, -1
	s_add_i32 s11, s18, s11
	s_mul_i32 s10, s2, s10
	s_add_i32 s7, s19, s7
	s_mul_i32 s6, s2, s6
	s_mov_b32 s18, exec_lo
	v_cmpx_gt_i32_e64 s16, v6
	s_cbranch_execz .LBB596_4
; %bb.1:
	s_lshl_b64 s[22:23], s[4:5], 2
	s_lshl_b64 s[20:21], s[6:7], 2
	v_lshlrev_b32_e32 v1, 3, v0
	s_add_u32 s19, s0, s22
	s_addc_u32 s22, s1, s23
	s_add_u32 s19, s19, s20
	s_addc_u32 s20, s22, s21
	v_add_co_u32 v2, s19, s19, v1
	s_delay_alu instid0(VALU_DEP_1)
	v_add_co_ci_u32_e64 v3, null, s20, 0, s19
	s_lshl_b64 s[20:21], s[8:9], 2
	s_lshl_b64 s[22:23], s[10:11], 2
	s_add_u32 s19, s14, s20
	s_addc_u32 s20, s15, s21
	s_add_u32 s19, s19, s22
	s_addc_u32 s20, s20, s23
	v_add_co_u32 v4, s19, s19, v1
	s_delay_alu instid0(VALU_DEP_1) | instskip(SKIP_2) | instid1(VALU_DEP_4)
	v_add_co_ci_u32_e64 v7, null, s20, 0, s19
	v_add_co_u32 v1, vcc_lo, v2, 4
	v_add_co_ci_u32_e32 v2, vcc_lo, 0, v3, vcc_lo
	v_add_co_u32 v3, vcc_lo, v4, 4
	v_mov_b32_e32 v5, 0
	v_add_co_ci_u32_e32 v4, vcc_lo, 0, v7, vcc_lo
	s_mov_b32 s19, s3
	s_mov_b32 s20, s3
	.p2align	6
.LBB596_2:                              ; =>This Inner Loop Header: Depth=1
	global_load_b64 v[7:8], v[1:2], off offset:-4
	global_load_b64 v[9:10], v[3:4], off offset:-4
	v_add_co_u32 v1, vcc_lo, 0x2000, v1
	v_add_nc_u32_e32 v6, 0x800, v6
	v_add_co_ci_u32_e32 v2, vcc_lo, 0, v2, vcc_lo
	v_add_co_u32 v3, vcc_lo, 0x2000, v3
	v_add_co_ci_u32_e32 v4, vcc_lo, 0, v4, vcc_lo
	s_add_i32 s21, s20, 1
	s_cmp_gt_u32 s20, 30
	s_cselect_b32 s20, -1, 0
	s_waitcnt vmcnt(0)
	v_fmac_f32_e32 v5, v7, v9
	v_cmp_le_i32_e32 vcc_lo, s16, v6
	s_delay_alu instid0(VALU_DEP_2) | instskip(SKIP_1) | instid1(SALU_CYCLE_1)
	v_fmac_f32_e32 v5, v8, v10
	s_or_b32 s20, s20, vcc_lo
	s_and_b32 s20, exec_lo, s20
	s_delay_alu instid0(SALU_CYCLE_1)
	s_or_b32 s19, s20, s19
	s_mov_b32 s20, s21
	s_and_not1_b32 exec_lo, exec_lo, s19
	s_cbranch_execnz .LBB596_2
; %bb.3:
	s_or_b32 exec_lo, exec_lo, s19
.LBB596_4:
	s_delay_alu instid0(SALU_CYCLE_1) | instskip(SKIP_3) | instid1(SALU_CYCLE_1)
	s_or_b32 exec_lo, exec_lo, s18
	v_cmp_eq_u32_e32 vcc_lo, s16, v6
	s_bitcmp1_b32 s17, 0
	s_cselect_b32 s17, -1, 0
	s_and_b32 s17, s17, vcc_lo
	s_delay_alu instid0(SALU_CYCLE_1)
	s_and_saveexec_b32 s18, s17
	s_cbranch_execz .LBB596_6
; %bb.5:
	s_lshl_b64 s[10:11], s[10:11], 2
	s_mov_b32 s17, 0
	s_add_u32 s10, s14, s10
	s_addc_u32 s11, s15, s11
	s_lshl_b64 s[8:9], s[8:9], 2
	s_delay_alu instid0(SALU_CYCLE_1) | instskip(SKIP_2) | instid1(SALU_CYCLE_1)
	s_add_u32 s8, s10, s8
	s_addc_u32 s9, s11, s9
	s_lshl_b64 s[6:7], s[6:7], 2
	s_add_u32 s6, s0, s6
	s_addc_u32 s7, s1, s7
	s_lshl_b64 s[0:1], s[4:5], 2
	s_delay_alu instid0(SALU_CYCLE_1) | instskip(SKIP_2) | instid1(SALU_CYCLE_1)
	s_add_u32 s6, s6, s0
	s_addc_u32 s7, s7, s1
	s_lshl_b64 s[0:1], s[16:17], 2
	s_add_u32 s4, s8, s0
	s_addc_u32 s5, s9, s1
	s_add_u32 s0, s6, s0
	s_addc_u32 s1, s7, s1
	s_load_b32 s0, s[0:1], 0x0
	s_load_b32 s1, s[4:5], 0x0
	s_waitcnt lgkmcnt(0)
	v_fmac_f32_e64 v5, s0, s1
.LBB596_6:
	s_or_b32 exec_lo, exec_lo, s18
	v_and_b32_e32 v7, 31, v0
	v_cmp_gt_u32_e32 vcc_lo, 32, v0
	s_delay_alu instid0(VALU_DEP_2)
	v_lshlrev_b32_e32 v1, 2, v7
	s_and_saveexec_b32 s0, vcc_lo
	s_cbranch_execz .LBB596_8
; %bb.7:
	v_mov_b32_e32 v2, 0
	ds_store_b32 v1, v2
.LBB596_8:
	s_or_b32 exec_lo, exec_lo, s0
	v_mbcnt_lo_u32_b32 v6, -1, 0
	s_mov_b32 s1, exec_lo
	s_waitcnt lgkmcnt(0)
	s_barrier
	buffer_gl0_inv
	v_cmp_gt_u32_e64 s0, 16, v6
	s_delay_alu instid0(VALU_DEP_1) | instskip(SKIP_1) | instid1(VALU_DEP_2)
	v_cndmask_b32_e64 v2, 0, 1, s0
	v_cmp_gt_u32_e64 s0, 24, v6
	v_lshlrev_b32_e32 v2, 4, v2
	s_delay_alu instid0(VALU_DEP_2) | instskip(SKIP_1) | instid1(VALU_DEP_3)
	v_cndmask_b32_e64 v3, 0, 1, s0
	v_cmp_gt_u32_e64 s0, 28, v6
	v_add_lshl_u32 v2, v2, v6, 2
	ds_bpermute_b32 v4, v2, v5
	s_waitcnt lgkmcnt(0)
	v_add_f32_e32 v5, v5, v4
	v_lshlrev_b32_e32 v3, 3, v3
	v_cndmask_b32_e64 v4, 0, 1, s0
	v_cmp_gt_u32_e64 s0, 30, v6
	s_delay_alu instid0(VALU_DEP_3) | instskip(NEXT) | instid1(VALU_DEP_3)
	v_add_lshl_u32 v3, v3, v6, 2
	v_lshlrev_b32_e32 v4, 2, v4
	ds_bpermute_b32 v8, v3, v5
	v_add_lshl_u32 v4, v4, v6, 2
	s_waitcnt lgkmcnt(0)
	v_add_f32_e32 v8, v5, v8
	v_cndmask_b32_e64 v5, 0, 1, s0
	v_cmp_ne_u32_e64 s0, 31, v6
	ds_bpermute_b32 v9, v4, v8
	v_lshlrev_b32_e32 v5, 1, v5
	s_delay_alu instid0(VALU_DEP_1) | instskip(SKIP_1) | instid1(VALU_DEP_1)
	v_add_lshl_u32 v5, v5, v6, 2
	v_add_co_ci_u32_e64 v6, s0, 0, v6, s0
	v_lshlrev_b32_e32 v6, 2, v6
	s_waitcnt lgkmcnt(0)
	v_add_f32_e32 v8, v8, v9
	ds_bpermute_b32 v9, v5, v8
	s_waitcnt lgkmcnt(0)
	v_add_f32_e32 v8, v8, v9
	ds_bpermute_b32 v9, v6, v8
	v_cmpx_eq_u32_e32 0, v7
	s_cbranch_execz .LBB596_10
; %bb.9:
	v_lshrrev_b32_e32 v7, 3, v0
	s_waitcnt lgkmcnt(0)
	s_delay_alu instid0(VALU_DEP_1)
	v_dual_add_f32 v8, v8, v9 :: v_dual_and_b32 v7, 0x7c, v7
	ds_store_b32 v7, v8
.LBB596_10:
	s_or_b32 exec_lo, exec_lo, s1
	v_mov_b32_e32 v7, 0
	s_waitcnt lgkmcnt(0)
	s_barrier
	buffer_gl0_inv
	s_and_saveexec_b32 s0, vcc_lo
	s_cbranch_execz .LBB596_12
; %bb.11:
	ds_load_b32 v7, v1
.LBB596_12:
	s_or_b32 exec_lo, exec_lo, s0
	s_and_saveexec_b32 s0, vcc_lo
	s_cbranch_execz .LBB596_14
; %bb.13:
	s_waitcnt lgkmcnt(0)
	ds_bpermute_b32 v1, v2, v7
	s_waitcnt lgkmcnt(0)
	v_add_f32_e32 v1, v7, v1
	ds_bpermute_b32 v2, v3, v1
	s_waitcnt lgkmcnt(0)
	v_add_f32_e32 v1, v1, v2
	;; [unrolled: 3-line block ×5, first 2 shown]
.LBB596_14:
	s_or_b32 exec_lo, exec_lo, s0
	s_delay_alu instid0(SALU_CYCLE_1)
	s_mov_b32 s0, exec_lo
	v_cmpx_eq_u32_e32 0, v0
	s_cbranch_execz .LBB596_16
; %bb.15:
	s_lshl_b64 s[0:1], s[2:3], 2
	v_mov_b32_e32 v0, 0
	s_add_u32 s0, s12, s0
	s_addc_u32 s1, s13, s1
	s_waitcnt lgkmcnt(0)
	global_store_b32 v0, v7, s[0:1]
.LBB596_16:
	s_nop 0
	s_sendmsg sendmsg(MSG_DEALLOC_VGPRS)
	s_endpgm
	.section	.rodata,"a",@progbits
	.p2align	6, 0x0
	.amdhsa_kernel _ZL26rocblas_dot_kernel_inc1by2ILb1ELi1024ELi32ELb1EfPKffEviT4_llS2_lliPT5_PT3_
		.amdhsa_group_segment_fixed_size 128
		.amdhsa_private_segment_fixed_size 0
		.amdhsa_kernarg_size 80
		.amdhsa_user_sgpr_count 14
		.amdhsa_user_sgpr_dispatch_ptr 0
		.amdhsa_user_sgpr_queue_ptr 0
		.amdhsa_user_sgpr_kernarg_segment_ptr 1
		.amdhsa_user_sgpr_dispatch_id 0
		.amdhsa_user_sgpr_private_segment_size 0
		.amdhsa_wavefront_size32 1
		.amdhsa_uses_dynamic_stack 0
		.amdhsa_enable_private_segment 0
		.amdhsa_system_sgpr_workgroup_id_x 1
		.amdhsa_system_sgpr_workgroup_id_y 0
		.amdhsa_system_sgpr_workgroup_id_z 1
		.amdhsa_system_sgpr_workgroup_info 0
		.amdhsa_system_vgpr_workitem_id 0
		.amdhsa_next_free_vgpr 11
		.amdhsa_next_free_sgpr 24
		.amdhsa_reserve_vcc 1
		.amdhsa_float_round_mode_32 0
		.amdhsa_float_round_mode_16_64 0
		.amdhsa_float_denorm_mode_32 3
		.amdhsa_float_denorm_mode_16_64 3
		.amdhsa_dx10_clamp 1
		.amdhsa_ieee_mode 1
		.amdhsa_fp16_overflow 0
		.amdhsa_workgroup_processor_mode 1
		.amdhsa_memory_ordered 1
		.amdhsa_forward_progress 0
		.amdhsa_shared_vgpr_count 0
		.amdhsa_exception_fp_ieee_invalid_op 0
		.amdhsa_exception_fp_denorm_src 0
		.amdhsa_exception_fp_ieee_div_zero 0
		.amdhsa_exception_fp_ieee_overflow 0
		.amdhsa_exception_fp_ieee_underflow 0
		.amdhsa_exception_fp_ieee_inexact 0
		.amdhsa_exception_int_div_zero 0
	.end_amdhsa_kernel
	.section	.text._ZL26rocblas_dot_kernel_inc1by2ILb1ELi1024ELi32ELb1EfPKffEviT4_llS2_lliPT5_PT3_,"axG",@progbits,_ZL26rocblas_dot_kernel_inc1by2ILb1ELi1024ELi32ELb1EfPKffEviT4_llS2_lliPT5_PT3_,comdat
.Lfunc_end596:
	.size	_ZL26rocblas_dot_kernel_inc1by2ILb1ELi1024ELi32ELb1EfPKffEviT4_llS2_lliPT5_PT3_, .Lfunc_end596-_ZL26rocblas_dot_kernel_inc1by2ILb1ELi1024ELi32ELb1EfPKffEviT4_llS2_lliPT5_PT3_
                                        ; -- End function
	.section	.AMDGPU.csdata,"",@progbits
; Kernel info:
; codeLenInByte = 1044
; NumSgprs: 26
; NumVgprs: 11
; ScratchSize: 0
; MemoryBound: 0
; FloatMode: 240
; IeeeMode: 1
; LDSByteSize: 128 bytes/workgroup (compile time only)
; SGPRBlocks: 3
; VGPRBlocks: 1
; NumSGPRsForWavesPerEU: 26
; NumVGPRsForWavesPerEU: 11
; Occupancy: 16
; WaveLimiterHint : 0
; COMPUTE_PGM_RSRC2:SCRATCH_EN: 0
; COMPUTE_PGM_RSRC2:USER_SGPR: 14
; COMPUTE_PGM_RSRC2:TRAP_HANDLER: 0
; COMPUTE_PGM_RSRC2:TGID_X_EN: 1
; COMPUTE_PGM_RSRC2:TGID_Y_EN: 0
; COMPUTE_PGM_RSRC2:TGID_Z_EN: 1
; COMPUTE_PGM_RSRC2:TIDIG_COMP_CNT: 0
	.section	.text._ZL18rocblas_dot_kernelIiLb1ELi1024ELi32ELb1EfPKffEviT5_lT_lS2_lS3_liPT6_PT4_,"axG",@progbits,_ZL18rocblas_dot_kernelIiLb1ELi1024ELi32ELb1EfPKffEviT5_lT_lS2_lS3_liPT6_PT4_,comdat
	.globl	_ZL18rocblas_dot_kernelIiLb1ELi1024ELi32ELb1EfPKffEviT5_lT_lS2_lS3_liPT6_PT4_ ; -- Begin function _ZL18rocblas_dot_kernelIiLb1ELi1024ELi32ELb1EfPKffEviT5_lT_lS2_lS3_liPT6_PT4_
	.p2align	8
	.type	_ZL18rocblas_dot_kernelIiLb1ELi1024ELi32ELb1EfPKffEviT5_lT_lS2_lS3_liPT6_PT4_,@function
_ZL18rocblas_dot_kernelIiLb1ELi1024ELi32ELb1EfPKffEviT5_lT_lS2_lS3_liPT6_PT4_: ; @_ZL18rocblas_dot_kernelIiLb1ELi1024ELi32ELb1EfPKffEviT5_lT_lS2_lS3_liPT6_PT4_
; %bb.0:
	s_clause 0x1
	s_load_b32 s10, s[0:1], 0x0
	s_load_b64 s[2:3], s[0:1], 0x58
	v_mov_b32_e32 v5, 0
	s_mov_b32 s8, s15
	s_mov_b32 s9, 0
	s_mov_b32 s11, exec_lo
	s_waitcnt lgkmcnt(0)
	v_cmpx_gt_i32_e64 s10, v0
	s_cbranch_execz .LBB597_4
; %bb.1:
	s_clause 0x6
	s_load_b32 s20, s[0:1], 0x60
	s_load_b128 s[4:7], s[0:1], 0x20
	s_load_b32 s22, s[0:1], 0x18
	s_load_b128 s[12:15], s[0:1], 0x8
	s_load_b64 s[16:17], s[0:1], 0x40
	s_load_b32 s23, s[0:1], 0x38
	s_load_b64 s[18:19], s[0:1], 0x30
	v_mov_b32_e32 v5, 0
	s_waitcnt lgkmcnt(0)
	s_lshl_b32 s1, s20, 10
	s_mul_i32 s0, s5, s8
	v_mad_i64_i32 v[1:2], null, s22, v0, 0
	s_mul_hi_u32 s5, s4, s8
	s_mul_i32 s4, s4, s8
	v_mad_i64_i32 v[3:4], null, s23, v0, 0
	s_add_i32 s5, s5, s0
	s_lshl_b64 s[14:15], s[14:15], 2
	s_delay_alu instid0(VALU_DEP_2)
	v_lshlrev_b64 v[1:2], 2, v[1:2]
	s_lshl_b64 s[4:5], s[4:5], 2
	s_add_u32 s0, s12, s14
	s_addc_u32 s12, s13, s15
	s_mul_i32 s17, s17, s8
	s_mul_hi_u32 s24, s16, s8
	s_add_u32 s0, s0, s4
	s_mul_i32 s16, s16, s8
	s_mul_hi_i32 s21, s22, s1
	s_mul_i32 s20, s22, s1
	s_addc_u32 s12, s12, s5
	s_add_i32 s17, s24, s17
	v_add_co_u32 v1, vcc_lo, s0, v1
	s_lshl_b64 s[14:15], s[18:19], 2
	v_lshlrev_b64 v[3:4], 2, v[3:4]
	s_lshl_b64 s[4:5], s[20:21], 2
	v_add_co_ci_u32_e32 v2, vcc_lo, s12, v2, vcc_lo
	s_lshl_b64 s[12:13], s[16:17], 2
	s_add_u32 s0, s6, s14
	s_addc_u32 s6, s7, s15
	s_add_u32 s0, s0, s12
	s_addc_u32 s6, s6, s13
	v_add_co_u32 v3, vcc_lo, s0, v3
	v_or_b32_e32 v6, s1, v0
	v_add_co_ci_u32_e32 v4, vcc_lo, s6, v4, vcc_lo
	s_mul_hi_i32 s7, s23, s1
	s_mul_i32 s6, s23, s1
	s_mov_b32 s12, s9
	s_lshl_b64 s[6:7], s[6:7], 2
	s_mov_b32 s13, s9
	.p2align	6
.LBB597_2:                              ; =>This Inner Loop Header: Depth=1
	global_load_b32 v7, v[3:4], off
	global_load_b32 v8, v[1:2], off
	v_add_co_u32 v1, s0, v1, s4
	s_delay_alu instid0(VALU_DEP_1)
	v_add_co_ci_u32_e64 v2, s0, s5, v2, s0
	s_add_i32 s14, s13, 1
	v_cmp_le_i32_e32 vcc_lo, s10, v6
	v_add_co_u32 v3, s0, v3, s6
	s_cmp_gt_u32 s13, 30
	v_add_co_ci_u32_e64 v4, s0, s7, v4, s0
	s_cselect_b32 s0, -1, 0
	v_add_nc_u32_e32 v6, s1, v6
	s_or_b32 s0, s0, vcc_lo
	s_mov_b32 s13, s14
	s_and_b32 s0, exec_lo, s0
	s_delay_alu instid0(SALU_CYCLE_1)
	s_or_b32 s12, s0, s12
	s_waitcnt vmcnt(0)
	v_fmac_f32_e32 v5, v7, v8
	s_and_not1_b32 exec_lo, exec_lo, s12
	s_cbranch_execnz .LBB597_2
; %bb.3:
	s_or_b32 exec_lo, exec_lo, s12
.LBB597_4:
	s_delay_alu instid0(SALU_CYCLE_1) | instskip(SKIP_2) | instid1(VALU_DEP_2)
	s_or_b32 exec_lo, exec_lo, s11
	v_and_b32_e32 v7, 31, v0
	v_cmp_gt_u32_e32 vcc_lo, 32, v0
	v_lshlrev_b32_e32 v1, 2, v7
	s_and_saveexec_b32 s0, vcc_lo
	s_cbranch_execz .LBB597_6
; %bb.5:
	v_mov_b32_e32 v2, 0
	ds_store_b32 v1, v2
.LBB597_6:
	s_or_b32 exec_lo, exec_lo, s0
	v_mbcnt_lo_u32_b32 v6, -1, 0
	s_mov_b32 s1, exec_lo
	s_waitcnt lgkmcnt(0)
	s_barrier
	buffer_gl0_inv
	v_cmp_gt_u32_e64 s0, 16, v6
	s_delay_alu instid0(VALU_DEP_1) | instskip(SKIP_1) | instid1(VALU_DEP_2)
	v_cndmask_b32_e64 v2, 0, 1, s0
	v_cmp_gt_u32_e64 s0, 24, v6
	v_lshlrev_b32_e32 v2, 4, v2
	s_delay_alu instid0(VALU_DEP_2) | instskip(SKIP_1) | instid1(VALU_DEP_3)
	v_cndmask_b32_e64 v3, 0, 1, s0
	v_cmp_gt_u32_e64 s0, 28, v6
	v_add_lshl_u32 v2, v2, v6, 2
	ds_bpermute_b32 v4, v2, v5
	s_waitcnt lgkmcnt(0)
	v_add_f32_e32 v5, v5, v4
	v_lshlrev_b32_e32 v3, 3, v3
	v_cndmask_b32_e64 v4, 0, 1, s0
	v_cmp_gt_u32_e64 s0, 30, v6
	s_delay_alu instid0(VALU_DEP_3) | instskip(NEXT) | instid1(VALU_DEP_3)
	v_add_lshl_u32 v3, v3, v6, 2
	v_lshlrev_b32_e32 v4, 2, v4
	ds_bpermute_b32 v8, v3, v5
	v_add_lshl_u32 v4, v4, v6, 2
	s_waitcnt lgkmcnt(0)
	v_add_f32_e32 v8, v5, v8
	v_cndmask_b32_e64 v5, 0, 1, s0
	v_cmp_ne_u32_e64 s0, 31, v6
	ds_bpermute_b32 v9, v4, v8
	v_lshlrev_b32_e32 v5, 1, v5
	s_delay_alu instid0(VALU_DEP_1) | instskip(SKIP_1) | instid1(VALU_DEP_1)
	v_add_lshl_u32 v5, v5, v6, 2
	v_add_co_ci_u32_e64 v6, s0, 0, v6, s0
	v_lshlrev_b32_e32 v6, 2, v6
	s_waitcnt lgkmcnt(0)
	v_add_f32_e32 v8, v8, v9
	ds_bpermute_b32 v9, v5, v8
	s_waitcnt lgkmcnt(0)
	v_add_f32_e32 v8, v8, v9
	ds_bpermute_b32 v9, v6, v8
	v_cmpx_eq_u32_e32 0, v7
	s_cbranch_execz .LBB597_8
; %bb.7:
	v_lshrrev_b32_e32 v7, 3, v0
	s_waitcnt lgkmcnt(0)
	s_delay_alu instid0(VALU_DEP_1)
	v_dual_add_f32 v8, v8, v9 :: v_dual_and_b32 v7, 0x7c, v7
	ds_store_b32 v7, v8
.LBB597_8:
	s_or_b32 exec_lo, exec_lo, s1
	v_mov_b32_e32 v7, 0
	s_waitcnt lgkmcnt(0)
	s_barrier
	buffer_gl0_inv
	s_and_saveexec_b32 s0, vcc_lo
	s_cbranch_execz .LBB597_10
; %bb.9:
	ds_load_b32 v7, v1
.LBB597_10:
	s_or_b32 exec_lo, exec_lo, s0
	s_and_saveexec_b32 s0, vcc_lo
	s_cbranch_execz .LBB597_12
; %bb.11:
	s_waitcnt lgkmcnt(0)
	ds_bpermute_b32 v1, v2, v7
	s_waitcnt lgkmcnt(0)
	v_add_f32_e32 v1, v7, v1
	ds_bpermute_b32 v2, v3, v1
	s_waitcnt lgkmcnt(0)
	v_add_f32_e32 v1, v1, v2
	ds_bpermute_b32 v2, v4, v1
	s_waitcnt lgkmcnt(0)
	v_add_f32_e32 v1, v1, v2
	ds_bpermute_b32 v2, v5, v1
	s_waitcnt lgkmcnt(0)
	v_add_f32_e32 v1, v1, v2
	ds_bpermute_b32 v2, v6, v1
	s_waitcnt lgkmcnt(0)
	v_add_f32_e32 v7, v1, v2
.LBB597_12:
	s_or_b32 exec_lo, exec_lo, s0
	s_delay_alu instid0(SALU_CYCLE_1)
	s_mov_b32 s0, exec_lo
	v_cmpx_eq_u32_e32 0, v0
	s_cbranch_execz .LBB597_14
; %bb.13:
	s_lshl_b64 s[0:1], s[8:9], 2
	v_mov_b32_e32 v0, 0
	s_add_u32 s0, s2, s0
	s_addc_u32 s1, s3, s1
	s_waitcnt lgkmcnt(0)
	global_store_b32 v0, v7, s[0:1]
.LBB597_14:
	s_nop 0
	s_sendmsg sendmsg(MSG_DEALLOC_VGPRS)
	s_endpgm
	.section	.rodata,"a",@progbits
	.p2align	6, 0x0
	.amdhsa_kernel _ZL18rocblas_dot_kernelIiLb1ELi1024ELi32ELb1EfPKffEviT5_lT_lS2_lS3_liPT6_PT4_
		.amdhsa_group_segment_fixed_size 128
		.amdhsa_private_segment_fixed_size 0
		.amdhsa_kernarg_size 352
		.amdhsa_user_sgpr_count 14
		.amdhsa_user_sgpr_dispatch_ptr 0
		.amdhsa_user_sgpr_queue_ptr 0
		.amdhsa_user_sgpr_kernarg_segment_ptr 1
		.amdhsa_user_sgpr_dispatch_id 0
		.amdhsa_user_sgpr_private_segment_size 0
		.amdhsa_wavefront_size32 1
		.amdhsa_uses_dynamic_stack 0
		.amdhsa_enable_private_segment 0
		.amdhsa_system_sgpr_workgroup_id_x 1
		.amdhsa_system_sgpr_workgroup_id_y 0
		.amdhsa_system_sgpr_workgroup_id_z 1
		.amdhsa_system_sgpr_workgroup_info 0
		.amdhsa_system_vgpr_workitem_id 0
		.amdhsa_next_free_vgpr 10
		.amdhsa_next_free_sgpr 25
		.amdhsa_reserve_vcc 1
		.amdhsa_float_round_mode_32 0
		.amdhsa_float_round_mode_16_64 0
		.amdhsa_float_denorm_mode_32 3
		.amdhsa_float_denorm_mode_16_64 3
		.amdhsa_dx10_clamp 1
		.amdhsa_ieee_mode 1
		.amdhsa_fp16_overflow 0
		.amdhsa_workgroup_processor_mode 1
		.amdhsa_memory_ordered 1
		.amdhsa_forward_progress 0
		.amdhsa_shared_vgpr_count 0
		.amdhsa_exception_fp_ieee_invalid_op 0
		.amdhsa_exception_fp_denorm_src 0
		.amdhsa_exception_fp_ieee_div_zero 0
		.amdhsa_exception_fp_ieee_overflow 0
		.amdhsa_exception_fp_ieee_underflow 0
		.amdhsa_exception_fp_ieee_inexact 0
		.amdhsa_exception_int_div_zero 0
	.end_amdhsa_kernel
	.section	.text._ZL18rocblas_dot_kernelIiLb1ELi1024ELi32ELb1EfPKffEviT5_lT_lS2_lS3_liPT6_PT4_,"axG",@progbits,_ZL18rocblas_dot_kernelIiLb1ELi1024ELi32ELb1EfPKffEviT5_lT_lS2_lS3_liPT6_PT4_,comdat
.Lfunc_end597:
	.size	_ZL18rocblas_dot_kernelIiLb1ELi1024ELi32ELb1EfPKffEviT5_lT_lS2_lS3_liPT6_PT4_, .Lfunc_end597-_ZL18rocblas_dot_kernelIiLb1ELi1024ELi32ELb1EfPKffEviT5_lT_lS2_lS3_liPT6_PT4_
                                        ; -- End function
	.section	.AMDGPU.csdata,"",@progbits
; Kernel info:
; codeLenInByte = 940
; NumSgprs: 27
; NumVgprs: 10
; ScratchSize: 0
; MemoryBound: 0
; FloatMode: 240
; IeeeMode: 1
; LDSByteSize: 128 bytes/workgroup (compile time only)
; SGPRBlocks: 3
; VGPRBlocks: 1
; NumSGPRsForWavesPerEU: 27
; NumVGPRsForWavesPerEU: 10
; Occupancy: 16
; WaveLimiterHint : 0
; COMPUTE_PGM_RSRC2:SCRATCH_EN: 0
; COMPUTE_PGM_RSRC2:USER_SGPR: 14
; COMPUTE_PGM_RSRC2:TRAP_HANDLER: 0
; COMPUTE_PGM_RSRC2:TGID_X_EN: 1
; COMPUTE_PGM_RSRC2:TGID_Y_EN: 0
; COMPUTE_PGM_RSRC2:TGID_Z_EN: 1
; COMPUTE_PGM_RSRC2:TIDIG_COMP_CNT: 0
	.section	.text._ZL24rocblas_dot_kernel_magsqIiLb1ELi1024ELi32ELb1EfPKffEviT5_lT_liPT6_PT4_,"axG",@progbits,_ZL24rocblas_dot_kernel_magsqIiLb1ELi1024ELi32ELb1EfPKffEviT5_lT_liPT6_PT4_,comdat
	.globl	_ZL24rocblas_dot_kernel_magsqIiLb1ELi1024ELi32ELb1EfPKffEviT5_lT_liPT6_PT4_ ; -- Begin function _ZL24rocblas_dot_kernel_magsqIiLb1ELi1024ELi32ELb1EfPKffEviT5_lT_liPT6_PT4_
	.p2align	8
	.type	_ZL24rocblas_dot_kernel_magsqIiLb1ELi1024ELi32ELb1EfPKffEviT5_lT_liPT6_PT4_,@function
_ZL24rocblas_dot_kernel_magsqIiLb1ELi1024ELi32ELb1EfPKffEviT5_lT_liPT6_PT4_: ; @_ZL24rocblas_dot_kernel_magsqIiLb1ELi1024ELi32ELb1EfPKffEviT5_lT_liPT6_PT4_
; %bb.0:
	s_clause 0x1
	s_load_b32 s8, s[0:1], 0x0
	s_load_b64 s[2:3], s[0:1], 0x38
	v_mov_b32_e32 v3, 0
	s_mov_b32 s4, s15
	s_mov_b32 s5, 0
	s_mov_b32 s9, exec_lo
	s_waitcnt lgkmcnt(0)
	v_cmpx_gt_i32_e64 s8, v0
	s_cbranch_execz .LBB598_4
; %bb.1:
	s_clause 0x3
	s_load_b32 s10, s[0:1], 0x40
	s_load_b64 s[6:7], s[0:1], 0x20
	s_load_b32 s16, s[0:1], 0x18
	s_load_b128 s[12:15], s[0:1], 0x8
	v_mov_b32_e32 v3, 0
	s_waitcnt lgkmcnt(0)
	s_lshl_b32 s1, s10, 10
	s_mul_i32 s0, s7, s4
	v_mad_i64_i32 v[1:2], null, s16, v0, 0
	s_mul_hi_u32 s7, s6, s4
	s_mul_i32 s6, s6, s4
	s_add_i32 s7, s7, s0
	s_lshl_b64 s[10:11], s[14:15], 2
	s_lshl_b64 s[6:7], s[6:7], 2
	s_add_u32 s0, s12, s10
	s_delay_alu instid0(VALU_DEP_1)
	v_lshlrev_b64 v[1:2], 2, v[1:2]
	s_addc_u32 s10, s13, s11
	s_add_u32 s0, s0, s6
	s_addc_u32 s6, s10, s7
	v_or_b32_e32 v4, s1, v0
	s_mul_hi_i32 s15, s16, s1
	v_add_co_u32 v1, vcc_lo, s0, v1
	v_add_co_ci_u32_e32 v2, vcc_lo, s6, v2, vcc_lo
	s_mul_i32 s14, s16, s1
	s_mov_b32 s10, s5
	s_lshl_b64 s[6:7], s[14:15], 2
	s_mov_b32 s11, s5
	.p2align	6
.LBB598_2:                              ; =>This Inner Loop Header: Depth=1
	global_load_b32 v5, v[1:2], off
	s_add_i32 s12, s11, 1
	v_cmp_le_i32_e32 vcc_lo, s8, v4
	v_add_co_u32 v1, s0, v1, s6
	s_cmp_gt_u32 s11, 30
	v_add_co_ci_u32_e64 v2, s0, s7, v2, s0
	s_cselect_b32 s0, -1, 0
	v_add_nc_u32_e32 v4, s1, v4
	s_or_b32 s0, s0, vcc_lo
	s_mov_b32 s11, s12
	s_and_b32 s0, exec_lo, s0
	s_delay_alu instid0(SALU_CYCLE_1)
	s_or_b32 s10, s0, s10
	s_waitcnt vmcnt(0)
	v_fmac_f32_e32 v3, v5, v5
	s_and_not1_b32 exec_lo, exec_lo, s10
	s_cbranch_execnz .LBB598_2
; %bb.3:
	s_or_b32 exec_lo, exec_lo, s10
.LBB598_4:
	s_delay_alu instid0(SALU_CYCLE_1) | instskip(SKIP_2) | instid1(VALU_DEP_2)
	s_or_b32 exec_lo, exec_lo, s9
	v_and_b32_e32 v7, 31, v0
	v_cmp_gt_u32_e32 vcc_lo, 32, v0
	v_lshlrev_b32_e32 v1, 2, v7
	s_and_saveexec_b32 s0, vcc_lo
	s_cbranch_execz .LBB598_6
; %bb.5:
	v_mov_b32_e32 v2, 0
	ds_store_b32 v1, v2
.LBB598_6:
	s_or_b32 exec_lo, exec_lo, s0
	v_mbcnt_lo_u32_b32 v6, -1, 0
	s_mov_b32 s1, exec_lo
	s_waitcnt lgkmcnt(0)
	s_barrier
	buffer_gl0_inv
	v_cmp_gt_u32_e64 s0, 16, v6
	s_delay_alu instid0(VALU_DEP_1) | instskip(SKIP_1) | instid1(VALU_DEP_2)
	v_cndmask_b32_e64 v2, 0, 1, s0
	v_cmp_gt_u32_e64 s0, 24, v6
	v_lshlrev_b32_e32 v2, 4, v2
	s_delay_alu instid0(VALU_DEP_2) | instskip(SKIP_1) | instid1(VALU_DEP_3)
	v_cndmask_b32_e64 v4, 0, 1, s0
	v_cmp_gt_u32_e64 s0, 28, v6
	v_add_lshl_u32 v2, v2, v6, 2
	s_delay_alu instid0(VALU_DEP_3)
	v_lshlrev_b32_e32 v4, 3, v4
	ds_bpermute_b32 v5, v2, v3
	v_add_lshl_u32 v4, v4, v6, 2
	s_waitcnt lgkmcnt(0)
	v_add_f32_e32 v5, v3, v5
	v_cndmask_b32_e64 v3, 0, 1, s0
	v_cmp_gt_u32_e64 s0, 30, v6
	ds_bpermute_b32 v8, v4, v5
	s_waitcnt lgkmcnt(0)
	v_dual_add_f32 v8, v5, v8 :: v_dual_lshlrev_b32 v3, 2, v3
	s_delay_alu instid0(VALU_DEP_1) | instskip(SKIP_4) | instid1(VALU_DEP_1)
	v_add_lshl_u32 v3, v3, v6, 2
	v_cndmask_b32_e64 v5, 0, 1, s0
	v_cmp_ne_u32_e64 s0, 31, v6
	ds_bpermute_b32 v9, v3, v8
	v_lshlrev_b32_e32 v5, 1, v5
	v_add_lshl_u32 v5, v5, v6, 2
	v_add_co_ci_u32_e64 v6, s0, 0, v6, s0
	s_delay_alu instid0(VALU_DEP_1)
	v_lshlrev_b32_e32 v6, 2, v6
	s_waitcnt lgkmcnt(0)
	v_add_f32_e32 v8, v8, v9
	ds_bpermute_b32 v9, v5, v8
	s_waitcnt lgkmcnt(0)
	v_add_f32_e32 v8, v8, v9
	ds_bpermute_b32 v9, v6, v8
	v_cmpx_eq_u32_e32 0, v7
	s_cbranch_execz .LBB598_8
; %bb.7:
	v_lshrrev_b32_e32 v7, 3, v0
	s_waitcnt lgkmcnt(0)
	s_delay_alu instid0(VALU_DEP_1)
	v_dual_add_f32 v8, v8, v9 :: v_dual_and_b32 v7, 0x7c, v7
	ds_store_b32 v7, v8
.LBB598_8:
	s_or_b32 exec_lo, exec_lo, s1
	v_mov_b32_e32 v7, 0
	s_waitcnt lgkmcnt(0)
	s_barrier
	buffer_gl0_inv
	s_and_saveexec_b32 s0, vcc_lo
	s_cbranch_execz .LBB598_10
; %bb.9:
	ds_load_b32 v7, v1
.LBB598_10:
	s_or_b32 exec_lo, exec_lo, s0
	s_and_saveexec_b32 s0, vcc_lo
	s_cbranch_execz .LBB598_12
; %bb.11:
	s_waitcnt lgkmcnt(0)
	ds_bpermute_b32 v1, v2, v7
	s_waitcnt lgkmcnt(0)
	v_add_f32_e32 v1, v7, v1
	ds_bpermute_b32 v2, v4, v1
	s_waitcnt lgkmcnt(0)
	v_add_f32_e32 v1, v1, v2
	;; [unrolled: 3-line block ×5, first 2 shown]
.LBB598_12:
	s_or_b32 exec_lo, exec_lo, s0
	s_delay_alu instid0(SALU_CYCLE_1)
	s_mov_b32 s0, exec_lo
	v_cmpx_eq_u32_e32 0, v0
	s_cbranch_execz .LBB598_14
; %bb.13:
	s_lshl_b64 s[0:1], s[4:5], 2
	v_mov_b32_e32 v0, 0
	s_add_u32 s0, s2, s0
	s_addc_u32 s1, s3, s1
	s_waitcnt lgkmcnt(0)
	global_store_b32 v0, v7, s[0:1]
.LBB598_14:
	s_nop 0
	s_sendmsg sendmsg(MSG_DEALLOC_VGPRS)
	s_endpgm
	.section	.rodata,"a",@progbits
	.p2align	6, 0x0
	.amdhsa_kernel _ZL24rocblas_dot_kernel_magsqIiLb1ELi1024ELi32ELb1EfPKffEviT5_lT_liPT6_PT4_
		.amdhsa_group_segment_fixed_size 128
		.amdhsa_private_segment_fixed_size 0
		.amdhsa_kernarg_size 320
		.amdhsa_user_sgpr_count 14
		.amdhsa_user_sgpr_dispatch_ptr 0
		.amdhsa_user_sgpr_queue_ptr 0
		.amdhsa_user_sgpr_kernarg_segment_ptr 1
		.amdhsa_user_sgpr_dispatch_id 0
		.amdhsa_user_sgpr_private_segment_size 0
		.amdhsa_wavefront_size32 1
		.amdhsa_uses_dynamic_stack 0
		.amdhsa_enable_private_segment 0
		.amdhsa_system_sgpr_workgroup_id_x 1
		.amdhsa_system_sgpr_workgroup_id_y 0
		.amdhsa_system_sgpr_workgroup_id_z 1
		.amdhsa_system_sgpr_workgroup_info 0
		.amdhsa_system_vgpr_workitem_id 0
		.amdhsa_next_free_vgpr 10
		.amdhsa_next_free_sgpr 17
		.amdhsa_reserve_vcc 1
		.amdhsa_float_round_mode_32 0
		.amdhsa_float_round_mode_16_64 0
		.amdhsa_float_denorm_mode_32 3
		.amdhsa_float_denorm_mode_16_64 3
		.amdhsa_dx10_clamp 1
		.amdhsa_ieee_mode 1
		.amdhsa_fp16_overflow 0
		.amdhsa_workgroup_processor_mode 1
		.amdhsa_memory_ordered 1
		.amdhsa_forward_progress 0
		.amdhsa_shared_vgpr_count 0
		.amdhsa_exception_fp_ieee_invalid_op 0
		.amdhsa_exception_fp_denorm_src 0
		.amdhsa_exception_fp_ieee_div_zero 0
		.amdhsa_exception_fp_ieee_overflow 0
		.amdhsa_exception_fp_ieee_underflow 0
		.amdhsa_exception_fp_ieee_inexact 0
		.amdhsa_exception_int_div_zero 0
	.end_amdhsa_kernel
	.section	.text._ZL24rocblas_dot_kernel_magsqIiLb1ELi1024ELi32ELb1EfPKffEviT5_lT_liPT6_PT4_,"axG",@progbits,_ZL24rocblas_dot_kernel_magsqIiLb1ELi1024ELi32ELb1EfPKffEviT5_lT_liPT6_PT4_,comdat
.Lfunc_end598:
	.size	_ZL24rocblas_dot_kernel_magsqIiLb1ELi1024ELi32ELb1EfPKffEviT5_lT_liPT6_PT4_, .Lfunc_end598-_ZL24rocblas_dot_kernel_magsqIiLb1ELi1024ELi32ELb1EfPKffEviT5_lT_liPT6_PT4_
                                        ; -- End function
	.section	.AMDGPU.csdata,"",@progbits
; Kernel info:
; codeLenInByte = 812
; NumSgprs: 19
; NumVgprs: 10
; ScratchSize: 0
; MemoryBound: 0
; FloatMode: 240
; IeeeMode: 1
; LDSByteSize: 128 bytes/workgroup (compile time only)
; SGPRBlocks: 2
; VGPRBlocks: 1
; NumSGPRsForWavesPerEU: 19
; NumVGPRsForWavesPerEU: 10
; Occupancy: 16
; WaveLimiterHint : 0
; COMPUTE_PGM_RSRC2:SCRATCH_EN: 0
; COMPUTE_PGM_RSRC2:USER_SGPR: 14
; COMPUTE_PGM_RSRC2:TRAP_HANDLER: 0
; COMPUTE_PGM_RSRC2:TGID_X_EN: 1
; COMPUTE_PGM_RSRC2:TGID_Y_EN: 0
; COMPUTE_PGM_RSRC2:TGID_Z_EN: 1
; COMPUTE_PGM_RSRC2:TIDIG_COMP_CNT: 0
	.section	.text._ZL23rocblas_dot_kernel_inc1ILb0ELi512ELi4ELb1EfPKffEviT4_llS2_lliPT5_PT3_,"axG",@progbits,_ZL23rocblas_dot_kernel_inc1ILb0ELi512ELi4ELb1EfPKffEviT4_llS2_lliPT5_PT3_,comdat
	.globl	_ZL23rocblas_dot_kernel_inc1ILb0ELi512ELi4ELb1EfPKffEviT4_llS2_lliPT5_PT3_ ; -- Begin function _ZL23rocblas_dot_kernel_inc1ILb0ELi512ELi4ELb1EfPKffEviT4_llS2_lliPT5_PT3_
	.p2align	8
	.type	_ZL23rocblas_dot_kernel_inc1ILb0ELi512ELi4ELb1EfPKffEviT4_llS2_lliPT5_PT3_,@function
_ZL23rocblas_dot_kernel_inc1ILb0ELi512ELi4ELb1EfPKffEviT4_llS2_lliPT5_PT3_: ; @_ZL23rocblas_dot_kernel_inc1ILb0ELi512ELi4ELb1EfPKffEviT4_llS2_lliPT5_PT3_
; %bb.0:
	s_clause 0x2
	s_load_b32 s12, s[0:1], 0x50
	s_load_b32 s13, s[0:1], 0x0
	s_load_b128 s[4:7], s[0:1], 0x40
	v_lshl_or_b32 v1, s14, 9, v0
	v_mov_b32_e32 v4, 0
	s_mov_b32 s2, s15
	s_mov_b32 s3, 0
	s_mov_b32 s15, exec_lo
	s_waitcnt lgkmcnt(0)
	v_cmpx_gt_i32_e64 s13, v1
	s_cbranch_execz .LBB599_4
; %bb.1:
	s_clause 0x3
	s_load_b128 s[8:11], s[0:1], 0x10
	s_load_b128 s[20:23], s[0:1], 0x28
	s_load_b64 s[16:17], s[0:1], 0x8
	s_load_b64 s[18:19], s[0:1], 0x20
	v_ashrrev_i32_e32 v2, 31, v1
	s_delay_alu instid0(VALU_DEP_1)
	v_lshlrev_b64 v[2:3], 2, v[1:2]
	s_waitcnt lgkmcnt(0)
	s_mul_i32 s1, s2, s11
	s_mul_hi_u32 s11, s2, s10
	s_mul_i32 s0, s2, s10
	s_add_i32 s1, s11, s1
	s_mul_i32 s11, s2, s23
	s_lshl_b64 s[0:1], s[0:1], 2
	s_mul_hi_u32 s23, s2, s22
	s_add_u32 s0, s16, s0
	s_addc_u32 s16, s17, s1
	s_lshl_b64 s[8:9], s[8:9], 2
	s_mul_i32 s10, s2, s22
	s_add_u32 s1, s0, s8
	s_addc_u32 s16, s16, s9
	s_add_i32 s11, s23, s11
	s_delay_alu instid0(SALU_CYCLE_1) | instskip(NEXT) | instid1(SALU_CYCLE_1)
	s_lshl_b64 s[8:9], s[10:11], 2
	s_add_u32 s0, s18, s8
	s_addc_u32 s10, s19, s9
	s_lshl_b64 s[8:9], s[20:21], 2
	s_mov_b32 s19, s3
	s_add_u32 s17, s0, s8
	s_addc_u32 s18, s10, s9
	s_lshl_b32 s8, s12, 9
	s_delay_alu instid0(SALU_CYCLE_1) | instskip(SKIP_1) | instid1(SALU_CYCLE_1)
	v_dual_mov_b32 v4, 0 :: v_dual_add_nc_u32 v1, s8, v1
	s_ashr_i32 s9, s8, 31
	s_lshl_b64 s[10:11], s[8:9], 2
	s_mov_b32 s9, s3
	.p2align	6
.LBB599_2:                              ; =>This Inner Loop Header: Depth=1
	v_add_co_u32 v5, vcc_lo, s17, v2
	v_add_co_ci_u32_e32 v6, vcc_lo, s18, v3, vcc_lo
	v_add_co_u32 v7, vcc_lo, s1, v2
	v_add_co_ci_u32_e32 v8, vcc_lo, s16, v3, vcc_lo
	s_add_i32 s20, s19, 1
	global_load_b32 v5, v[5:6], off
	global_load_b32 v6, v[7:8], off
	v_cmp_le_i32_e32 vcc_lo, s13, v1
	v_add_co_u32 v2, s0, v2, s10
	s_cmp_gt_u32 s19, 2
	v_add_co_ci_u32_e64 v3, s0, s11, v3, s0
	s_cselect_b32 s0, -1, 0
	v_add_nc_u32_e32 v1, s8, v1
	s_or_b32 s0, s0, vcc_lo
	s_mov_b32 s19, s20
	s_and_b32 s0, exec_lo, s0
	s_delay_alu instid0(SALU_CYCLE_1)
	s_or_b32 s9, s0, s9
	s_waitcnt vmcnt(0)
	v_fmac_f32_e32 v4, v5, v6
	s_and_not1_b32 exec_lo, exec_lo, s9
	s_cbranch_execnz .LBB599_2
; %bb.3:
	s_or_b32 exec_lo, exec_lo, s9
.LBB599_4:
	s_delay_alu instid0(SALU_CYCLE_1) | instskip(SKIP_2) | instid1(VALU_DEP_2)
	s_or_b32 exec_lo, exec_lo, s15
	v_and_b32_e32 v2, 31, v0
	v_cmp_gt_u32_e32 vcc_lo, 32, v0
	v_lshlrev_b32_e32 v1, 2, v2
	s_and_saveexec_b32 s0, vcc_lo
	s_cbranch_execz .LBB599_6
; %bb.5:
	v_mov_b32_e32 v3, 0
	ds_store_b32 v1, v3
.LBB599_6:
	s_or_b32 exec_lo, exec_lo, s0
	v_mbcnt_lo_u32_b32 v6, -1, 0
	s_mov_b32 s1, exec_lo
	s_waitcnt lgkmcnt(0)
	s_barrier
	buffer_gl0_inv
	v_cmp_gt_u32_e64 s0, 16, v6
	s_delay_alu instid0(VALU_DEP_1) | instskip(SKIP_1) | instid1(VALU_DEP_2)
	v_cndmask_b32_e64 v3, 0, 1, s0
	v_cmp_gt_u32_e64 s0, 24, v6
	v_lshlrev_b32_e32 v3, 4, v3
	s_delay_alu instid0(VALU_DEP_1) | instskip(SKIP_3) | instid1(VALU_DEP_2)
	v_add_lshl_u32 v3, v3, v6, 2
	ds_bpermute_b32 v5, v3, v4
	v_cndmask_b32_e64 v3, 0, 1, s0
	v_cmp_gt_u32_e64 s0, 28, v6
	v_lshlrev_b32_e32 v3, 3, v3
	s_delay_alu instid0(VALU_DEP_1) | instskip(SKIP_4) | instid1(VALU_DEP_2)
	v_add_lshl_u32 v3, v3, v6, 2
	s_waitcnt lgkmcnt(0)
	v_add_f32_e32 v5, v4, v5
	v_cndmask_b32_e64 v4, 0, 1, s0
	v_cmp_gt_u32_e64 s0, 30, v6
	v_lshlrev_b32_e32 v4, 2, v4
	ds_bpermute_b32 v7, v3, v5
	v_add_lshl_u32 v4, v4, v6, 2
	s_waitcnt lgkmcnt(0)
	v_add_f32_e32 v7, v5, v7
	v_cndmask_b32_e64 v5, 0, 1, s0
	v_cmp_ne_u32_e64 s0, 31, v6
	s_delay_alu instid0(VALU_DEP_2) | instskip(NEXT) | instid1(VALU_DEP_1)
	v_lshlrev_b32_e32 v5, 1, v5
	v_add_lshl_u32 v5, v5, v6, 2
	s_delay_alu instid0(VALU_DEP_3) | instskip(NEXT) | instid1(VALU_DEP_1)
	v_add_co_ci_u32_e64 v6, s0, 0, v6, s0
	v_lshlrev_b32_e32 v6, 2, v6
	ds_bpermute_b32 v8, v4, v7
	s_waitcnt lgkmcnt(0)
	v_add_f32_e32 v7, v7, v8
	ds_bpermute_b32 v8, v5, v7
	s_waitcnt lgkmcnt(0)
	v_add_f32_e32 v7, v7, v8
	ds_bpermute_b32 v8, v6, v7
	v_cmpx_eq_u32_e32 0, v2
	s_cbranch_execz .LBB599_8
; %bb.7:
	v_lshrrev_b32_e32 v2, 3, v0
	s_waitcnt lgkmcnt(0)
	s_delay_alu instid0(VALU_DEP_1)
	v_dual_add_f32 v7, v7, v8 :: v_dual_and_b32 v2, 60, v2
	ds_store_b32 v2, v7
.LBB599_8:
	s_or_b32 exec_lo, exec_lo, s1
	v_mov_b32_e32 v2, 0
	s_mov_b32 s1, exec_lo
	s_waitcnt lgkmcnt(0)
	s_barrier
	buffer_gl0_inv
	v_cmpx_gt_u32_e32 16, v0
	s_cbranch_execz .LBB599_10
; %bb.9:
	ds_load_b32 v2, v1
.LBB599_10:
	s_or_b32 exec_lo, exec_lo, s1
	s_and_saveexec_b32 s0, vcc_lo
	s_cbranch_execz .LBB599_12
; %bb.11:
	s_waitcnt lgkmcnt(0)
	ds_bpermute_b32 v1, v3, v2
	s_waitcnt lgkmcnt(0)
	v_add_f32_e32 v1, v2, v1
	ds_bpermute_b32 v2, v4, v1
	s_waitcnt lgkmcnt(0)
	v_add_f32_e32 v1, v1, v2
	;; [unrolled: 3-line block ×4, first 2 shown]
.LBB599_12:
	s_or_b32 exec_lo, exec_lo, s0
	s_delay_alu instid0(SALU_CYCLE_1)
	s_mov_b32 s0, exec_lo
	v_cmpx_eq_u32_e32 0, v0
	s_cbranch_execz .LBB599_18
; %bb.13:
	s_cmp_lg_u32 s12, 1
	s_cbranch_scc0 .LBB599_15
; %bb.14:
	s_mul_hi_u32 s1, s12, s2
	s_mul_i32 s0, s12, s2
	s_mov_b32 s15, 0
	s_lshl_b64 s[0:1], s[0:1], 2
	s_delay_alu instid0(SALU_CYCLE_1) | instskip(SKIP_2) | instid1(SALU_CYCLE_1)
	s_add_u32 s4, s4, s0
	s_addc_u32 s5, s5, s1
	s_lshl_b64 s[0:1], s[14:15], 2
	s_add_u32 s0, s4, s0
	s_addc_u32 s1, s5, s1
	s_cbranch_execz .LBB599_16
	s_branch .LBB599_17
.LBB599_15:
                                        ; implicit-def: $sgpr0_sgpr1
.LBB599_16:
	s_lshl_b64 s[0:1], s[2:3], 2
	s_delay_alu instid0(SALU_CYCLE_1)
	s_add_u32 s0, s6, s0
	s_addc_u32 s1, s7, s1
.LBB599_17:
	v_mov_b32_e32 v0, 0
	s_waitcnt lgkmcnt(0)
	global_store_b32 v0, v2, s[0:1]
.LBB599_18:
	s_nop 0
	s_sendmsg sendmsg(MSG_DEALLOC_VGPRS)
	s_endpgm
	.section	.rodata,"a",@progbits
	.p2align	6, 0x0
	.amdhsa_kernel _ZL23rocblas_dot_kernel_inc1ILb0ELi512ELi4ELb1EfPKffEviT4_llS2_lliPT5_PT3_
		.amdhsa_group_segment_fixed_size 128
		.amdhsa_private_segment_fixed_size 0
		.amdhsa_kernarg_size 336
		.amdhsa_user_sgpr_count 14
		.amdhsa_user_sgpr_dispatch_ptr 0
		.amdhsa_user_sgpr_queue_ptr 0
		.amdhsa_user_sgpr_kernarg_segment_ptr 1
		.amdhsa_user_sgpr_dispatch_id 0
		.amdhsa_user_sgpr_private_segment_size 0
		.amdhsa_wavefront_size32 1
		.amdhsa_uses_dynamic_stack 0
		.amdhsa_enable_private_segment 0
		.amdhsa_system_sgpr_workgroup_id_x 1
		.amdhsa_system_sgpr_workgroup_id_y 0
		.amdhsa_system_sgpr_workgroup_id_z 1
		.amdhsa_system_sgpr_workgroup_info 0
		.amdhsa_system_vgpr_workitem_id 0
		.amdhsa_next_free_vgpr 9
		.amdhsa_next_free_sgpr 24
		.amdhsa_reserve_vcc 1
		.amdhsa_float_round_mode_32 0
		.amdhsa_float_round_mode_16_64 0
		.amdhsa_float_denorm_mode_32 3
		.amdhsa_float_denorm_mode_16_64 3
		.amdhsa_dx10_clamp 1
		.amdhsa_ieee_mode 1
		.amdhsa_fp16_overflow 0
		.amdhsa_workgroup_processor_mode 1
		.amdhsa_memory_ordered 1
		.amdhsa_forward_progress 0
		.amdhsa_shared_vgpr_count 0
		.amdhsa_exception_fp_ieee_invalid_op 0
		.amdhsa_exception_fp_denorm_src 0
		.amdhsa_exception_fp_ieee_div_zero 0
		.amdhsa_exception_fp_ieee_overflow 0
		.amdhsa_exception_fp_ieee_underflow 0
		.amdhsa_exception_fp_ieee_inexact 0
		.amdhsa_exception_int_div_zero 0
	.end_amdhsa_kernel
	.section	.text._ZL23rocblas_dot_kernel_inc1ILb0ELi512ELi4ELb1EfPKffEviT4_llS2_lliPT5_PT3_,"axG",@progbits,_ZL23rocblas_dot_kernel_inc1ILb0ELi512ELi4ELb1EfPKffEviT4_llS2_lliPT5_PT3_,comdat
.Lfunc_end599:
	.size	_ZL23rocblas_dot_kernel_inc1ILb0ELi512ELi4ELb1EfPKffEviT4_llS2_lliPT5_PT3_, .Lfunc_end599-_ZL23rocblas_dot_kernel_inc1ILb0ELi512ELi4ELb1EfPKffEviT4_llS2_lliPT5_PT3_
                                        ; -- End function
	.section	.AMDGPU.csdata,"",@progbits
; Kernel info:
; codeLenInByte = 932
; NumSgprs: 26
; NumVgprs: 9
; ScratchSize: 0
; MemoryBound: 0
; FloatMode: 240
; IeeeMode: 1
; LDSByteSize: 128 bytes/workgroup (compile time only)
; SGPRBlocks: 3
; VGPRBlocks: 1
; NumSGPRsForWavesPerEU: 26
; NumVGPRsForWavesPerEU: 9
; Occupancy: 16
; WaveLimiterHint : 0
; COMPUTE_PGM_RSRC2:SCRATCH_EN: 0
; COMPUTE_PGM_RSRC2:USER_SGPR: 14
; COMPUTE_PGM_RSRC2:TRAP_HANDLER: 0
; COMPUTE_PGM_RSRC2:TGID_X_EN: 1
; COMPUTE_PGM_RSRC2:TGID_Y_EN: 0
; COMPUTE_PGM_RSRC2:TGID_Z_EN: 1
; COMPUTE_PGM_RSRC2:TIDIG_COMP_CNT: 0
	.section	.text._ZL18rocblas_dot_kernelIiLb0ELi512ELi4ELb1EfPKffEviT5_lT_lS2_lS3_liPT6_PT4_,"axG",@progbits,_ZL18rocblas_dot_kernelIiLb0ELi512ELi4ELb1EfPKffEviT5_lT_lS2_lS3_liPT6_PT4_,comdat
	.globl	_ZL18rocblas_dot_kernelIiLb0ELi512ELi4ELb1EfPKffEviT5_lT_lS2_lS3_liPT6_PT4_ ; -- Begin function _ZL18rocblas_dot_kernelIiLb0ELi512ELi4ELb1EfPKffEviT5_lT_lS2_lS3_liPT6_PT4_
	.p2align	8
	.type	_ZL18rocblas_dot_kernelIiLb0ELi512ELi4ELb1EfPKffEviT5_lT_lS2_lS3_liPT6_PT4_,@function
_ZL18rocblas_dot_kernelIiLb0ELi512ELi4ELb1EfPKffEviT5_lT_lS2_lS3_liPT6_PT4_: ; @_ZL18rocblas_dot_kernelIiLb0ELi512ELi4ELb1EfPKffEviT5_lT_lS2_lS3_liPT6_PT4_
; %bb.0:
	s_clause 0x2
	s_load_b32 s12, s[0:1], 0x60
	s_load_b32 s13, s[0:1], 0x0
	s_load_b128 s[4:7], s[0:1], 0x50
	v_lshl_or_b32 v1, s14, 9, v0
	v_mov_b32_e32 v6, 0
	s_mov_b32 s2, s15
	s_mov_b32 s3, 0
	s_mov_b32 s15, exec_lo
	s_waitcnt lgkmcnt(0)
	v_cmpx_gt_i32_e64 s13, v1
	s_cbranch_execz .LBB600_4
; %bb.1:
	s_clause 0x5
	s_load_b32 s17, s[0:1], 0x18
	s_load_b128 s[8:11], s[0:1], 0x20
	s_load_b128 s[20:23], s[0:1], 0x8
	s_load_b32 s26, s[0:1], 0x38
	s_load_b64 s[18:19], s[0:1], 0x40
	s_load_b64 s[0:1], s[0:1], 0x30
	s_lshl_b32 s16, s12, 9
	s_delay_alu instid0(SALU_CYCLE_1)
	v_add_nc_u32_e32 v5, s16, v1
	s_waitcnt lgkmcnt(0)
	v_mad_i64_i32 v[2:3], null, s17, v1, 0
	s_mul_i32 s9, s9, s2
	s_mul_hi_u32 s27, s8, s2
	v_mad_i64_i32 v[6:7], null, s26, v1, 0
	s_mul_i32 s8, s8, s2
	s_add_i32 s9, s27, s9
	s_lshl_b64 s[22:23], s[22:23], 2
	s_lshl_b64 s[8:9], s[8:9], 2
	s_add_u32 s20, s20, s22
	s_mul_hi_i32 s25, s17, s16
	s_mul_i32 s24, s17, s16
	s_mul_i32 s17, s19, s2
	s_mul_hi_u32 s19, s18, s2
	s_addc_u32 s21, s21, s23
	v_lshlrev_b64 v[1:2], 2, v[2:3]
	s_add_u32 s20, s20, s8
	s_mul_i32 s18, s18, s2
	s_addc_u32 s21, s21, s9
	s_add_i32 s19, s19, s17
	v_lshlrev_b64 v[3:4], 2, v[6:7]
	v_mov_b32_e32 v6, 0
	s_lshl_b64 s[0:1], s[0:1], 2
	s_lshl_b64 s[8:9], s[24:25], 2
	s_lshl_b64 s[18:19], s[18:19], 2
	s_add_u32 s0, s10, s0
	v_add_co_u32 v1, vcc_lo, s20, v1
	s_addc_u32 s1, s11, s1
	s_add_u32 s0, s0, s18
	v_add_co_ci_u32_e32 v2, vcc_lo, s21, v2, vcc_lo
	s_addc_u32 s1, s1, s19
	v_add_co_u32 v3, vcc_lo, s0, v3
	v_add_co_ci_u32_e32 v4, vcc_lo, s1, v4, vcc_lo
	s_mul_hi_i32 s1, s26, s16
	s_mul_i32 s0, s26, s16
	s_mov_b32 s17, s3
	s_lshl_b64 s[10:11], s[0:1], 2
	s_mov_b32 s1, s3
	.p2align	6
.LBB600_2:                              ; =>This Inner Loop Header: Depth=1
	global_load_b32 v7, v[3:4], off
	global_load_b32 v8, v[1:2], off
	v_add_co_u32 v1, s0, v1, s8
	s_delay_alu instid0(VALU_DEP_1)
	v_add_co_ci_u32_e64 v2, s0, s9, v2, s0
	s_add_i32 s18, s17, 1
	v_cmp_le_i32_e32 vcc_lo, s13, v5
	v_add_co_u32 v3, s0, v3, s10
	s_cmp_gt_u32 s17, 2
	v_add_co_ci_u32_e64 v4, s0, s11, v4, s0
	s_cselect_b32 s0, -1, 0
	v_add_nc_u32_e32 v5, s16, v5
	s_or_b32 s0, s0, vcc_lo
	s_mov_b32 s17, s18
	s_and_b32 s0, exec_lo, s0
	s_delay_alu instid0(SALU_CYCLE_1)
	s_or_b32 s1, s0, s1
	s_waitcnt vmcnt(0)
	v_fmac_f32_e32 v6, v7, v8
	s_and_not1_b32 exec_lo, exec_lo, s1
	s_cbranch_execnz .LBB600_2
; %bb.3:
	s_or_b32 exec_lo, exec_lo, s1
.LBB600_4:
	s_delay_alu instid0(SALU_CYCLE_1) | instskip(SKIP_2) | instid1(VALU_DEP_2)
	s_or_b32 exec_lo, exec_lo, s15
	v_and_b32_e32 v2, 31, v0
	v_cmp_gt_u32_e32 vcc_lo, 32, v0
	v_lshlrev_b32_e32 v1, 2, v2
	s_and_saveexec_b32 s0, vcc_lo
	s_cbranch_execz .LBB600_6
; %bb.5:
	v_mov_b32_e32 v3, 0
	ds_store_b32 v1, v3
.LBB600_6:
	s_or_b32 exec_lo, exec_lo, s0
	v_mbcnt_lo_u32_b32 v7, -1, 0
	s_mov_b32 s1, exec_lo
	s_waitcnt lgkmcnt(0)
	s_barrier
	buffer_gl0_inv
	v_cmp_gt_u32_e64 s0, 16, v7
	s_delay_alu instid0(VALU_DEP_1) | instskip(SKIP_1) | instid1(VALU_DEP_2)
	v_cndmask_b32_e64 v3, 0, 1, s0
	v_cmp_gt_u32_e64 s0, 24, v7
	v_lshlrev_b32_e32 v3, 4, v3
	s_delay_alu instid0(VALU_DEP_1) | instskip(SKIP_3) | instid1(VALU_DEP_2)
	v_add_lshl_u32 v3, v3, v7, 2
	ds_bpermute_b32 v4, v3, v6
	v_cndmask_b32_e64 v3, 0, 1, s0
	v_cmp_gt_u32_e64 s0, 28, v7
	v_lshlrev_b32_e32 v3, 3, v3
	s_delay_alu instid0(VALU_DEP_1)
	v_add_lshl_u32 v3, v3, v7, 2
	s_waitcnt lgkmcnt(0)
	v_add_f32_e32 v5, v6, v4
	v_cndmask_b32_e64 v4, 0, 1, s0
	v_cmp_gt_u32_e64 s0, 30, v7
	ds_bpermute_b32 v6, v3, v5
	v_lshlrev_b32_e32 v4, 2, v4
	s_delay_alu instid0(VALU_DEP_1)
	v_add_lshl_u32 v4, v4, v7, 2
	s_waitcnt lgkmcnt(0)
	v_add_f32_e32 v6, v5, v6
	v_cndmask_b32_e64 v5, 0, 1, s0
	v_cmp_ne_u32_e64 s0, 31, v7
	ds_bpermute_b32 v8, v4, v6
	v_lshlrev_b32_e32 v5, 1, v5
	v_add_co_ci_u32_e64 v9, s0, 0, v7, s0
	s_delay_alu instid0(VALU_DEP_2)
	v_add_lshl_u32 v5, v5, v7, 2
	s_waitcnt lgkmcnt(0)
	v_add_f32_e32 v6, v6, v8
	ds_bpermute_b32 v8, v5, v6
	s_waitcnt lgkmcnt(0)
	v_dual_add_f32 v7, v6, v8 :: v_dual_lshlrev_b32 v6, 2, v9
	ds_bpermute_b32 v8, v6, v7
	v_cmpx_eq_u32_e32 0, v2
	s_cbranch_execz .LBB600_8
; %bb.7:
	v_lshrrev_b32_e32 v2, 3, v0
	s_waitcnt lgkmcnt(0)
	s_delay_alu instid0(VALU_DEP_1)
	v_dual_add_f32 v7, v7, v8 :: v_dual_and_b32 v2, 60, v2
	ds_store_b32 v2, v7
.LBB600_8:
	s_or_b32 exec_lo, exec_lo, s1
	v_mov_b32_e32 v2, 0
	s_mov_b32 s1, exec_lo
	s_waitcnt lgkmcnt(0)
	s_barrier
	buffer_gl0_inv
	v_cmpx_gt_u32_e32 16, v0
	s_cbranch_execz .LBB600_10
; %bb.9:
	ds_load_b32 v2, v1
.LBB600_10:
	s_or_b32 exec_lo, exec_lo, s1
	s_and_saveexec_b32 s0, vcc_lo
	s_cbranch_execz .LBB600_12
; %bb.11:
	s_waitcnt lgkmcnt(0)
	ds_bpermute_b32 v1, v3, v2
	s_waitcnt lgkmcnt(0)
	v_add_f32_e32 v1, v2, v1
	ds_bpermute_b32 v2, v4, v1
	s_waitcnt lgkmcnt(0)
	v_add_f32_e32 v1, v1, v2
	;; [unrolled: 3-line block ×4, first 2 shown]
.LBB600_12:
	s_or_b32 exec_lo, exec_lo, s0
	s_delay_alu instid0(SALU_CYCLE_1)
	s_mov_b32 s0, exec_lo
	v_cmpx_eq_u32_e32 0, v0
	s_cbranch_execz .LBB600_18
; %bb.13:
	s_cmp_lg_u32 s12, 1
	s_cbranch_scc0 .LBB600_15
; %bb.14:
	s_mul_hi_u32 s1, s12, s2
	s_mul_i32 s0, s12, s2
	s_mov_b32 s15, 0
	s_lshl_b64 s[0:1], s[0:1], 2
	s_delay_alu instid0(SALU_CYCLE_1) | instskip(SKIP_2) | instid1(SALU_CYCLE_1)
	s_add_u32 s4, s4, s0
	s_addc_u32 s5, s5, s1
	s_lshl_b64 s[0:1], s[14:15], 2
	s_add_u32 s0, s4, s0
	s_addc_u32 s1, s5, s1
	s_cbranch_execz .LBB600_16
	s_branch .LBB600_17
.LBB600_15:
                                        ; implicit-def: $sgpr0_sgpr1
.LBB600_16:
	s_lshl_b64 s[0:1], s[2:3], 2
	s_delay_alu instid0(SALU_CYCLE_1)
	s_add_u32 s0, s6, s0
	s_addc_u32 s1, s7, s1
.LBB600_17:
	v_mov_b32_e32 v0, 0
	s_waitcnt lgkmcnt(0)
	global_store_b32 v0, v2, s[0:1]
.LBB600_18:
	s_nop 0
	s_sendmsg sendmsg(MSG_DEALLOC_VGPRS)
	s_endpgm
	.section	.rodata,"a",@progbits
	.p2align	6, 0x0
	.amdhsa_kernel _ZL18rocblas_dot_kernelIiLb0ELi512ELi4ELb1EfPKffEviT5_lT_lS2_lS3_liPT6_PT4_
		.amdhsa_group_segment_fixed_size 128
		.amdhsa_private_segment_fixed_size 0
		.amdhsa_kernarg_size 352
		.amdhsa_user_sgpr_count 14
		.amdhsa_user_sgpr_dispatch_ptr 0
		.amdhsa_user_sgpr_queue_ptr 0
		.amdhsa_user_sgpr_kernarg_segment_ptr 1
		.amdhsa_user_sgpr_dispatch_id 0
		.amdhsa_user_sgpr_private_segment_size 0
		.amdhsa_wavefront_size32 1
		.amdhsa_uses_dynamic_stack 0
		.amdhsa_enable_private_segment 0
		.amdhsa_system_sgpr_workgroup_id_x 1
		.amdhsa_system_sgpr_workgroup_id_y 0
		.amdhsa_system_sgpr_workgroup_id_z 1
		.amdhsa_system_sgpr_workgroup_info 0
		.amdhsa_system_vgpr_workitem_id 0
		.amdhsa_next_free_vgpr 10
		.amdhsa_next_free_sgpr 28
		.amdhsa_reserve_vcc 1
		.amdhsa_float_round_mode_32 0
		.amdhsa_float_round_mode_16_64 0
		.amdhsa_float_denorm_mode_32 3
		.amdhsa_float_denorm_mode_16_64 3
		.amdhsa_dx10_clamp 1
		.amdhsa_ieee_mode 1
		.amdhsa_fp16_overflow 0
		.amdhsa_workgroup_processor_mode 1
		.amdhsa_memory_ordered 1
		.amdhsa_forward_progress 0
		.amdhsa_shared_vgpr_count 0
		.amdhsa_exception_fp_ieee_invalid_op 0
		.amdhsa_exception_fp_denorm_src 0
		.amdhsa_exception_fp_ieee_div_zero 0
		.amdhsa_exception_fp_ieee_overflow 0
		.amdhsa_exception_fp_ieee_underflow 0
		.amdhsa_exception_fp_ieee_inexact 0
		.amdhsa_exception_int_div_zero 0
	.end_amdhsa_kernel
	.section	.text._ZL18rocblas_dot_kernelIiLb0ELi512ELi4ELb1EfPKffEviT5_lT_lS2_lS3_liPT6_PT4_,"axG",@progbits,_ZL18rocblas_dot_kernelIiLb0ELi512ELi4ELb1EfPKffEviT5_lT_lS2_lS3_liPT6_PT4_,comdat
.Lfunc_end600:
	.size	_ZL18rocblas_dot_kernelIiLb0ELi512ELi4ELb1EfPKffEviT5_lT_lS2_lS3_liPT6_PT4_, .Lfunc_end600-_ZL18rocblas_dot_kernelIiLb0ELi512ELi4ELb1EfPKffEviT5_lT_lS2_lS3_liPT6_PT4_
                                        ; -- End function
	.section	.AMDGPU.csdata,"",@progbits
; Kernel info:
; codeLenInByte = 996
; NumSgprs: 30
; NumVgprs: 10
; ScratchSize: 0
; MemoryBound: 0
; FloatMode: 240
; IeeeMode: 1
; LDSByteSize: 128 bytes/workgroup (compile time only)
; SGPRBlocks: 3
; VGPRBlocks: 1
; NumSGPRsForWavesPerEU: 30
; NumVGPRsForWavesPerEU: 10
; Occupancy: 16
; WaveLimiterHint : 0
; COMPUTE_PGM_RSRC2:SCRATCH_EN: 0
; COMPUTE_PGM_RSRC2:USER_SGPR: 14
; COMPUTE_PGM_RSRC2:TRAP_HANDLER: 0
; COMPUTE_PGM_RSRC2:TGID_X_EN: 1
; COMPUTE_PGM_RSRC2:TGID_Y_EN: 0
; COMPUTE_PGM_RSRC2:TGID_Z_EN: 1
; COMPUTE_PGM_RSRC2:TIDIG_COMP_CNT: 0
	.section	.text._ZL24rocblas_dot_kernel_magsqIiLb0ELi512ELi4ELb1EfPKffEviT5_lT_liPT6_PT4_,"axG",@progbits,_ZL24rocblas_dot_kernel_magsqIiLb0ELi512ELi4ELb1EfPKffEviT5_lT_liPT6_PT4_,comdat
	.globl	_ZL24rocblas_dot_kernel_magsqIiLb0ELi512ELi4ELb1EfPKffEviT5_lT_liPT6_PT4_ ; -- Begin function _ZL24rocblas_dot_kernel_magsqIiLb0ELi512ELi4ELb1EfPKffEviT5_lT_liPT6_PT4_
	.p2align	8
	.type	_ZL24rocblas_dot_kernel_magsqIiLb0ELi512ELi4ELb1EfPKffEviT5_lT_liPT6_PT4_,@function
_ZL24rocblas_dot_kernel_magsqIiLb0ELi512ELi4ELb1EfPKffEviT5_lT_liPT6_PT4_: ; @_ZL24rocblas_dot_kernel_magsqIiLb0ELi512ELi4ELb1EfPKffEviT5_lT_liPT6_PT4_
; %bb.0:
	s_clause 0x2
	s_load_b32 s11, s[0:1], 0x0
	s_load_b128 s[4:7], s[0:1], 0x30
	s_load_b32 s10, s[0:1], 0x40
	v_lshl_or_b32 v1, s14, 9, v0
	v_mov_b32_e32 v3, 0
	s_mov_b32 s2, s15
	s_mov_b32 s3, 0
	s_mov_b32 s12, exec_lo
	s_waitcnt lgkmcnt(0)
	v_cmpx_gt_i32_e64 s11, v1
	s_cbranch_execz .LBB601_4
; %bb.1:
	s_clause 0x2
	s_load_b32 s13, s[0:1], 0x18
	s_load_b64 s[8:9], s[0:1], 0x20
	s_load_b128 s[16:19], s[0:1], 0x8
	s_lshl_b32 s1, s10, 9
	s_mov_b32 s15, s3
	v_add_nc_u32_e32 v4, s1, v1
	s_waitcnt lgkmcnt(0)
	v_mad_i64_i32 v[2:3], null, s13, v1, 0
	s_mul_i32 s0, s9, s2
	s_mul_hi_u32 s9, s8, s2
	s_mul_i32 s8, s8, s2
	s_add_i32 s9, s9, s0
	s_lshl_b64 s[18:19], s[18:19], 2
	s_lshl_b64 s[8:9], s[8:9], 2
	s_delay_alu instid0(VALU_DEP_1)
	v_lshlrev_b64 v[1:2], 2, v[2:3]
	v_mov_b32_e32 v3, 0
	s_add_u32 s0, s16, s18
	s_mul_hi_i32 s21, s13, s1
	s_mul_i32 s20, s13, s1
	s_addc_u32 s13, s17, s19
	s_add_u32 s0, s0, s8
	s_addc_u32 s8, s13, s9
	v_add_co_u32 v1, vcc_lo, s0, v1
	v_add_co_ci_u32_e32 v2, vcc_lo, s8, v2, vcc_lo
	s_lshl_b64 s[8:9], s[20:21], 2
	s_mov_b32 s13, s3
	.p2align	6
.LBB601_2:                              ; =>This Inner Loop Header: Depth=1
	global_load_b32 v5, v[1:2], off
	s_add_i32 s16, s15, 1
	v_cmp_le_i32_e32 vcc_lo, s11, v4
	v_add_co_u32 v1, s0, v1, s8
	s_cmp_gt_u32 s15, 2
	v_add_co_ci_u32_e64 v2, s0, s9, v2, s0
	s_cselect_b32 s0, -1, 0
	v_add_nc_u32_e32 v4, s1, v4
	s_or_b32 s0, s0, vcc_lo
	s_mov_b32 s15, s16
	s_and_b32 s0, exec_lo, s0
	s_delay_alu instid0(SALU_CYCLE_1)
	s_or_b32 s13, s0, s13
	s_waitcnt vmcnt(0)
	v_fmac_f32_e32 v3, v5, v5
	s_and_not1_b32 exec_lo, exec_lo, s13
	s_cbranch_execnz .LBB601_2
; %bb.3:
	s_or_b32 exec_lo, exec_lo, s13
.LBB601_4:
	s_delay_alu instid0(SALU_CYCLE_1) | instskip(SKIP_2) | instid1(VALU_DEP_2)
	s_or_b32 exec_lo, exec_lo, s12
	v_and_b32_e32 v2, 31, v0
	v_cmp_gt_u32_e32 vcc_lo, 32, v0
	v_lshlrev_b32_e32 v1, 2, v2
	s_and_saveexec_b32 s0, vcc_lo
	s_cbranch_execz .LBB601_6
; %bb.5:
	v_mov_b32_e32 v4, 0
	ds_store_b32 v1, v4
.LBB601_6:
	s_or_b32 exec_lo, exec_lo, s0
	v_mbcnt_lo_u32_b32 v6, -1, 0
	s_mov_b32 s1, exec_lo
	s_waitcnt lgkmcnt(0)
	s_barrier
	buffer_gl0_inv
	v_cmp_gt_u32_e64 s0, 16, v6
	s_delay_alu instid0(VALU_DEP_1) | instskip(SKIP_1) | instid1(VALU_DEP_2)
	v_cndmask_b32_e64 v4, 0, 1, s0
	v_cmp_gt_u32_e64 s0, 24, v6
	v_lshlrev_b32_e32 v4, 4, v4
	s_delay_alu instid0(VALU_DEP_1) | instskip(SKIP_4) | instid1(VALU_DEP_2)
	v_add_lshl_u32 v4, v4, v6, 2
	ds_bpermute_b32 v5, v4, v3
	v_cndmask_b32_e64 v4, 0, 1, s0
	v_cmp_gt_u32_e64 s0, 28, v6
	s_waitcnt lgkmcnt(0)
	v_dual_add_f32 v5, v3, v5 :: v_dual_lshlrev_b32 v4, 3, v4
	s_delay_alu instid0(VALU_DEP_2) | instskip(SKIP_1) | instid1(VALU_DEP_3)
	v_cndmask_b32_e64 v3, 0, 1, s0
	v_cmp_gt_u32_e64 s0, 30, v6
	v_add_lshl_u32 v4, v4, v6, 2
	s_delay_alu instid0(VALU_DEP_3)
	v_lshlrev_b32_e32 v3, 2, v3
	ds_bpermute_b32 v7, v4, v5
	v_add_lshl_u32 v3, v3, v6, 2
	s_waitcnt lgkmcnt(0)
	v_add_f32_e32 v7, v5, v7
	v_cndmask_b32_e64 v5, 0, 1, s0
	v_cmp_ne_u32_e64 s0, 31, v6
	ds_bpermute_b32 v8, v3, v7
	v_lshlrev_b32_e32 v5, 1, v5
	s_delay_alu instid0(VALU_DEP_1) | instskip(SKIP_2) | instid1(VALU_DEP_1)
	v_add_lshl_u32 v5, v5, v6, 2
	v_add_co_ci_u32_e64 v6, s0, 0, v6, s0
	s_waitcnt lgkmcnt(0)
	v_dual_add_f32 v7, v7, v8 :: v_dual_lshlrev_b32 v6, 2, v6
	ds_bpermute_b32 v8, v5, v7
	s_waitcnt lgkmcnt(0)
	v_add_f32_e32 v7, v7, v8
	ds_bpermute_b32 v8, v6, v7
	v_cmpx_eq_u32_e32 0, v2
	s_cbranch_execz .LBB601_8
; %bb.7:
	v_lshrrev_b32_e32 v2, 3, v0
	s_waitcnt lgkmcnt(0)
	s_delay_alu instid0(VALU_DEP_1)
	v_dual_add_f32 v7, v7, v8 :: v_dual_and_b32 v2, 60, v2
	ds_store_b32 v2, v7
.LBB601_8:
	s_or_b32 exec_lo, exec_lo, s1
	v_mov_b32_e32 v2, 0
	s_mov_b32 s1, exec_lo
	s_waitcnt lgkmcnt(0)
	s_barrier
	buffer_gl0_inv
	v_cmpx_gt_u32_e32 16, v0
	s_cbranch_execz .LBB601_10
; %bb.9:
	ds_load_b32 v2, v1
.LBB601_10:
	s_or_b32 exec_lo, exec_lo, s1
	s_and_saveexec_b32 s0, vcc_lo
	s_cbranch_execz .LBB601_12
; %bb.11:
	s_waitcnt lgkmcnt(0)
	ds_bpermute_b32 v1, v4, v2
	s_waitcnt lgkmcnt(0)
	v_add_f32_e32 v1, v2, v1
	ds_bpermute_b32 v2, v3, v1
	s_waitcnt lgkmcnt(0)
	v_add_f32_e32 v1, v1, v2
	;; [unrolled: 3-line block ×4, first 2 shown]
.LBB601_12:
	s_or_b32 exec_lo, exec_lo, s0
	s_delay_alu instid0(SALU_CYCLE_1)
	s_mov_b32 s0, exec_lo
	v_cmpx_eq_u32_e32 0, v0
	s_cbranch_execz .LBB601_18
; %bb.13:
	s_cmp_lg_u32 s10, 1
	s_cbranch_scc0 .LBB601_15
; %bb.14:
	s_mul_hi_u32 s1, s10, s2
	s_mul_i32 s0, s10, s2
	s_mov_b32 s15, 0
	s_lshl_b64 s[0:1], s[0:1], 2
	s_delay_alu instid0(SALU_CYCLE_1) | instskip(SKIP_2) | instid1(SALU_CYCLE_1)
	s_add_u32 s4, s4, s0
	s_addc_u32 s5, s5, s1
	s_lshl_b64 s[0:1], s[14:15], 2
	s_add_u32 s0, s4, s0
	s_addc_u32 s1, s5, s1
	s_cbranch_execz .LBB601_16
	s_branch .LBB601_17
.LBB601_15:
                                        ; implicit-def: $sgpr0_sgpr1
.LBB601_16:
	s_lshl_b64 s[0:1], s[2:3], 2
	s_delay_alu instid0(SALU_CYCLE_1)
	s_add_u32 s0, s6, s0
	s_addc_u32 s1, s7, s1
.LBB601_17:
	v_mov_b32_e32 v0, 0
	s_waitcnt lgkmcnt(0)
	global_store_b32 v0, v2, s[0:1]
.LBB601_18:
	s_nop 0
	s_sendmsg sendmsg(MSG_DEALLOC_VGPRS)
	s_endpgm
	.section	.rodata,"a",@progbits
	.p2align	6, 0x0
	.amdhsa_kernel _ZL24rocblas_dot_kernel_magsqIiLb0ELi512ELi4ELb1EfPKffEviT5_lT_liPT6_PT4_
		.amdhsa_group_segment_fixed_size 128
		.amdhsa_private_segment_fixed_size 0
		.amdhsa_kernarg_size 320
		.amdhsa_user_sgpr_count 14
		.amdhsa_user_sgpr_dispatch_ptr 0
		.amdhsa_user_sgpr_queue_ptr 0
		.amdhsa_user_sgpr_kernarg_segment_ptr 1
		.amdhsa_user_sgpr_dispatch_id 0
		.amdhsa_user_sgpr_private_segment_size 0
		.amdhsa_wavefront_size32 1
		.amdhsa_uses_dynamic_stack 0
		.amdhsa_enable_private_segment 0
		.amdhsa_system_sgpr_workgroup_id_x 1
		.amdhsa_system_sgpr_workgroup_id_y 0
		.amdhsa_system_sgpr_workgroup_id_z 1
		.amdhsa_system_sgpr_workgroup_info 0
		.amdhsa_system_vgpr_workitem_id 0
		.amdhsa_next_free_vgpr 9
		.amdhsa_next_free_sgpr 22
		.amdhsa_reserve_vcc 1
		.amdhsa_float_round_mode_32 0
		.amdhsa_float_round_mode_16_64 0
		.amdhsa_float_denorm_mode_32 3
		.amdhsa_float_denorm_mode_16_64 3
		.amdhsa_dx10_clamp 1
		.amdhsa_ieee_mode 1
		.amdhsa_fp16_overflow 0
		.amdhsa_workgroup_processor_mode 1
		.amdhsa_memory_ordered 1
		.amdhsa_forward_progress 0
		.amdhsa_shared_vgpr_count 0
		.amdhsa_exception_fp_ieee_invalid_op 0
		.amdhsa_exception_fp_denorm_src 0
		.amdhsa_exception_fp_ieee_div_zero 0
		.amdhsa_exception_fp_ieee_overflow 0
		.amdhsa_exception_fp_ieee_underflow 0
		.amdhsa_exception_fp_ieee_inexact 0
		.amdhsa_exception_int_div_zero 0
	.end_amdhsa_kernel
	.section	.text._ZL24rocblas_dot_kernel_magsqIiLb0ELi512ELi4ELb1EfPKffEviT5_lT_liPT6_PT4_,"axG",@progbits,_ZL24rocblas_dot_kernel_magsqIiLb0ELi512ELi4ELb1EfPKffEviT5_lT_liPT6_PT4_,comdat
.Lfunc_end601:
	.size	_ZL24rocblas_dot_kernel_magsqIiLb0ELi512ELi4ELb1EfPKffEviT5_lT_liPT6_PT4_, .Lfunc_end601-_ZL24rocblas_dot_kernel_magsqIiLb0ELi512ELi4ELb1EfPKffEviT5_lT_liPT6_PT4_
                                        ; -- End function
	.section	.AMDGPU.csdata,"",@progbits
; Kernel info:
; codeLenInByte = 864
; NumSgprs: 24
; NumVgprs: 9
; ScratchSize: 0
; MemoryBound: 0
; FloatMode: 240
; IeeeMode: 1
; LDSByteSize: 128 bytes/workgroup (compile time only)
; SGPRBlocks: 2
; VGPRBlocks: 1
; NumSGPRsForWavesPerEU: 24
; NumVGPRsForWavesPerEU: 9
; Occupancy: 16
; WaveLimiterHint : 0
; COMPUTE_PGM_RSRC2:SCRATCH_EN: 0
; COMPUTE_PGM_RSRC2:USER_SGPR: 14
; COMPUTE_PGM_RSRC2:TRAP_HANDLER: 0
; COMPUTE_PGM_RSRC2:TGID_X_EN: 1
; COMPUTE_PGM_RSRC2:TGID_Y_EN: 0
; COMPUTE_PGM_RSRC2:TGID_Z_EN: 1
; COMPUTE_PGM_RSRC2:TIDIG_COMP_CNT: 0
	.section	.text._ZL28rocblas_dot_batched_4_kernelIlLi32ELi4ELb1EffPKfEviT5_lT_lS2_lS3_liPT4_,"axG",@progbits,_ZL28rocblas_dot_batched_4_kernelIlLi32ELi4ELb1EffPKfEviT5_lT_lS2_lS3_liPT4_,comdat
	.globl	_ZL28rocblas_dot_batched_4_kernelIlLi32ELi4ELb1EffPKfEviT5_lT_lS2_lS3_liPT4_ ; -- Begin function _ZL28rocblas_dot_batched_4_kernelIlLi32ELi4ELb1EffPKfEviT5_lT_lS2_lS3_liPT4_
	.p2align	8
	.type	_ZL28rocblas_dot_batched_4_kernelIlLi32ELi4ELb1EffPKfEviT5_lT_lS2_lS3_liPT4_,@function
_ZL28rocblas_dot_batched_4_kernelIlLi32ELi4ELb1EffPKfEviT5_lT_lS2_lS3_liPT4_: ; @_ZL28rocblas_dot_batched_4_kernelIlLi32ELi4ELb1EffPKfEviT5_lT_lS2_lS3_liPT4_
; %bb.0:
	s_load_b32 s2, s[0:1], 0x48
	v_bfe_u32 v1, v0, 10, 10
	s_delay_alu instid0(VALU_DEP_1) | instskip(SKIP_1) | instid1(VALU_DEP_1)
	v_lshl_add_u32 v1, s15, 2, v1
	s_waitcnt lgkmcnt(0)
	v_cmp_gt_u32_e32 vcc_lo, s2, v1
	s_and_saveexec_b32 s2, vcc_lo
	s_cbranch_execz .LBB602_7
; %bb.1:
	s_clause 0x1
	s_load_b32 s16, s[0:1], 0x0
	s_load_b64 s[2:3], s[0:1], 0x50
	v_mov_b32_e32 v2, 0
	v_and_b32_e32 v0, 0x3ff, v0
	s_mov_b32 s17, exec_lo
	s_delay_alu instid0(VALU_DEP_2) | instskip(SKIP_1) | instid1(VALU_DEP_2)
	v_mov_b32_e32 v7, v2
	s_waitcnt lgkmcnt(0)
	v_cmpx_gt_i32_e64 s16, v0
	s_cbranch_execz .LBB602_5
; %bb.2:
	s_clause 0x3
	s_load_b128 s[12:15], s[0:1], 0x10
	s_load_b256 s[4:11], s[0:1], 0x20
	s_load_b64 s[18:19], s[0:1], 0x40
	s_load_b64 s[0:1], s[0:1], 0x8
	s_waitcnt lgkmcnt(0)
	v_mad_u64_u32 v[3:4], null, s14, v0, 0
	v_mad_u64_u32 v[5:6], null, s4, v1, 0
	;; [unrolled: 1-line block ×4, first 2 shown]
	s_lshl_b64 s[12:13], s[12:13], 2
	s_delay_alu instid0(VALU_DEP_3) | instskip(SKIP_4) | instid1(VALU_DEP_2)
	v_mad_u64_u32 v[12:13], null, s15, v0, v[4:5]
	v_mov_b32_e32 v7, 0
	s_add_u32 s12, s0, s12
	s_addc_u32 s13, s1, s13
	s_lshl_b64 s[0:1], s[8:9], 2
	v_mov_b32_e32 v4, v12
	v_mad_u64_u32 v[13:14], null, s5, v1, v[6:7]
	v_mad_u64_u32 v[14:15], null, s11, v0, v[9:10]
	;; [unrolled: 1-line block ×3, first 2 shown]
	s_delay_alu instid0(VALU_DEP_4) | instskip(SKIP_1) | instid1(VALU_DEP_4)
	v_lshlrev_b64 v[3:4], 2, v[3:4]
	s_lshl_b64 s[4:5], s[14:15], 7
	v_mov_b32_e32 v6, v13
	s_add_u32 s0, s6, s0
	s_delay_alu instid0(VALU_DEP_4) | instskip(SKIP_1) | instid1(VALU_DEP_4)
	v_mov_b32_e32 v9, v14
	s_addc_u32 s1, s7, s1
	v_mov_b32_e32 v11, v15
	v_lshlrev_b64 v[5:6], 2, v[5:6]
	s_lshl_b64 s[6:7], s[10:11], 7
	v_lshlrev_b64 v[8:9], 2, v[8:9]
	s_delay_alu instid0(VALU_DEP_3) | instskip(NEXT) | instid1(VALU_DEP_3)
	v_lshlrev_b64 v[10:11], 2, v[10:11]
	v_add_co_u32 v3, vcc_lo, v3, v5
	s_delay_alu instid0(VALU_DEP_4) | instskip(NEXT) | instid1(VALU_DEP_3)
	v_add_co_ci_u32_e32 v4, vcc_lo, v4, v6, vcc_lo
	v_add_co_u32 v5, vcc_lo, v8, v10
	v_mov_b32_e32 v8, v0
	v_add_co_ci_u32_e32 v6, vcc_lo, v9, v11, vcc_lo
	v_add_co_u32 v3, vcc_lo, s12, v3
	v_add_co_ci_u32_e32 v4, vcc_lo, s13, v4, vcc_lo
	v_add_co_u32 v5, vcc_lo, s0, v5
	s_delay_alu instid0(VALU_DEP_4)
	v_add_co_ci_u32_e32 v6, vcc_lo, s1, v6, vcc_lo
	s_mov_b32 s1, 0
	.p2align	6
.LBB602_3:                              ; =>This Inner Loop Header: Depth=1
	global_load_b32 v9, v[3:4], off
	global_load_b32 v10, v[5:6], off
	v_add_nc_u32_e32 v8, 32, v8
	v_add_co_u32 v3, vcc_lo, v3, s4
	v_add_co_ci_u32_e32 v4, vcc_lo, s5, v4, vcc_lo
	v_add_co_u32 v5, vcc_lo, v5, s6
	v_add_co_ci_u32_e32 v6, vcc_lo, s7, v6, vcc_lo
	s_waitcnt vmcnt(0)
	v_fmac_f32_e32 v7, v9, v10
	v_cmp_le_i32_e64 s0, s16, v8
	s_delay_alu instid0(VALU_DEP_1) | instskip(NEXT) | instid1(SALU_CYCLE_1)
	s_or_b32 s1, s0, s1
	s_and_not1_b32 exec_lo, exec_lo, s1
	s_cbranch_execnz .LBB602_3
; %bb.4:
	s_or_b32 exec_lo, exec_lo, s1
.LBB602_5:
	s_delay_alu instid0(SALU_CYCLE_1)
	s_or_b32 exec_lo, exec_lo, s17
	v_mbcnt_lo_u32_b32 v3, -1, 0
	s_barrier
	buffer_gl0_inv
	v_cmp_gt_u32_e32 vcc_lo, 16, v3
	v_cndmask_b32_e64 v4, 0, 1, vcc_lo
	v_cmp_gt_u32_e32 vcc_lo, 24, v3
	s_delay_alu instid0(VALU_DEP_2) | instskip(SKIP_2) | instid1(VALU_DEP_3)
	v_lshlrev_b32_e32 v4, 4, v4
	v_cndmask_b32_e64 v5, 0, 1, vcc_lo
	v_cmp_gt_u32_e32 vcc_lo, 28, v3
	v_add_lshl_u32 v4, v4, v3, 2
	v_cndmask_b32_e64 v6, 0, 1, vcc_lo
	v_cmp_gt_u32_e32 vcc_lo, 30, v3
	ds_bpermute_b32 v4, v4, v7
	v_lshlrev_b32_e32 v5, 3, v5
	v_lshlrev_b32_e32 v6, 2, v6
	s_delay_alu instid0(VALU_DEP_1)
	v_add_lshl_u32 v6, v6, v3, 2
	s_waitcnt lgkmcnt(0)
	v_add_f32_e32 v4, v7, v4
	v_add_lshl_u32 v5, v5, v3, 2
	ds_bpermute_b32 v5, v5, v4
	s_waitcnt lgkmcnt(0)
	v_add_f32_e32 v4, v4, v5
	ds_bpermute_b32 v5, v6, v4
	v_cndmask_b32_e64 v6, 0, 1, vcc_lo
	v_cmp_ne_u32_e32 vcc_lo, 31, v3
	s_delay_alu instid0(VALU_DEP_2) | instskip(NEXT) | instid1(VALU_DEP_1)
	v_lshlrev_b32_e32 v6, 1, v6
	v_add_lshl_u32 v6, v6, v3, 2
	s_waitcnt lgkmcnt(0)
	v_add_f32_e32 v4, v4, v5
	ds_bpermute_b32 v5, v6, v4
	v_add_co_ci_u32_e32 v6, vcc_lo, 0, v3, vcc_lo
	v_cmp_eq_u32_e32 vcc_lo, 0, v0
	s_waitcnt lgkmcnt(0)
	s_delay_alu instid0(VALU_DEP_2)
	v_dual_add_f32 v3, v4, v5 :: v_dual_lshlrev_b32 v4, 2, v6
	ds_bpermute_b32 v4, v4, v3
	s_and_b32 exec_lo, exec_lo, vcc_lo
	s_cbranch_execz .LBB602_7
; %bb.6:
	v_lshlrev_b64 v[0:1], 2, v[1:2]
	s_waitcnt lgkmcnt(0)
	v_add_f32_e32 v2, v3, v4
	s_delay_alu instid0(VALU_DEP_2) | instskip(NEXT) | instid1(VALU_DEP_3)
	v_add_co_u32 v0, vcc_lo, s2, v0
	v_add_co_ci_u32_e32 v1, vcc_lo, s3, v1, vcc_lo
	global_store_b32 v[0:1], v2, off
.LBB602_7:
	s_nop 0
	s_sendmsg sendmsg(MSG_DEALLOC_VGPRS)
	s_endpgm
	.section	.rodata,"a",@progbits
	.p2align	6, 0x0
	.amdhsa_kernel _ZL28rocblas_dot_batched_4_kernelIlLi32ELi4ELb1EffPKfEviT5_lT_lS2_lS3_liPT4_
		.amdhsa_group_segment_fixed_size 0
		.amdhsa_private_segment_fixed_size 0
		.amdhsa_kernarg_size 88
		.amdhsa_user_sgpr_count 15
		.amdhsa_user_sgpr_dispatch_ptr 0
		.amdhsa_user_sgpr_queue_ptr 0
		.amdhsa_user_sgpr_kernarg_segment_ptr 1
		.amdhsa_user_sgpr_dispatch_id 0
		.amdhsa_user_sgpr_private_segment_size 0
		.amdhsa_wavefront_size32 1
		.amdhsa_uses_dynamic_stack 0
		.amdhsa_enable_private_segment 0
		.amdhsa_system_sgpr_workgroup_id_x 1
		.amdhsa_system_sgpr_workgroup_id_y 0
		.amdhsa_system_sgpr_workgroup_id_z 0
		.amdhsa_system_sgpr_workgroup_info 0
		.amdhsa_system_vgpr_workitem_id 1
		.amdhsa_next_free_vgpr 17
		.amdhsa_next_free_sgpr 20
		.amdhsa_reserve_vcc 1
		.amdhsa_float_round_mode_32 0
		.amdhsa_float_round_mode_16_64 0
		.amdhsa_float_denorm_mode_32 3
		.amdhsa_float_denorm_mode_16_64 3
		.amdhsa_dx10_clamp 1
		.amdhsa_ieee_mode 1
		.amdhsa_fp16_overflow 0
		.amdhsa_workgroup_processor_mode 1
		.amdhsa_memory_ordered 1
		.amdhsa_forward_progress 0
		.amdhsa_shared_vgpr_count 0
		.amdhsa_exception_fp_ieee_invalid_op 0
		.amdhsa_exception_fp_denorm_src 0
		.amdhsa_exception_fp_ieee_div_zero 0
		.amdhsa_exception_fp_ieee_overflow 0
		.amdhsa_exception_fp_ieee_underflow 0
		.amdhsa_exception_fp_ieee_inexact 0
		.amdhsa_exception_int_div_zero 0
	.end_amdhsa_kernel
	.section	.text._ZL28rocblas_dot_batched_4_kernelIlLi32ELi4ELb1EffPKfEviT5_lT_lS2_lS3_liPT4_,"axG",@progbits,_ZL28rocblas_dot_batched_4_kernelIlLi32ELi4ELb1EffPKfEviT5_lT_lS2_lS3_liPT4_,comdat
.Lfunc_end602:
	.size	_ZL28rocblas_dot_batched_4_kernelIlLi32ELi4ELb1EffPKfEviT5_lT_lS2_lS3_liPT4_, .Lfunc_end602-_ZL28rocblas_dot_batched_4_kernelIlLi32ELi4ELb1EffPKfEviT5_lT_lS2_lS3_liPT4_
                                        ; -- End function
	.section	.AMDGPU.csdata,"",@progbits
; Kernel info:
; codeLenInByte = 740
; NumSgprs: 22
; NumVgprs: 17
; ScratchSize: 0
; MemoryBound: 0
; FloatMode: 240
; IeeeMode: 1
; LDSByteSize: 0 bytes/workgroup (compile time only)
; SGPRBlocks: 2
; VGPRBlocks: 2
; NumSGPRsForWavesPerEU: 22
; NumVGPRsForWavesPerEU: 17
; Occupancy: 16
; WaveLimiterHint : 0
; COMPUTE_PGM_RSRC2:SCRATCH_EN: 0
; COMPUTE_PGM_RSRC2:USER_SGPR: 15
; COMPUTE_PGM_RSRC2:TRAP_HANDLER: 0
; COMPUTE_PGM_RSRC2:TGID_X_EN: 1
; COMPUTE_PGM_RSRC2:TGID_Y_EN: 0
; COMPUTE_PGM_RSRC2:TGID_Z_EN: 0
; COMPUTE_PGM_RSRC2:TIDIG_COMP_CNT: 1
	.section	.text._ZL28rocblas_dot_batched_4_kernelIlLi64ELi4ELb1EffPKfEviT5_lT_lS2_lS3_liPT4_,"axG",@progbits,_ZL28rocblas_dot_batched_4_kernelIlLi64ELi4ELb1EffPKfEviT5_lT_lS2_lS3_liPT4_,comdat
	.globl	_ZL28rocblas_dot_batched_4_kernelIlLi64ELi4ELb1EffPKfEviT5_lT_lS2_lS3_liPT4_ ; -- Begin function _ZL28rocblas_dot_batched_4_kernelIlLi64ELi4ELb1EffPKfEviT5_lT_lS2_lS3_liPT4_
	.p2align	8
	.type	_ZL28rocblas_dot_batched_4_kernelIlLi64ELi4ELb1EffPKfEviT5_lT_lS2_lS3_liPT4_,@function
_ZL28rocblas_dot_batched_4_kernelIlLi64ELi4ELb1EffPKfEviT5_lT_lS2_lS3_liPT4_: ; @_ZL28rocblas_dot_batched_4_kernelIlLi64ELi4ELb1EffPKfEviT5_lT_lS2_lS3_liPT4_
; %bb.0:
	s_load_b32 s2, s[0:1], 0x48
	v_bfe_u32 v1, v0, 10, 10
	s_delay_alu instid0(VALU_DEP_1) | instskip(SKIP_1) | instid1(VALU_DEP_1)
	v_lshl_add_u32 v1, s15, 2, v1
	s_waitcnt lgkmcnt(0)
	v_cmp_gt_u32_e32 vcc_lo, s2, v1
	s_and_saveexec_b32 s2, vcc_lo
	s_cbranch_execz .LBB603_7
; %bb.1:
	s_clause 0x1
	s_load_b32 s16, s[0:1], 0x0
	s_load_b64 s[2:3], s[0:1], 0x50
	v_mov_b32_e32 v2, 0
	v_and_b32_e32 v0, 0x3ff, v0
	s_mov_b32 s17, exec_lo
	s_delay_alu instid0(VALU_DEP_2) | instskip(SKIP_1) | instid1(VALU_DEP_2)
	v_mov_b32_e32 v7, v2
	s_waitcnt lgkmcnt(0)
	v_cmpx_gt_i32_e64 s16, v0
	s_cbranch_execz .LBB603_5
; %bb.2:
	s_clause 0x3
	s_load_b128 s[12:15], s[0:1], 0x10
	s_load_b256 s[4:11], s[0:1], 0x20
	s_load_b64 s[18:19], s[0:1], 0x40
	s_load_b64 s[0:1], s[0:1], 0x8
	s_waitcnt lgkmcnt(0)
	v_mad_u64_u32 v[3:4], null, s14, v0, 0
	v_mad_u64_u32 v[5:6], null, s4, v1, 0
	;; [unrolled: 1-line block ×4, first 2 shown]
	s_lshl_b64 s[12:13], s[12:13], 2
	s_delay_alu instid0(VALU_DEP_3) | instskip(SKIP_4) | instid1(VALU_DEP_2)
	v_mad_u64_u32 v[12:13], null, s15, v0, v[4:5]
	v_mov_b32_e32 v7, 0
	s_add_u32 s12, s0, s12
	s_addc_u32 s13, s1, s13
	s_lshl_b64 s[0:1], s[8:9], 2
	v_mov_b32_e32 v4, v12
	v_mad_u64_u32 v[13:14], null, s5, v1, v[6:7]
	v_mad_u64_u32 v[14:15], null, s11, v0, v[9:10]
	;; [unrolled: 1-line block ×3, first 2 shown]
	s_delay_alu instid0(VALU_DEP_4) | instskip(SKIP_1) | instid1(VALU_DEP_4)
	v_lshlrev_b64 v[3:4], 2, v[3:4]
	s_lshl_b64 s[4:5], s[14:15], 8
	v_mov_b32_e32 v6, v13
	s_add_u32 s0, s6, s0
	s_delay_alu instid0(VALU_DEP_4) | instskip(SKIP_1) | instid1(VALU_DEP_4)
	v_mov_b32_e32 v9, v14
	s_addc_u32 s1, s7, s1
	v_mov_b32_e32 v11, v15
	v_lshlrev_b64 v[5:6], 2, v[5:6]
	s_lshl_b64 s[6:7], s[10:11], 8
	v_lshlrev_b64 v[8:9], 2, v[8:9]
	s_delay_alu instid0(VALU_DEP_3) | instskip(NEXT) | instid1(VALU_DEP_3)
	v_lshlrev_b64 v[10:11], 2, v[10:11]
	v_add_co_u32 v3, vcc_lo, v3, v5
	s_delay_alu instid0(VALU_DEP_4) | instskip(NEXT) | instid1(VALU_DEP_3)
	v_add_co_ci_u32_e32 v4, vcc_lo, v4, v6, vcc_lo
	v_add_co_u32 v5, vcc_lo, v8, v10
	v_mov_b32_e32 v8, v0
	v_add_co_ci_u32_e32 v6, vcc_lo, v9, v11, vcc_lo
	v_add_co_u32 v3, vcc_lo, s12, v3
	v_add_co_ci_u32_e32 v4, vcc_lo, s13, v4, vcc_lo
	v_add_co_u32 v5, vcc_lo, s0, v5
	s_delay_alu instid0(VALU_DEP_4)
	v_add_co_ci_u32_e32 v6, vcc_lo, s1, v6, vcc_lo
	s_mov_b32 s1, 0
	.p2align	6
.LBB603_3:                              ; =>This Inner Loop Header: Depth=1
	global_load_b32 v9, v[3:4], off
	global_load_b32 v10, v[5:6], off
	v_add_nc_u32_e32 v8, 64, v8
	v_add_co_u32 v3, vcc_lo, v3, s4
	v_add_co_ci_u32_e32 v4, vcc_lo, s5, v4, vcc_lo
	v_add_co_u32 v5, vcc_lo, v5, s6
	v_add_co_ci_u32_e32 v6, vcc_lo, s7, v6, vcc_lo
	s_waitcnt vmcnt(0)
	v_fmac_f32_e32 v7, v9, v10
	v_cmp_le_i32_e64 s0, s16, v8
	s_delay_alu instid0(VALU_DEP_1) | instskip(NEXT) | instid1(SALU_CYCLE_1)
	s_or_b32 s1, s0, s1
	s_and_not1_b32 exec_lo, exec_lo, s1
	s_cbranch_execnz .LBB603_3
; %bb.4:
	s_or_b32 exec_lo, exec_lo, s1
.LBB603_5:
	s_delay_alu instid0(SALU_CYCLE_1)
	s_or_b32 exec_lo, exec_lo, s17
	v_mbcnt_lo_u32_b32 v3, -1, 0
	s_barrier
	buffer_gl0_inv
	v_lshlrev_b32_e32 v4, 2, v3
	v_cmp_gt_u32_e32 vcc_lo, 16, v3
	ds_bpermute_b32 v4, v4, v7
	v_cndmask_b32_e64 v5, 0, 1, vcc_lo
	v_cmp_gt_u32_e32 vcc_lo, 24, v3
	s_delay_alu instid0(VALU_DEP_2) | instskip(SKIP_2) | instid1(VALU_DEP_2)
	v_lshlrev_b32_e32 v5, 4, v5
	v_cndmask_b32_e64 v6, 0, 1, vcc_lo
	v_cmp_gt_u32_e32 vcc_lo, 28, v3
	v_lshlrev_b32_e32 v6, 3, v6
	s_delay_alu instid0(VALU_DEP_1)
	v_add_lshl_u32 v6, v6, v3, 2
	s_waitcnt lgkmcnt(0)
	v_add_f32_e32 v4, v7, v4
	v_add_lshl_u32 v5, v5, v3, 2
	ds_bpermute_b32 v5, v5, v4
	s_waitcnt lgkmcnt(0)
	v_add_f32_e32 v4, v4, v5
	ds_bpermute_b32 v5, v6, v4
	v_cndmask_b32_e64 v6, 0, 1, vcc_lo
	v_cmp_gt_u32_e32 vcc_lo, 30, v3
	s_delay_alu instid0(VALU_DEP_2) | instskip(NEXT) | instid1(VALU_DEP_1)
	v_lshlrev_b32_e32 v6, 2, v6
	v_add_lshl_u32 v6, v6, v3, 2
	s_waitcnt lgkmcnt(0)
	v_add_f32_e32 v4, v4, v5
	ds_bpermute_b32 v5, v6, v4
	v_cndmask_b32_e64 v6, 0, 1, vcc_lo
	v_cmp_ne_u32_e32 vcc_lo, 31, v3
	s_delay_alu instid0(VALU_DEP_2) | instskip(NEXT) | instid1(VALU_DEP_1)
	v_lshlrev_b32_e32 v6, 1, v6
	v_add_lshl_u32 v6, v6, v3, 2
	s_waitcnt lgkmcnt(0)
	v_add_f32_e32 v4, v4, v5
	ds_bpermute_b32 v5, v6, v4
	v_add_co_ci_u32_e32 v6, vcc_lo, 0, v3, vcc_lo
	v_cmp_eq_u32_e32 vcc_lo, 0, v0
	s_waitcnt lgkmcnt(0)
	s_delay_alu instid0(VALU_DEP_2)
	v_dual_add_f32 v3, v4, v5 :: v_dual_lshlrev_b32 v4, 2, v6
	ds_bpermute_b32 v4, v4, v3
	s_and_b32 exec_lo, exec_lo, vcc_lo
	s_cbranch_execz .LBB603_7
; %bb.6:
	v_lshlrev_b64 v[0:1], 2, v[1:2]
	s_waitcnt lgkmcnt(0)
	v_add_f32_e32 v2, v3, v4
	s_delay_alu instid0(VALU_DEP_2) | instskip(NEXT) | instid1(VALU_DEP_3)
	v_add_co_u32 v0, vcc_lo, s2, v0
	v_add_co_ci_u32_e32 v1, vcc_lo, s3, v1, vcc_lo
	global_store_b32 v[0:1], v2, off
.LBB603_7:
	s_nop 0
	s_sendmsg sendmsg(MSG_DEALLOC_VGPRS)
	s_endpgm
	.section	.rodata,"a",@progbits
	.p2align	6, 0x0
	.amdhsa_kernel _ZL28rocblas_dot_batched_4_kernelIlLi64ELi4ELb1EffPKfEviT5_lT_lS2_lS3_liPT4_
		.amdhsa_group_segment_fixed_size 0
		.amdhsa_private_segment_fixed_size 0
		.amdhsa_kernarg_size 88
		.amdhsa_user_sgpr_count 15
		.amdhsa_user_sgpr_dispatch_ptr 0
		.amdhsa_user_sgpr_queue_ptr 0
		.amdhsa_user_sgpr_kernarg_segment_ptr 1
		.amdhsa_user_sgpr_dispatch_id 0
		.amdhsa_user_sgpr_private_segment_size 0
		.amdhsa_wavefront_size32 1
		.amdhsa_uses_dynamic_stack 0
		.amdhsa_enable_private_segment 0
		.amdhsa_system_sgpr_workgroup_id_x 1
		.amdhsa_system_sgpr_workgroup_id_y 0
		.amdhsa_system_sgpr_workgroup_id_z 0
		.amdhsa_system_sgpr_workgroup_info 0
		.amdhsa_system_vgpr_workitem_id 1
		.amdhsa_next_free_vgpr 17
		.amdhsa_next_free_sgpr 20
		.amdhsa_reserve_vcc 1
		.amdhsa_float_round_mode_32 0
		.amdhsa_float_round_mode_16_64 0
		.amdhsa_float_denorm_mode_32 3
		.amdhsa_float_denorm_mode_16_64 3
		.amdhsa_dx10_clamp 1
		.amdhsa_ieee_mode 1
		.amdhsa_fp16_overflow 0
		.amdhsa_workgroup_processor_mode 1
		.amdhsa_memory_ordered 1
		.amdhsa_forward_progress 0
		.amdhsa_shared_vgpr_count 0
		.amdhsa_exception_fp_ieee_invalid_op 0
		.amdhsa_exception_fp_denorm_src 0
		.amdhsa_exception_fp_ieee_div_zero 0
		.amdhsa_exception_fp_ieee_overflow 0
		.amdhsa_exception_fp_ieee_underflow 0
		.amdhsa_exception_fp_ieee_inexact 0
		.amdhsa_exception_int_div_zero 0
	.end_amdhsa_kernel
	.section	.text._ZL28rocblas_dot_batched_4_kernelIlLi64ELi4ELb1EffPKfEviT5_lT_lS2_lS3_liPT4_,"axG",@progbits,_ZL28rocblas_dot_batched_4_kernelIlLi64ELi4ELb1EffPKfEviT5_lT_lS2_lS3_liPT4_,comdat
.Lfunc_end603:
	.size	_ZL28rocblas_dot_batched_4_kernelIlLi64ELi4ELb1EffPKfEviT5_lT_lS2_lS3_liPT4_, .Lfunc_end603-_ZL28rocblas_dot_batched_4_kernelIlLi64ELi4ELb1EffPKfEviT5_lT_lS2_lS3_liPT4_
                                        ; -- End function
	.section	.AMDGPU.csdata,"",@progbits
; Kernel info:
; codeLenInByte = 764
; NumSgprs: 22
; NumVgprs: 17
; ScratchSize: 0
; MemoryBound: 0
; FloatMode: 240
; IeeeMode: 1
; LDSByteSize: 0 bytes/workgroup (compile time only)
; SGPRBlocks: 2
; VGPRBlocks: 2
; NumSGPRsForWavesPerEU: 22
; NumVGPRsForWavesPerEU: 17
; Occupancy: 16
; WaveLimiterHint : 0
; COMPUTE_PGM_RSRC2:SCRATCH_EN: 0
; COMPUTE_PGM_RSRC2:USER_SGPR: 15
; COMPUTE_PGM_RSRC2:TRAP_HANDLER: 0
; COMPUTE_PGM_RSRC2:TGID_X_EN: 1
; COMPUTE_PGM_RSRC2:TGID_Y_EN: 0
; COMPUTE_PGM_RSRC2:TGID_Z_EN: 0
; COMPUTE_PGM_RSRC2:TIDIG_COMP_CNT: 1
	.section	.text._ZL18rocblas_dot_kernelIlLb1ELi1024ELi32ELb1EfPKffEviT5_lT_lS2_lS3_liPT6_PT4_,"axG",@progbits,_ZL18rocblas_dot_kernelIlLb1ELi1024ELi32ELb1EfPKffEviT5_lT_lS2_lS3_liPT6_PT4_,comdat
	.globl	_ZL18rocblas_dot_kernelIlLb1ELi1024ELi32ELb1EfPKffEviT5_lT_lS2_lS3_liPT6_PT4_ ; -- Begin function _ZL18rocblas_dot_kernelIlLb1ELi1024ELi32ELb1EfPKffEviT5_lT_lS2_lS3_liPT6_PT4_
	.p2align	8
	.type	_ZL18rocblas_dot_kernelIlLb1ELi1024ELi32ELb1EfPKffEviT5_lT_lS2_lS3_liPT6_PT4_,@function
_ZL18rocblas_dot_kernelIlLb1ELi1024ELi32ELb1EfPKffEviT5_lT_lS2_lS3_liPT6_PT4_: ; @_ZL18rocblas_dot_kernelIlLb1ELi1024ELi32ELb1EfPKffEviT5_lT_lS2_lS3_liPT6_PT4_
; %bb.0:
	s_clause 0x1
	s_load_b32 s18, s[0:1], 0x0
	s_load_b64 s[2:3], s[0:1], 0x58
	v_mov_b32_e32 v6, 0
	s_mov_b32 s16, s15
	s_mov_b32 s17, 0
	s_mov_b32 s19, exec_lo
	s_waitcnt lgkmcnt(0)
	v_cmpx_gt_i32_e64 s18, v0
	s_cbranch_execz .LBB604_4
; %bb.1:
	s_clause 0x4
	s_load_b32 s24, s[0:1], 0x60
	s_load_b256 s[4:11], s[0:1], 0x20
	s_load_b128 s[12:15], s[0:1], 0x10
	s_load_b64 s[20:21], s[0:1], 0x40
	s_load_b64 s[22:23], s[0:1], 0x8
	s_waitcnt lgkmcnt(0)
	s_lshl_b32 s1, s24, 10
	v_mad_u64_u32 v[3:4], null, s10, v0, 0
	v_mad_u64_u32 v[1:2], null, s14, v0, 0
	v_or_b32_e32 v5, s1, v0
	s_mul_i32 s0, s5, s16
	s_mul_hi_u32 s5, s4, s16
	s_mul_i32 s4, s4, s16
	s_add_i32 s5, s5, s0
	s_lshl_b64 s[12:13], s[12:13], 2
	s_delay_alu instid0(VALU_DEP_2)
	v_mad_u64_u32 v[6:7], null, s15, v0, v[2:3]
	v_mad_u64_u32 v[7:8], null, s11, v0, v[4:5]
	s_lshl_b64 s[4:5], s[4:5], 2
	s_add_u32 s12, s22, s12
	s_addc_u32 s13, s23, s13
	s_add_u32 s22, s12, s4
	s_delay_alu instid0(VALU_DEP_2)
	v_mov_b32_e32 v2, v6
	s_addc_u32 s23, s13, s5
	s_ashr_i32 s4, s1, 31
	s_mul_hi_u32 s0, s14, s1
	s_mul_i32 s5, s14, s4
	v_mov_b32_e32 v4, v7
	s_mul_i32 s21, s21, s16
	s_mul_hi_u32 s25, s20, s16
	s_mul_i32 s26, s15, s1
	s_add_i32 s0, s0, s5
	v_lshlrev_b64 v[1:2], 2, v[1:2]
	s_mul_i32 s20, s20, s16
	s_mul_i32 s24, s14, s1
	s_add_i32 s21, s25, s21
	s_add_i32 s25, s0, s26
	s_lshl_b64 s[8:9], s[8:9], 2
	v_lshlrev_b64 v[3:4], 2, v[3:4]
	s_lshl_b64 s[12:13], s[20:21], 2
	s_mul_i32 s0, s10, s4
	s_lshl_b64 s[4:5], s[24:25], 2
	s_add_u32 s6, s6, s8
	s_addc_u32 s7, s7, s9
	v_add_co_u32 v1, vcc_lo, s22, v1
	s_add_u32 s6, s6, s12
	v_add_co_ci_u32_e32 v2, vcc_lo, s23, v2, vcc_lo
	s_mul_hi_u32 s8, s10, s1
	s_addc_u32 s7, s7, s13
	v_add_co_u32 v3, vcc_lo, s6, v3
	s_add_i32 s0, s8, s0
	s_mul_i32 s8, s11, s1
	v_add_co_ci_u32_e32 v4, vcc_lo, s7, v4, vcc_lo
	v_mov_b32_e32 v6, 0
	s_add_i32 s7, s0, s8
	s_mul_i32 s6, s10, s1
	s_mov_b32 s8, s17
	s_lshl_b64 s[6:7], s[6:7], 2
	s_mov_b32 s9, s17
	.p2align	6
.LBB604_2:                              ; =>This Inner Loop Header: Depth=1
	global_load_b32 v7, v[3:4], off
	global_load_b32 v8, v[1:2], off
	v_add_co_u32 v1, s0, v1, s4
	s_delay_alu instid0(VALU_DEP_1)
	v_add_co_ci_u32_e64 v2, s0, s5, v2, s0
	s_add_i32 s10, s9, 1
	v_cmp_le_i32_e32 vcc_lo, s18, v5
	v_add_co_u32 v3, s0, v3, s6
	s_cmp_gt_u32 s9, 30
	v_add_co_ci_u32_e64 v4, s0, s7, v4, s0
	s_cselect_b32 s0, -1, 0
	v_add_nc_u32_e32 v5, s1, v5
	s_or_b32 s0, s0, vcc_lo
	s_mov_b32 s9, s10
	s_and_b32 s0, exec_lo, s0
	s_delay_alu instid0(SALU_CYCLE_1)
	s_or_b32 s8, s0, s8
	s_waitcnt vmcnt(0)
	v_fmac_f32_e32 v6, v7, v8
	s_and_not1_b32 exec_lo, exec_lo, s8
	s_cbranch_execnz .LBB604_2
; %bb.3:
	s_or_b32 exec_lo, exec_lo, s8
.LBB604_4:
	s_delay_alu instid0(SALU_CYCLE_1) | instskip(SKIP_2) | instid1(VALU_DEP_2)
	s_or_b32 exec_lo, exec_lo, s19
	v_and_b32_e32 v7, 31, v0
	v_cmp_gt_u32_e32 vcc_lo, 32, v0
	v_lshlrev_b32_e32 v1, 2, v7
	s_and_saveexec_b32 s0, vcc_lo
	s_cbranch_execz .LBB604_6
; %bb.5:
	v_mov_b32_e32 v2, 0
	ds_store_b32 v1, v2
.LBB604_6:
	s_or_b32 exec_lo, exec_lo, s0
	v_mbcnt_lo_u32_b32 v8, -1, 0
	s_mov_b32 s1, exec_lo
	s_waitcnt lgkmcnt(0)
	s_barrier
	buffer_gl0_inv
	v_cmp_gt_u32_e64 s0, 16, v8
	s_delay_alu instid0(VALU_DEP_1) | instskip(SKIP_1) | instid1(VALU_DEP_2)
	v_cndmask_b32_e64 v2, 0, 1, s0
	v_cmp_gt_u32_e64 s0, 24, v8
	v_lshlrev_b32_e32 v2, 4, v2
	s_delay_alu instid0(VALU_DEP_2) | instskip(SKIP_1) | instid1(VALU_DEP_3)
	v_cndmask_b32_e64 v3, 0, 1, s0
	v_cmp_gt_u32_e64 s0, 28, v8
	v_add_lshl_u32 v2, v2, v8, 2
	ds_bpermute_b32 v4, v2, v6
	s_waitcnt lgkmcnt(0)
	v_add_f32_e32 v5, v6, v4
	v_lshlrev_b32_e32 v3, 3, v3
	v_cndmask_b32_e64 v4, 0, 1, s0
	v_cmp_gt_u32_e64 s0, 30, v8
	s_delay_alu instid0(VALU_DEP_3) | instskip(NEXT) | instid1(VALU_DEP_3)
	v_add_lshl_u32 v3, v3, v8, 2
	v_lshlrev_b32_e32 v4, 2, v4
	ds_bpermute_b32 v6, v3, v5
	v_add_lshl_u32 v4, v4, v8, 2
	s_waitcnt lgkmcnt(0)
	v_add_f32_e32 v6, v5, v6
	v_cndmask_b32_e64 v5, 0, 1, s0
	v_cmp_ne_u32_e64 s0, 31, v8
	ds_bpermute_b32 v9, v4, v6
	v_lshlrev_b32_e32 v5, 1, v5
	v_add_co_ci_u32_e64 v10, s0, 0, v8, s0
	s_delay_alu instid0(VALU_DEP_2)
	v_add_lshl_u32 v5, v5, v8, 2
	s_waitcnt lgkmcnt(0)
	v_add_f32_e32 v6, v6, v9
	ds_bpermute_b32 v9, v5, v6
	s_waitcnt lgkmcnt(0)
	v_add_f32_e32 v8, v6, v9
	v_lshlrev_b32_e32 v6, 2, v10
	ds_bpermute_b32 v9, v6, v8
	v_cmpx_eq_u32_e32 0, v7
	s_cbranch_execz .LBB604_8
; %bb.7:
	v_lshrrev_b32_e32 v7, 3, v0
	s_waitcnt lgkmcnt(0)
	s_delay_alu instid0(VALU_DEP_1)
	v_dual_add_f32 v8, v8, v9 :: v_dual_and_b32 v7, 0x7c, v7
	ds_store_b32 v7, v8
.LBB604_8:
	s_or_b32 exec_lo, exec_lo, s1
	v_mov_b32_e32 v7, 0
	s_waitcnt lgkmcnt(0)
	s_barrier
	buffer_gl0_inv
	s_and_saveexec_b32 s0, vcc_lo
	s_cbranch_execz .LBB604_10
; %bb.9:
	ds_load_b32 v7, v1
.LBB604_10:
	s_or_b32 exec_lo, exec_lo, s0
	s_and_saveexec_b32 s0, vcc_lo
	s_cbranch_execz .LBB604_12
; %bb.11:
	s_waitcnt lgkmcnt(0)
	ds_bpermute_b32 v1, v2, v7
	s_waitcnt lgkmcnt(0)
	v_add_f32_e32 v1, v7, v1
	ds_bpermute_b32 v2, v3, v1
	s_waitcnt lgkmcnt(0)
	v_add_f32_e32 v1, v1, v2
	;; [unrolled: 3-line block ×5, first 2 shown]
.LBB604_12:
	s_or_b32 exec_lo, exec_lo, s0
	s_delay_alu instid0(SALU_CYCLE_1)
	s_mov_b32 s0, exec_lo
	v_cmpx_eq_u32_e32 0, v0
	s_cbranch_execz .LBB604_14
; %bb.13:
	s_lshl_b64 s[0:1], s[16:17], 2
	v_mov_b32_e32 v0, 0
	s_add_u32 s0, s2, s0
	s_addc_u32 s1, s3, s1
	s_waitcnt lgkmcnt(0)
	global_store_b32 v0, v7, s[0:1]
.LBB604_14:
	s_nop 0
	s_sendmsg sendmsg(MSG_DEALLOC_VGPRS)
	s_endpgm
	.section	.rodata,"a",@progbits
	.p2align	6, 0x0
	.amdhsa_kernel _ZL18rocblas_dot_kernelIlLb1ELi1024ELi32ELb1EfPKffEviT5_lT_lS2_lS3_liPT6_PT4_
		.amdhsa_group_segment_fixed_size 128
		.amdhsa_private_segment_fixed_size 0
		.amdhsa_kernarg_size 352
		.amdhsa_user_sgpr_count 14
		.amdhsa_user_sgpr_dispatch_ptr 0
		.amdhsa_user_sgpr_queue_ptr 0
		.amdhsa_user_sgpr_kernarg_segment_ptr 1
		.amdhsa_user_sgpr_dispatch_id 0
		.amdhsa_user_sgpr_private_segment_size 0
		.amdhsa_wavefront_size32 1
		.amdhsa_uses_dynamic_stack 0
		.amdhsa_enable_private_segment 0
		.amdhsa_system_sgpr_workgroup_id_x 1
		.amdhsa_system_sgpr_workgroup_id_y 0
		.amdhsa_system_sgpr_workgroup_id_z 1
		.amdhsa_system_sgpr_workgroup_info 0
		.amdhsa_system_vgpr_workitem_id 0
		.amdhsa_next_free_vgpr 11
		.amdhsa_next_free_sgpr 27
		.amdhsa_reserve_vcc 1
		.amdhsa_float_round_mode_32 0
		.amdhsa_float_round_mode_16_64 0
		.amdhsa_float_denorm_mode_32 3
		.amdhsa_float_denorm_mode_16_64 3
		.amdhsa_dx10_clamp 1
		.amdhsa_ieee_mode 1
		.amdhsa_fp16_overflow 0
		.amdhsa_workgroup_processor_mode 1
		.amdhsa_memory_ordered 1
		.amdhsa_forward_progress 0
		.amdhsa_shared_vgpr_count 0
		.amdhsa_exception_fp_ieee_invalid_op 0
		.amdhsa_exception_fp_denorm_src 0
		.amdhsa_exception_fp_ieee_div_zero 0
		.amdhsa_exception_fp_ieee_overflow 0
		.amdhsa_exception_fp_ieee_underflow 0
		.amdhsa_exception_fp_ieee_inexact 0
		.amdhsa_exception_int_div_zero 0
	.end_amdhsa_kernel
	.section	.text._ZL18rocblas_dot_kernelIlLb1ELi1024ELi32ELb1EfPKffEviT5_lT_lS2_lS3_liPT6_PT4_,"axG",@progbits,_ZL18rocblas_dot_kernelIlLb1ELi1024ELi32ELb1EfPKffEviT5_lT_lS2_lS3_liPT6_PT4_,comdat
.Lfunc_end604:
	.size	_ZL18rocblas_dot_kernelIlLb1ELi1024ELi32ELb1EfPKffEviT5_lT_lS2_lS3_liPT6_PT4_, .Lfunc_end604-_ZL18rocblas_dot_kernelIlLb1ELi1024ELi32ELb1EfPKffEviT5_lT_lS2_lS3_liPT6_PT4_
                                        ; -- End function
	.section	.AMDGPU.csdata,"",@progbits
; Kernel info:
; codeLenInByte = 988
; NumSgprs: 29
; NumVgprs: 11
; ScratchSize: 0
; MemoryBound: 0
; FloatMode: 240
; IeeeMode: 1
; LDSByteSize: 128 bytes/workgroup (compile time only)
; SGPRBlocks: 3
; VGPRBlocks: 1
; NumSGPRsForWavesPerEU: 29
; NumVGPRsForWavesPerEU: 11
; Occupancy: 16
; WaveLimiterHint : 0
; COMPUTE_PGM_RSRC2:SCRATCH_EN: 0
; COMPUTE_PGM_RSRC2:USER_SGPR: 14
; COMPUTE_PGM_RSRC2:TRAP_HANDLER: 0
; COMPUTE_PGM_RSRC2:TGID_X_EN: 1
; COMPUTE_PGM_RSRC2:TGID_Y_EN: 0
; COMPUTE_PGM_RSRC2:TGID_Z_EN: 1
; COMPUTE_PGM_RSRC2:TIDIG_COMP_CNT: 0
	.section	.text._ZL24rocblas_dot_kernel_magsqIlLb1ELi1024ELi32ELb1EfPKffEviT5_lT_liPT6_PT4_,"axG",@progbits,_ZL24rocblas_dot_kernel_magsqIlLb1ELi1024ELi32ELb1EfPKffEviT5_lT_liPT6_PT4_,comdat
	.globl	_ZL24rocblas_dot_kernel_magsqIlLb1ELi1024ELi32ELb1EfPKffEviT5_lT_liPT6_PT4_ ; -- Begin function _ZL24rocblas_dot_kernel_magsqIlLb1ELi1024ELi32ELb1EfPKffEviT5_lT_liPT6_PT4_
	.p2align	8
	.type	_ZL24rocblas_dot_kernel_magsqIlLb1ELi1024ELi32ELb1EfPKffEviT5_lT_liPT6_PT4_,@function
_ZL24rocblas_dot_kernel_magsqIlLb1ELi1024ELi32ELb1EfPKffEviT5_lT_liPT6_PT4_: ; @_ZL24rocblas_dot_kernel_magsqIlLb1ELi1024ELi32ELb1EfPKffEviT5_lT_liPT6_PT4_
; %bb.0:
	s_clause 0x1
	s_load_b32 s8, s[0:1], 0x0
	s_load_b64 s[2:3], s[0:1], 0x38
	v_mov_b32_e32 v3, 0
	s_mov_b32 s4, s15
	s_mov_b32 s5, 0
	s_mov_b32 s9, exec_lo
	s_waitcnt lgkmcnt(0)
	v_cmpx_gt_i32_e64 s8, v0
	s_cbranch_execz .LBB605_4
; %bb.1:
	s_clause 0x3
	s_load_b128 s[12:15], s[0:1], 0x10
	s_load_b32 s16, s[0:1], 0x40
	s_load_b64 s[6:7], s[0:1], 0x20
	s_load_b64 s[10:11], s[0:1], 0x8
	s_waitcnt lgkmcnt(0)
	v_mad_u64_u32 v[1:2], null, s14, v0, 0
	s_mul_i32 s0, s7, s4
	s_mul_hi_u32 s7, s6, s4
	s_mul_i32 s6, s6, s4
	s_add_i32 s7, s7, s0
	s_lshl_b64 s[12:13], s[12:13], 2
	s_lshl_b32 s1, s16, 10
	s_delay_alu instid0(VALU_DEP_1)
	v_mad_u64_u32 v[3:4], null, s15, v0, v[2:3]
	s_lshl_b64 s[6:7], s[6:7], 2
	s_add_u32 s0, s10, s12
	s_addc_u32 s10, s11, s13
	s_add_u32 s0, s0, s6
	s_addc_u32 s10, s10, s7
	s_ashr_i32 s6, s1, 31
	s_delay_alu instid0(VALU_DEP_1) | instskip(SKIP_3) | instid1(VALU_DEP_1)
	v_dual_mov_b32 v2, v3 :: v_dual_mov_b32 v3, 0
	s_mul_hi_u32 s7, s14, s1
	s_mul_i32 s6, s14, s6
	s_mul_i32 s11, s15, s1
	v_lshlrev_b64 v[1:2], 2, v[1:2]
	s_add_i32 s7, s7, s6
	v_or_b32_e32 v4, s1, v0
	s_mul_i32 s6, s14, s1
	s_add_i32 s7, s7, s11
	s_mov_b32 s11, s5
	v_add_co_u32 v1, vcc_lo, s0, v1
	v_add_co_ci_u32_e32 v2, vcc_lo, s10, v2, vcc_lo
	s_lshl_b64 s[6:7], s[6:7], 2
	s_mov_b32 s10, s5
	.p2align	6
.LBB605_2:                              ; =>This Inner Loop Header: Depth=1
	global_load_b32 v5, v[1:2], off
	s_add_i32 s12, s11, 1
	v_cmp_le_i32_e32 vcc_lo, s8, v4
	v_add_co_u32 v1, s0, v1, s6
	s_cmp_gt_u32 s11, 30
	v_add_co_ci_u32_e64 v2, s0, s7, v2, s0
	s_cselect_b32 s0, -1, 0
	v_add_nc_u32_e32 v4, s1, v4
	s_or_b32 s0, s0, vcc_lo
	s_mov_b32 s11, s12
	s_and_b32 s0, exec_lo, s0
	s_delay_alu instid0(SALU_CYCLE_1)
	s_or_b32 s10, s0, s10
	s_waitcnt vmcnt(0)
	v_fmac_f32_e32 v3, v5, v5
	s_and_not1_b32 exec_lo, exec_lo, s10
	s_cbranch_execnz .LBB605_2
; %bb.3:
	s_or_b32 exec_lo, exec_lo, s10
.LBB605_4:
	s_delay_alu instid0(SALU_CYCLE_1) | instskip(SKIP_2) | instid1(VALU_DEP_2)
	s_or_b32 exec_lo, exec_lo, s9
	v_and_b32_e32 v7, 31, v0
	v_cmp_gt_u32_e32 vcc_lo, 32, v0
	v_lshlrev_b32_e32 v1, 2, v7
	s_and_saveexec_b32 s0, vcc_lo
	s_cbranch_execz .LBB605_6
; %bb.5:
	v_mov_b32_e32 v2, 0
	ds_store_b32 v1, v2
.LBB605_6:
	s_or_b32 exec_lo, exec_lo, s0
	v_mbcnt_lo_u32_b32 v6, -1, 0
	s_mov_b32 s1, exec_lo
	s_waitcnt lgkmcnt(0)
	s_barrier
	buffer_gl0_inv
	v_cmp_gt_u32_e64 s0, 16, v6
	s_delay_alu instid0(VALU_DEP_1) | instskip(SKIP_1) | instid1(VALU_DEP_2)
	v_cndmask_b32_e64 v2, 0, 1, s0
	v_cmp_gt_u32_e64 s0, 24, v6
	v_lshlrev_b32_e32 v2, 4, v2
	s_delay_alu instid0(VALU_DEP_2) | instskip(SKIP_1) | instid1(VALU_DEP_3)
	v_cndmask_b32_e64 v4, 0, 1, s0
	v_cmp_gt_u32_e64 s0, 28, v6
	v_add_lshl_u32 v2, v2, v6, 2
	s_delay_alu instid0(VALU_DEP_3)
	v_lshlrev_b32_e32 v4, 3, v4
	ds_bpermute_b32 v5, v2, v3
	v_add_lshl_u32 v4, v4, v6, 2
	s_waitcnt lgkmcnt(0)
	v_add_f32_e32 v5, v3, v5
	v_cndmask_b32_e64 v3, 0, 1, s0
	v_cmp_gt_u32_e64 s0, 30, v6
	ds_bpermute_b32 v8, v4, v5
	s_waitcnt lgkmcnt(0)
	v_dual_add_f32 v8, v5, v8 :: v_dual_lshlrev_b32 v3, 2, v3
	s_delay_alu instid0(VALU_DEP_1) | instskip(SKIP_4) | instid1(VALU_DEP_1)
	v_add_lshl_u32 v3, v3, v6, 2
	v_cndmask_b32_e64 v5, 0, 1, s0
	v_cmp_ne_u32_e64 s0, 31, v6
	ds_bpermute_b32 v9, v3, v8
	v_lshlrev_b32_e32 v5, 1, v5
	v_add_lshl_u32 v5, v5, v6, 2
	v_add_co_ci_u32_e64 v6, s0, 0, v6, s0
	s_delay_alu instid0(VALU_DEP_1)
	v_lshlrev_b32_e32 v6, 2, v6
	s_waitcnt lgkmcnt(0)
	v_add_f32_e32 v8, v8, v9
	ds_bpermute_b32 v9, v5, v8
	s_waitcnt lgkmcnt(0)
	v_add_f32_e32 v8, v8, v9
	ds_bpermute_b32 v9, v6, v8
	v_cmpx_eq_u32_e32 0, v7
	s_cbranch_execz .LBB605_8
; %bb.7:
	v_lshrrev_b32_e32 v7, 3, v0
	s_waitcnt lgkmcnt(0)
	s_delay_alu instid0(VALU_DEP_1)
	v_dual_add_f32 v8, v8, v9 :: v_dual_and_b32 v7, 0x7c, v7
	ds_store_b32 v7, v8
.LBB605_8:
	s_or_b32 exec_lo, exec_lo, s1
	v_mov_b32_e32 v7, 0
	s_waitcnt lgkmcnt(0)
	s_barrier
	buffer_gl0_inv
	s_and_saveexec_b32 s0, vcc_lo
	s_cbranch_execz .LBB605_10
; %bb.9:
	ds_load_b32 v7, v1
.LBB605_10:
	s_or_b32 exec_lo, exec_lo, s0
	s_and_saveexec_b32 s0, vcc_lo
	s_cbranch_execz .LBB605_12
; %bb.11:
	s_waitcnt lgkmcnt(0)
	ds_bpermute_b32 v1, v2, v7
	s_waitcnt lgkmcnt(0)
	v_add_f32_e32 v1, v7, v1
	ds_bpermute_b32 v2, v4, v1
	s_waitcnt lgkmcnt(0)
	v_add_f32_e32 v1, v1, v2
	;; [unrolled: 3-line block ×5, first 2 shown]
.LBB605_12:
	s_or_b32 exec_lo, exec_lo, s0
	s_delay_alu instid0(SALU_CYCLE_1)
	s_mov_b32 s0, exec_lo
	v_cmpx_eq_u32_e32 0, v0
	s_cbranch_execz .LBB605_14
; %bb.13:
	s_lshl_b64 s[0:1], s[4:5], 2
	v_mov_b32_e32 v0, 0
	s_add_u32 s0, s2, s0
	s_addc_u32 s1, s3, s1
	s_waitcnt lgkmcnt(0)
	global_store_b32 v0, v7, s[0:1]
.LBB605_14:
	s_nop 0
	s_sendmsg sendmsg(MSG_DEALLOC_VGPRS)
	s_endpgm
	.section	.rodata,"a",@progbits
	.p2align	6, 0x0
	.amdhsa_kernel _ZL24rocblas_dot_kernel_magsqIlLb1ELi1024ELi32ELb1EfPKffEviT5_lT_liPT6_PT4_
		.amdhsa_group_segment_fixed_size 128
		.amdhsa_private_segment_fixed_size 0
		.amdhsa_kernarg_size 320
		.amdhsa_user_sgpr_count 14
		.amdhsa_user_sgpr_dispatch_ptr 0
		.amdhsa_user_sgpr_queue_ptr 0
		.amdhsa_user_sgpr_kernarg_segment_ptr 1
		.amdhsa_user_sgpr_dispatch_id 0
		.amdhsa_user_sgpr_private_segment_size 0
		.amdhsa_wavefront_size32 1
		.amdhsa_uses_dynamic_stack 0
		.amdhsa_enable_private_segment 0
		.amdhsa_system_sgpr_workgroup_id_x 1
		.amdhsa_system_sgpr_workgroup_id_y 0
		.amdhsa_system_sgpr_workgroup_id_z 1
		.amdhsa_system_sgpr_workgroup_info 0
		.amdhsa_system_vgpr_workitem_id 0
		.amdhsa_next_free_vgpr 10
		.amdhsa_next_free_sgpr 17
		.amdhsa_reserve_vcc 1
		.amdhsa_float_round_mode_32 0
		.amdhsa_float_round_mode_16_64 0
		.amdhsa_float_denorm_mode_32 3
		.amdhsa_float_denorm_mode_16_64 3
		.amdhsa_dx10_clamp 1
		.amdhsa_ieee_mode 1
		.amdhsa_fp16_overflow 0
		.amdhsa_workgroup_processor_mode 1
		.amdhsa_memory_ordered 1
		.amdhsa_forward_progress 0
		.amdhsa_shared_vgpr_count 0
		.amdhsa_exception_fp_ieee_invalid_op 0
		.amdhsa_exception_fp_denorm_src 0
		.amdhsa_exception_fp_ieee_div_zero 0
		.amdhsa_exception_fp_ieee_overflow 0
		.amdhsa_exception_fp_ieee_underflow 0
		.amdhsa_exception_fp_ieee_inexact 0
		.amdhsa_exception_int_div_zero 0
	.end_amdhsa_kernel
	.section	.text._ZL24rocblas_dot_kernel_magsqIlLb1ELi1024ELi32ELb1EfPKffEviT5_lT_liPT6_PT4_,"axG",@progbits,_ZL24rocblas_dot_kernel_magsqIlLb1ELi1024ELi32ELb1EfPKffEviT5_lT_liPT6_PT4_,comdat
.Lfunc_end605:
	.size	_ZL24rocblas_dot_kernel_magsqIlLb1ELi1024ELi32ELb1EfPKffEviT5_lT_liPT6_PT4_, .Lfunc_end605-_ZL24rocblas_dot_kernel_magsqIlLb1ELi1024ELi32ELb1EfPKffEviT5_lT_liPT6_PT4_
                                        ; -- End function
	.section	.AMDGPU.csdata,"",@progbits
; Kernel info:
; codeLenInByte = 848
; NumSgprs: 19
; NumVgprs: 10
; ScratchSize: 0
; MemoryBound: 0
; FloatMode: 240
; IeeeMode: 1
; LDSByteSize: 128 bytes/workgroup (compile time only)
; SGPRBlocks: 2
; VGPRBlocks: 1
; NumSGPRsForWavesPerEU: 19
; NumVGPRsForWavesPerEU: 10
; Occupancy: 16
; WaveLimiterHint : 0
; COMPUTE_PGM_RSRC2:SCRATCH_EN: 0
; COMPUTE_PGM_RSRC2:USER_SGPR: 14
; COMPUTE_PGM_RSRC2:TRAP_HANDLER: 0
; COMPUTE_PGM_RSRC2:TGID_X_EN: 1
; COMPUTE_PGM_RSRC2:TGID_Y_EN: 0
; COMPUTE_PGM_RSRC2:TGID_Z_EN: 1
; COMPUTE_PGM_RSRC2:TIDIG_COMP_CNT: 0
	.section	.text._ZL18rocblas_dot_kernelIlLb0ELi512ELi4ELb1EfPKffEviT5_lT_lS2_lS3_liPT6_PT4_,"axG",@progbits,_ZL18rocblas_dot_kernelIlLb0ELi512ELi4ELb1EfPKffEviT5_lT_lS2_lS3_liPT6_PT4_,comdat
	.globl	_ZL18rocblas_dot_kernelIlLb0ELi512ELi4ELb1EfPKffEviT5_lT_lS2_lS3_liPT6_PT4_ ; -- Begin function _ZL18rocblas_dot_kernelIlLb0ELi512ELi4ELb1EfPKffEviT5_lT_lS2_lS3_liPT6_PT4_
	.p2align	8
	.type	_ZL18rocblas_dot_kernelIlLb0ELi512ELi4ELb1EfPKffEviT5_lT_lS2_lS3_liPT6_PT4_,@function
_ZL18rocblas_dot_kernelIlLb0ELi512ELi4ELb1EfPKffEviT5_lT_lS2_lS3_liPT6_PT4_: ; @_ZL18rocblas_dot_kernelIlLb0ELi512ELi4ELb1EfPKffEviT5_lT_lS2_lS3_liPT6_PT4_
; %bb.0:
	s_clause 0x2
	s_load_b32 s12, s[0:1], 0x60
	s_load_b32 s13, s[0:1], 0x0
	s_load_b128 s[16:19], s[0:1], 0x50
	v_lshl_or_b32 v1, s14, 9, v0
	v_mov_b32_e32 v6, 0
	s_mov_b32 s2, s15
	s_mov_b32 s3, 0
	s_mov_b32 s15, exec_lo
	s_waitcnt lgkmcnt(0)
	v_cmpx_gt_i32_e64 s13, v1
	s_cbranch_execz .LBB606_4
; %bb.1:
	s_clause 0x2
	s_load_b128 s[20:23], s[0:1], 0x10
	s_load_b256 s[4:11], s[0:1], 0x20
	s_load_b64 s[26:27], s[0:1], 0x8
	v_ashrrev_i32_e32 v4, 31, v1
	s_load_b64 s[0:1], s[0:1], 0x40
	s_lshl_b32 s24, s12, 9
	s_delay_alu instid0(SALU_CYCLE_1)
	v_add_nc_u32_e32 v5, s24, v1
	s_waitcnt lgkmcnt(0)
	v_mul_lo_u32 v8, s23, v1
	v_mul_lo_u32 v9, s22, v4
	v_mad_u64_u32 v[2:3], null, s22, v1, 0
	s_mul_i32 s5, s5, s2
	s_mul_hi_u32 s25, s4, s2
	s_mul_i32 s4, s4, s2
	v_mul_lo_u32 v10, s11, v1
	v_mul_lo_u32 v4, s10, v4
	s_add_i32 s5, s25, s5
	s_delay_alu instid0(VALU_DEP_3)
	v_add3_u32 v3, v3, v9, v8
	v_mad_u64_u32 v[6:7], null, s10, v1, 0
	s_lshl_b64 s[20:21], s[20:21], 2
	s_lshl_b64 s[4:5], s[4:5], 2
	s_add_u32 s20, s26, s20
	s_addc_u32 s21, s27, s21
	v_lshlrev_b64 v[1:2], 2, v[2:3]
	s_add_u32 s20, s20, s4
	s_addc_u32 s21, s21, s5
	s_ashr_i32 s25, s24, 31
	s_mul_hi_u32 s4, s22, s24
	s_mul_i32 s5, s22, s25
	v_add3_u32 v7, v7, v4, v10
	s_mul_i32 s23, s23, s24
	s_add_i32 s5, s4, s5
	v_add_co_u32 v1, vcc_lo, s20, v1
	s_mul_i32 s1, s1, s2
	s_mul_hi_u32 s20, s0, s2
	s_mul_i32 s4, s22, s24
	s_add_i32 s5, s5, s23
	s_add_i32 s1, s20, s1
	s_mul_i32 s0, s0, s2
	v_lshlrev_b64 v[3:4], 2, v[6:7]
	v_mov_b32_e32 v6, 0
	s_lshl_b64 s[8:9], s[8:9], 2
	s_lshl_b64 s[4:5], s[4:5], 2
	;; [unrolled: 1-line block ×3, first 2 shown]
	s_add_u32 s6, s6, s8
	s_addc_u32 s7, s7, s9
	s_add_u32 s0, s6, s0
	v_add_co_ci_u32_e32 v2, vcc_lo, s21, v2, vcc_lo
	s_mul_i32 s6, s10, s25
	s_mul_hi_u32 s8, s10, s24
	s_addc_u32 s1, s7, s1
	v_add_co_u32 v3, vcc_lo, s0, v3
	s_add_i32 s6, s8, s6
	s_mul_i32 s7, s11, s24
	v_add_co_ci_u32_e32 v4, vcc_lo, s1, v4, vcc_lo
	s_add_i32 s1, s6, s7
	s_mul_i32 s0, s10, s24
	s_mov_b32 s8, s3
	s_lshl_b64 s[6:7], s[0:1], 2
	s_mov_b32 s1, s3
	.p2align	6
.LBB606_2:                              ; =>This Inner Loop Header: Depth=1
	global_load_b32 v7, v[3:4], off
	global_load_b32 v8, v[1:2], off
	v_add_co_u32 v1, s0, v1, s4
	s_delay_alu instid0(VALU_DEP_1)
	v_add_co_ci_u32_e64 v2, s0, s5, v2, s0
	s_add_i32 s9, s8, 1
	v_cmp_le_i32_e32 vcc_lo, s13, v5
	v_add_co_u32 v3, s0, v3, s6
	s_cmp_gt_u32 s8, 2
	v_add_co_ci_u32_e64 v4, s0, s7, v4, s0
	s_cselect_b32 s0, -1, 0
	v_add_nc_u32_e32 v5, s24, v5
	s_or_b32 s0, s0, vcc_lo
	s_mov_b32 s8, s9
	s_and_b32 s0, exec_lo, s0
	s_delay_alu instid0(SALU_CYCLE_1)
	s_or_b32 s1, s0, s1
	s_waitcnt vmcnt(0)
	v_fmac_f32_e32 v6, v7, v8
	s_and_not1_b32 exec_lo, exec_lo, s1
	s_cbranch_execnz .LBB606_2
; %bb.3:
	s_or_b32 exec_lo, exec_lo, s1
.LBB606_4:
	s_delay_alu instid0(SALU_CYCLE_1) | instskip(SKIP_2) | instid1(VALU_DEP_2)
	s_or_b32 exec_lo, exec_lo, s15
	v_and_b32_e32 v2, 31, v0
	v_cmp_gt_u32_e32 vcc_lo, 32, v0
	v_lshlrev_b32_e32 v1, 2, v2
	s_and_saveexec_b32 s0, vcc_lo
	s_cbranch_execz .LBB606_6
; %bb.5:
	v_mov_b32_e32 v3, 0
	ds_store_b32 v1, v3
.LBB606_6:
	s_or_b32 exec_lo, exec_lo, s0
	v_mbcnt_lo_u32_b32 v7, -1, 0
	s_mov_b32 s1, exec_lo
	s_waitcnt lgkmcnt(0)
	s_barrier
	buffer_gl0_inv
	v_cmp_gt_u32_e64 s0, 16, v7
	s_delay_alu instid0(VALU_DEP_1) | instskip(SKIP_1) | instid1(VALU_DEP_2)
	v_cndmask_b32_e64 v3, 0, 1, s0
	v_cmp_gt_u32_e64 s0, 24, v7
	v_lshlrev_b32_e32 v3, 4, v3
	s_delay_alu instid0(VALU_DEP_1) | instskip(SKIP_3) | instid1(VALU_DEP_2)
	v_add_lshl_u32 v3, v3, v7, 2
	ds_bpermute_b32 v4, v3, v6
	v_cndmask_b32_e64 v3, 0, 1, s0
	v_cmp_gt_u32_e64 s0, 28, v7
	v_lshlrev_b32_e32 v3, 3, v3
	s_delay_alu instid0(VALU_DEP_1)
	v_add_lshl_u32 v3, v3, v7, 2
	s_waitcnt lgkmcnt(0)
	v_add_f32_e32 v5, v6, v4
	v_cndmask_b32_e64 v4, 0, 1, s0
	v_cmp_gt_u32_e64 s0, 30, v7
	ds_bpermute_b32 v6, v3, v5
	v_lshlrev_b32_e32 v4, 2, v4
	s_delay_alu instid0(VALU_DEP_1)
	v_add_lshl_u32 v4, v4, v7, 2
	s_waitcnt lgkmcnt(0)
	v_add_f32_e32 v6, v5, v6
	v_cndmask_b32_e64 v5, 0, 1, s0
	v_cmp_ne_u32_e64 s0, 31, v7
	ds_bpermute_b32 v8, v4, v6
	v_lshlrev_b32_e32 v5, 1, v5
	v_add_co_ci_u32_e64 v9, s0, 0, v7, s0
	s_delay_alu instid0(VALU_DEP_2)
	v_add_lshl_u32 v5, v5, v7, 2
	s_waitcnt lgkmcnt(0)
	v_add_f32_e32 v6, v6, v8
	ds_bpermute_b32 v8, v5, v6
	s_waitcnt lgkmcnt(0)
	v_dual_add_f32 v7, v6, v8 :: v_dual_lshlrev_b32 v6, 2, v9
	ds_bpermute_b32 v8, v6, v7
	v_cmpx_eq_u32_e32 0, v2
	s_cbranch_execz .LBB606_8
; %bb.7:
	v_lshrrev_b32_e32 v2, 3, v0
	s_waitcnt lgkmcnt(0)
	s_delay_alu instid0(VALU_DEP_1)
	v_dual_add_f32 v7, v7, v8 :: v_dual_and_b32 v2, 60, v2
	ds_store_b32 v2, v7
.LBB606_8:
	s_or_b32 exec_lo, exec_lo, s1
	v_mov_b32_e32 v2, 0
	s_mov_b32 s1, exec_lo
	s_waitcnt lgkmcnt(0)
	s_barrier
	buffer_gl0_inv
	v_cmpx_gt_u32_e32 16, v0
	s_cbranch_execz .LBB606_10
; %bb.9:
	ds_load_b32 v2, v1
.LBB606_10:
	s_or_b32 exec_lo, exec_lo, s1
	s_and_saveexec_b32 s0, vcc_lo
	s_cbranch_execz .LBB606_12
; %bb.11:
	s_waitcnt lgkmcnt(0)
	ds_bpermute_b32 v1, v3, v2
	s_waitcnt lgkmcnt(0)
	v_add_f32_e32 v1, v2, v1
	ds_bpermute_b32 v2, v4, v1
	s_waitcnt lgkmcnt(0)
	v_add_f32_e32 v1, v1, v2
	;; [unrolled: 3-line block ×4, first 2 shown]
.LBB606_12:
	s_or_b32 exec_lo, exec_lo, s0
	s_delay_alu instid0(SALU_CYCLE_1)
	s_mov_b32 s0, exec_lo
	v_cmpx_eq_u32_e32 0, v0
	s_cbranch_execz .LBB606_18
; %bb.13:
	s_cmp_lg_u32 s12, 1
	s_cbranch_scc0 .LBB606_15
; %bb.14:
	s_mul_hi_u32 s1, s12, s2
	s_mul_i32 s0, s12, s2
	s_mov_b32 s15, 0
	s_lshl_b64 s[0:1], s[0:1], 2
	s_delay_alu instid0(SALU_CYCLE_1) | instskip(SKIP_2) | instid1(SALU_CYCLE_1)
	s_add_u32 s4, s16, s0
	s_addc_u32 s5, s17, s1
	s_lshl_b64 s[0:1], s[14:15], 2
	s_add_u32 s0, s4, s0
	s_addc_u32 s1, s5, s1
	s_cbranch_execz .LBB606_16
	s_branch .LBB606_17
.LBB606_15:
                                        ; implicit-def: $sgpr0_sgpr1
.LBB606_16:
	s_lshl_b64 s[0:1], s[2:3], 2
	s_delay_alu instid0(SALU_CYCLE_1)
	s_add_u32 s0, s18, s0
	s_addc_u32 s1, s19, s1
.LBB606_17:
	v_mov_b32_e32 v0, 0
	s_waitcnt lgkmcnt(0)
	global_store_b32 v0, v2, s[0:1]
.LBB606_18:
	s_nop 0
	s_sendmsg sendmsg(MSG_DEALLOC_VGPRS)
	s_endpgm
	.section	.rodata,"a",@progbits
	.p2align	6, 0x0
	.amdhsa_kernel _ZL18rocblas_dot_kernelIlLb0ELi512ELi4ELb1EfPKffEviT5_lT_lS2_lS3_liPT6_PT4_
		.amdhsa_group_segment_fixed_size 128
		.amdhsa_private_segment_fixed_size 0
		.amdhsa_kernarg_size 352
		.amdhsa_user_sgpr_count 14
		.amdhsa_user_sgpr_dispatch_ptr 0
		.amdhsa_user_sgpr_queue_ptr 0
		.amdhsa_user_sgpr_kernarg_segment_ptr 1
		.amdhsa_user_sgpr_dispatch_id 0
		.amdhsa_user_sgpr_private_segment_size 0
		.amdhsa_wavefront_size32 1
		.amdhsa_uses_dynamic_stack 0
		.amdhsa_enable_private_segment 0
		.amdhsa_system_sgpr_workgroup_id_x 1
		.amdhsa_system_sgpr_workgroup_id_y 0
		.amdhsa_system_sgpr_workgroup_id_z 1
		.amdhsa_system_sgpr_workgroup_info 0
		.amdhsa_system_vgpr_workitem_id 0
		.amdhsa_next_free_vgpr 11
		.amdhsa_next_free_sgpr 28
		.amdhsa_reserve_vcc 1
		.amdhsa_float_round_mode_32 0
		.amdhsa_float_round_mode_16_64 0
		.amdhsa_float_denorm_mode_32 3
		.amdhsa_float_denorm_mode_16_64 3
		.amdhsa_dx10_clamp 1
		.amdhsa_ieee_mode 1
		.amdhsa_fp16_overflow 0
		.amdhsa_workgroup_processor_mode 1
		.amdhsa_memory_ordered 1
		.amdhsa_forward_progress 0
		.amdhsa_shared_vgpr_count 0
		.amdhsa_exception_fp_ieee_invalid_op 0
		.amdhsa_exception_fp_denorm_src 0
		.amdhsa_exception_fp_ieee_div_zero 0
		.amdhsa_exception_fp_ieee_overflow 0
		.amdhsa_exception_fp_ieee_underflow 0
		.amdhsa_exception_fp_ieee_inexact 0
		.amdhsa_exception_int_div_zero 0
	.end_amdhsa_kernel
	.section	.text._ZL18rocblas_dot_kernelIlLb0ELi512ELi4ELb1EfPKffEviT5_lT_lS2_lS3_liPT6_PT4_,"axG",@progbits,_ZL18rocblas_dot_kernelIlLb0ELi512ELi4ELb1EfPKffEviT5_lT_lS2_lS3_liPT6_PT4_,comdat
.Lfunc_end606:
	.size	_ZL18rocblas_dot_kernelIlLb0ELi512ELi4ELb1EfPKffEviT5_lT_lS2_lS3_liPT6_PT4_, .Lfunc_end606-_ZL18rocblas_dot_kernelIlLb0ELi512ELi4ELb1EfPKffEviT5_lT_lS2_lS3_liPT6_PT4_
                                        ; -- End function
	.section	.AMDGPU.csdata,"",@progbits
; Kernel info:
; codeLenInByte = 1072
; NumSgprs: 30
; NumVgprs: 11
; ScratchSize: 0
; MemoryBound: 0
; FloatMode: 240
; IeeeMode: 1
; LDSByteSize: 128 bytes/workgroup (compile time only)
; SGPRBlocks: 3
; VGPRBlocks: 1
; NumSGPRsForWavesPerEU: 30
; NumVGPRsForWavesPerEU: 11
; Occupancy: 16
; WaveLimiterHint : 0
; COMPUTE_PGM_RSRC2:SCRATCH_EN: 0
; COMPUTE_PGM_RSRC2:USER_SGPR: 14
; COMPUTE_PGM_RSRC2:TRAP_HANDLER: 0
; COMPUTE_PGM_RSRC2:TGID_X_EN: 1
; COMPUTE_PGM_RSRC2:TGID_Y_EN: 0
; COMPUTE_PGM_RSRC2:TGID_Z_EN: 1
; COMPUTE_PGM_RSRC2:TIDIG_COMP_CNT: 0
	.section	.text._ZL24rocblas_dot_kernel_magsqIlLb0ELi512ELi4ELb1EfPKffEviT5_lT_liPT6_PT4_,"axG",@progbits,_ZL24rocblas_dot_kernel_magsqIlLb0ELi512ELi4ELb1EfPKffEviT5_lT_liPT6_PT4_,comdat
	.globl	_ZL24rocblas_dot_kernel_magsqIlLb0ELi512ELi4ELb1EfPKffEviT5_lT_liPT6_PT4_ ; -- Begin function _ZL24rocblas_dot_kernel_magsqIlLb0ELi512ELi4ELb1EfPKffEviT5_lT_liPT6_PT4_
	.p2align	8
	.type	_ZL24rocblas_dot_kernel_magsqIlLb0ELi512ELi4ELb1EfPKffEviT5_lT_liPT6_PT4_,@function
_ZL24rocblas_dot_kernel_magsqIlLb0ELi512ELi4ELb1EfPKffEviT5_lT_liPT6_PT4_: ; @_ZL24rocblas_dot_kernel_magsqIlLb0ELi512ELi4ELb1EfPKffEviT5_lT_liPT6_PT4_
; %bb.0:
	s_clause 0x2
	s_load_b32 s11, s[0:1], 0x0
	s_load_b128 s[4:7], s[0:1], 0x30
	s_load_b32 s10, s[0:1], 0x40
	v_lshl_or_b32 v1, s14, 9, v0
	v_mov_b32_e32 v3, 0
	s_mov_b32 s2, s15
	s_mov_b32 s3, 0
	s_mov_b32 s12, exec_lo
	s_waitcnt lgkmcnt(0)
	v_cmpx_gt_i32_e64 s11, v1
	s_cbranch_execz .LBB607_4
; %bb.1:
	s_clause 0x2
	s_load_b128 s[16:19], s[0:1], 0x10
	s_load_b64 s[8:9], s[0:1], 0x20
	s_load_b64 s[20:21], s[0:1], 0x8
	v_ashrrev_i32_e32 v2, 31, v1
	s_lshl_b32 s1, s10, 9
	s_delay_alu instid0(SALU_CYCLE_1)
	v_add_nc_u32_e32 v4, s1, v1
	s_waitcnt lgkmcnt(0)
	v_mul_lo_u32 v5, s19, v1
	v_mul_lo_u32 v6, s18, v2
	v_mad_u64_u32 v[2:3], null, s18, v1, 0
	s_mul_i32 s0, s9, s2
	s_mul_hi_u32 s9, s8, s2
	s_mul_i32 s8, s8, s2
	s_add_i32 s9, s9, s0
	s_lshl_b64 s[16:17], s[16:17], 2
	s_lshl_b64 s[8:9], s[8:9], 2
	s_delay_alu instid0(VALU_DEP_1)
	v_add3_u32 v3, v3, v6, v5
	s_add_u32 s0, s20, s16
	s_addc_u32 s13, s21, s17
	s_add_u32 s0, s0, s8
	s_addc_u32 s13, s13, s9
	v_lshlrev_b64 v[1:2], 2, v[2:3]
	v_mov_b32_e32 v3, 0
	s_ashr_i32 s8, s1, 31
	s_mul_hi_u32 s9, s18, s1
	s_mul_i32 s8, s18, s8
	s_mul_i32 s15, s19, s1
	v_add_co_u32 v1, vcc_lo, s0, v1
	s_add_i32 s9, s9, s8
	v_add_co_ci_u32_e32 v2, vcc_lo, s13, v2, vcc_lo
	s_mul_i32 s8, s18, s1
	s_add_i32 s9, s9, s15
	s_mov_b32 s13, s3
	s_lshl_b64 s[8:9], s[8:9], 2
	s_mov_b32 s15, s3
	.p2align	6
.LBB607_2:                              ; =>This Inner Loop Header: Depth=1
	global_load_b32 v5, v[1:2], off
	s_add_i32 s16, s15, 1
	v_cmp_le_i32_e32 vcc_lo, s11, v4
	v_add_co_u32 v1, s0, v1, s8
	s_cmp_gt_u32 s15, 2
	v_add_co_ci_u32_e64 v2, s0, s9, v2, s0
	s_cselect_b32 s0, -1, 0
	v_add_nc_u32_e32 v4, s1, v4
	s_or_b32 s0, s0, vcc_lo
	s_mov_b32 s15, s16
	s_and_b32 s0, exec_lo, s0
	s_delay_alu instid0(SALU_CYCLE_1)
	s_or_b32 s13, s0, s13
	s_waitcnt vmcnt(0)
	v_fmac_f32_e32 v3, v5, v5
	s_and_not1_b32 exec_lo, exec_lo, s13
	s_cbranch_execnz .LBB607_2
; %bb.3:
	s_or_b32 exec_lo, exec_lo, s13
.LBB607_4:
	s_delay_alu instid0(SALU_CYCLE_1) | instskip(SKIP_2) | instid1(VALU_DEP_2)
	s_or_b32 exec_lo, exec_lo, s12
	v_and_b32_e32 v2, 31, v0
	v_cmp_gt_u32_e32 vcc_lo, 32, v0
	v_lshlrev_b32_e32 v1, 2, v2
	s_and_saveexec_b32 s0, vcc_lo
	s_cbranch_execz .LBB607_6
; %bb.5:
	v_mov_b32_e32 v4, 0
	ds_store_b32 v1, v4
.LBB607_6:
	s_or_b32 exec_lo, exec_lo, s0
	v_mbcnt_lo_u32_b32 v6, -1, 0
	s_mov_b32 s1, exec_lo
	s_waitcnt lgkmcnt(0)
	s_barrier
	buffer_gl0_inv
	v_cmp_gt_u32_e64 s0, 16, v6
	s_delay_alu instid0(VALU_DEP_1) | instskip(SKIP_1) | instid1(VALU_DEP_2)
	v_cndmask_b32_e64 v4, 0, 1, s0
	v_cmp_gt_u32_e64 s0, 24, v6
	v_lshlrev_b32_e32 v4, 4, v4
	s_delay_alu instid0(VALU_DEP_1) | instskip(SKIP_4) | instid1(VALU_DEP_2)
	v_add_lshl_u32 v4, v4, v6, 2
	ds_bpermute_b32 v5, v4, v3
	v_cndmask_b32_e64 v4, 0, 1, s0
	v_cmp_gt_u32_e64 s0, 28, v6
	s_waitcnt lgkmcnt(0)
	v_dual_add_f32 v5, v3, v5 :: v_dual_lshlrev_b32 v4, 3, v4
	s_delay_alu instid0(VALU_DEP_2) | instskip(SKIP_1) | instid1(VALU_DEP_3)
	v_cndmask_b32_e64 v3, 0, 1, s0
	v_cmp_gt_u32_e64 s0, 30, v6
	v_add_lshl_u32 v4, v4, v6, 2
	s_delay_alu instid0(VALU_DEP_3)
	v_lshlrev_b32_e32 v3, 2, v3
	ds_bpermute_b32 v7, v4, v5
	v_add_lshl_u32 v3, v3, v6, 2
	s_waitcnt lgkmcnt(0)
	v_add_f32_e32 v7, v5, v7
	v_cndmask_b32_e64 v5, 0, 1, s0
	v_cmp_ne_u32_e64 s0, 31, v6
	ds_bpermute_b32 v8, v3, v7
	v_lshlrev_b32_e32 v5, 1, v5
	s_delay_alu instid0(VALU_DEP_1) | instskip(SKIP_2) | instid1(VALU_DEP_1)
	v_add_lshl_u32 v5, v5, v6, 2
	v_add_co_ci_u32_e64 v6, s0, 0, v6, s0
	s_waitcnt lgkmcnt(0)
	v_dual_add_f32 v7, v7, v8 :: v_dual_lshlrev_b32 v6, 2, v6
	ds_bpermute_b32 v8, v5, v7
	s_waitcnt lgkmcnt(0)
	v_add_f32_e32 v7, v7, v8
	ds_bpermute_b32 v8, v6, v7
	v_cmpx_eq_u32_e32 0, v2
	s_cbranch_execz .LBB607_8
; %bb.7:
	v_lshrrev_b32_e32 v2, 3, v0
	s_waitcnt lgkmcnt(0)
	s_delay_alu instid0(VALU_DEP_1)
	v_dual_add_f32 v7, v7, v8 :: v_dual_and_b32 v2, 60, v2
	ds_store_b32 v2, v7
.LBB607_8:
	s_or_b32 exec_lo, exec_lo, s1
	v_mov_b32_e32 v2, 0
	s_mov_b32 s1, exec_lo
	s_waitcnt lgkmcnt(0)
	s_barrier
	buffer_gl0_inv
	v_cmpx_gt_u32_e32 16, v0
	s_cbranch_execz .LBB607_10
; %bb.9:
	ds_load_b32 v2, v1
.LBB607_10:
	s_or_b32 exec_lo, exec_lo, s1
	s_and_saveexec_b32 s0, vcc_lo
	s_cbranch_execz .LBB607_12
; %bb.11:
	s_waitcnt lgkmcnt(0)
	ds_bpermute_b32 v1, v4, v2
	s_waitcnt lgkmcnt(0)
	v_add_f32_e32 v1, v2, v1
	ds_bpermute_b32 v2, v3, v1
	s_waitcnt lgkmcnt(0)
	v_add_f32_e32 v1, v1, v2
	;; [unrolled: 3-line block ×4, first 2 shown]
.LBB607_12:
	s_or_b32 exec_lo, exec_lo, s0
	s_delay_alu instid0(SALU_CYCLE_1)
	s_mov_b32 s0, exec_lo
	v_cmpx_eq_u32_e32 0, v0
	s_cbranch_execz .LBB607_18
; %bb.13:
	s_cmp_lg_u32 s10, 1
	s_cbranch_scc0 .LBB607_15
; %bb.14:
	s_mul_hi_u32 s1, s10, s2
	s_mul_i32 s0, s10, s2
	s_mov_b32 s15, 0
	s_lshl_b64 s[0:1], s[0:1], 2
	s_delay_alu instid0(SALU_CYCLE_1) | instskip(SKIP_2) | instid1(SALU_CYCLE_1)
	s_add_u32 s4, s4, s0
	s_addc_u32 s5, s5, s1
	s_lshl_b64 s[0:1], s[14:15], 2
	s_add_u32 s0, s4, s0
	s_addc_u32 s1, s5, s1
	s_cbranch_execz .LBB607_16
	s_branch .LBB607_17
.LBB607_15:
                                        ; implicit-def: $sgpr0_sgpr1
.LBB607_16:
	s_lshl_b64 s[0:1], s[2:3], 2
	s_delay_alu instid0(SALU_CYCLE_1)
	s_add_u32 s0, s6, s0
	s_addc_u32 s1, s7, s1
.LBB607_17:
	v_mov_b32_e32 v0, 0
	s_waitcnt lgkmcnt(0)
	global_store_b32 v0, v2, s[0:1]
.LBB607_18:
	s_nop 0
	s_sendmsg sendmsg(MSG_DEALLOC_VGPRS)
	s_endpgm
	.section	.rodata,"a",@progbits
	.p2align	6, 0x0
	.amdhsa_kernel _ZL24rocblas_dot_kernel_magsqIlLb0ELi512ELi4ELb1EfPKffEviT5_lT_liPT6_PT4_
		.amdhsa_group_segment_fixed_size 128
		.amdhsa_private_segment_fixed_size 0
		.amdhsa_kernarg_size 320
		.amdhsa_user_sgpr_count 14
		.amdhsa_user_sgpr_dispatch_ptr 0
		.amdhsa_user_sgpr_queue_ptr 0
		.amdhsa_user_sgpr_kernarg_segment_ptr 1
		.amdhsa_user_sgpr_dispatch_id 0
		.amdhsa_user_sgpr_private_segment_size 0
		.amdhsa_wavefront_size32 1
		.amdhsa_uses_dynamic_stack 0
		.amdhsa_enable_private_segment 0
		.amdhsa_system_sgpr_workgroup_id_x 1
		.amdhsa_system_sgpr_workgroup_id_y 0
		.amdhsa_system_sgpr_workgroup_id_z 1
		.amdhsa_system_sgpr_workgroup_info 0
		.amdhsa_system_vgpr_workitem_id 0
		.amdhsa_next_free_vgpr 9
		.amdhsa_next_free_sgpr 22
		.amdhsa_reserve_vcc 1
		.amdhsa_float_round_mode_32 0
		.amdhsa_float_round_mode_16_64 0
		.amdhsa_float_denorm_mode_32 3
		.amdhsa_float_denorm_mode_16_64 3
		.amdhsa_dx10_clamp 1
		.amdhsa_ieee_mode 1
		.amdhsa_fp16_overflow 0
		.amdhsa_workgroup_processor_mode 1
		.amdhsa_memory_ordered 1
		.amdhsa_forward_progress 0
		.amdhsa_shared_vgpr_count 0
		.amdhsa_exception_fp_ieee_invalid_op 0
		.amdhsa_exception_fp_denorm_src 0
		.amdhsa_exception_fp_ieee_div_zero 0
		.amdhsa_exception_fp_ieee_overflow 0
		.amdhsa_exception_fp_ieee_underflow 0
		.amdhsa_exception_fp_ieee_inexact 0
		.amdhsa_exception_int_div_zero 0
	.end_amdhsa_kernel
	.section	.text._ZL24rocblas_dot_kernel_magsqIlLb0ELi512ELi4ELb1EfPKffEviT5_lT_liPT6_PT4_,"axG",@progbits,_ZL24rocblas_dot_kernel_magsqIlLb0ELi512ELi4ELb1EfPKffEviT5_lT_liPT6_PT4_,comdat
.Lfunc_end607:
	.size	_ZL24rocblas_dot_kernel_magsqIlLb0ELi512ELi4ELb1EfPKffEviT5_lT_liPT6_PT4_, .Lfunc_end607-_ZL24rocblas_dot_kernel_magsqIlLb0ELi512ELi4ELb1EfPKffEviT5_lT_liPT6_PT4_
                                        ; -- End function
	.section	.AMDGPU.csdata,"",@progbits
; Kernel info:
; codeLenInByte = 916
; NumSgprs: 24
; NumVgprs: 9
; ScratchSize: 0
; MemoryBound: 0
; FloatMode: 240
; IeeeMode: 1
; LDSByteSize: 128 bytes/workgroup (compile time only)
; SGPRBlocks: 2
; VGPRBlocks: 1
; NumSGPRsForWavesPerEU: 24
; NumVGPRsForWavesPerEU: 9
; Occupancy: 16
; WaveLimiterHint : 0
; COMPUTE_PGM_RSRC2:SCRATCH_EN: 0
; COMPUTE_PGM_RSRC2:USER_SGPR: 14
; COMPUTE_PGM_RSRC2:TRAP_HANDLER: 0
; COMPUTE_PGM_RSRC2:TGID_X_EN: 1
; COMPUTE_PGM_RSRC2:TGID_Y_EN: 0
; COMPUTE_PGM_RSRC2:TGID_Z_EN: 1
; COMPUTE_PGM_RSRC2:TIDIG_COMP_CNT: 0
	.section	.text._ZL28rocblas_dot_batched_4_kernelIiLi32ELi4ELb1EffPKPKfEviT5_lT_lS4_lS5_liPT4_,"axG",@progbits,_ZL28rocblas_dot_batched_4_kernelIiLi32ELi4ELb1EffPKPKfEviT5_lT_lS4_lS5_liPT4_,comdat
	.globl	_ZL28rocblas_dot_batched_4_kernelIiLi32ELi4ELb1EffPKPKfEviT5_lT_lS4_lS5_liPT4_ ; -- Begin function _ZL28rocblas_dot_batched_4_kernelIiLi32ELi4ELb1EffPKPKfEviT5_lT_lS4_lS5_liPT4_
	.p2align	8
	.type	_ZL28rocblas_dot_batched_4_kernelIiLi32ELi4ELb1EffPKPKfEviT5_lT_lS4_lS5_liPT4_,@function
_ZL28rocblas_dot_batched_4_kernelIiLi32ELi4ELb1EffPKPKfEviT5_lT_lS4_lS5_liPT4_: ; @_ZL28rocblas_dot_batched_4_kernelIiLi32ELi4ELb1EffPKPKfEviT5_lT_lS4_lS5_liPT4_
; %bb.0:
	s_load_b32 s2, s[0:1], 0x48
	v_bfe_u32 v1, v0, 10, 10
	s_delay_alu instid0(VALU_DEP_1) | instskip(SKIP_1) | instid1(VALU_DEP_1)
	v_lshl_add_u32 v1, s15, 2, v1
	s_waitcnt lgkmcnt(0)
	v_cmp_gt_u32_e32 vcc_lo, s2, v1
	s_and_saveexec_b32 s2, vcc_lo
	s_cbranch_execz .LBB608_7
; %bb.1:
	s_clause 0x1
	s_load_b32 s12, s[0:1], 0x0
	s_load_b64 s[2:3], s[0:1], 0x50
	v_mov_b32_e32 v2, 0
	v_and_b32_e32 v0, 0x3ff, v0
	s_mov_b32 s13, exec_lo
	s_delay_alu instid0(VALU_DEP_2) | instskip(SKIP_1) | instid1(VALU_DEP_2)
	v_mov_b32_e32 v7, v2
	s_waitcnt lgkmcnt(0)
	v_cmpx_gt_i32_e64 s12, v0
	s_cbranch_execz .LBB608_5
; %bb.2:
	s_clause 0x1
	s_load_b128 s[4:7], s[0:1], 0x8
	s_load_b128 s[8:11], s[0:1], 0x28
	v_lshlrev_b64 v[3:4], 3, v[1:2]
	s_clause 0x1
	s_load_b32 s14, s[0:1], 0x18
	s_load_b32 s0, s[0:1], 0x38
	v_mov_b32_e32 v7, 0
	s_waitcnt lgkmcnt(0)
	v_add_co_u32 v5, vcc_lo, s4, v3
	v_add_co_ci_u32_e32 v6, vcc_lo, s5, v4, vcc_lo
	v_add_co_u32 v3, vcc_lo, s8, v3
	v_add_co_ci_u32_e32 v4, vcc_lo, s9, v4, vcc_lo
	v_mad_i64_i32 v[10:11], null, s0, v0, 0
	global_load_b64 v[5:6], v[5:6], off
	global_load_b64 v[8:9], v[3:4], off
	v_mad_i64_i32 v[3:4], null, s14, v0, 0
	s_lshl_b64 s[4:5], s[6:7], 2
	s_lshl_b64 s[6:7], s[10:11], 2
	s_ashr_i32 s15, s14, 31
	v_lshlrev_b64 v[10:11], 2, v[10:11]
	s_ashr_i32 s1, s0, 31
	s_delay_alu instid0(VALU_DEP_2) | instskip(NEXT) | instid1(VALU_DEP_1)
	v_lshlrev_b64 v[3:4], 2, v[3:4]
	v_add_co_u32 v3, vcc_lo, v3, s4
	s_delay_alu instid0(VALU_DEP_2) | instskip(NEXT) | instid1(VALU_DEP_4)
	v_add_co_ci_u32_e32 v4, vcc_lo, s5, v4, vcc_lo
	v_add_co_u32 v10, vcc_lo, v10, s6
	v_add_co_ci_u32_e32 v11, vcc_lo, s7, v11, vcc_lo
	s_lshl_b64 s[4:5], s[14:15], 7
	s_lshl_b64 s[6:7], s[0:1], 7
	s_mov_b32 s1, 0
	s_waitcnt vmcnt(1)
	v_add_co_u32 v3, vcc_lo, v5, v3
	v_add_co_ci_u32_e32 v4, vcc_lo, v6, v4, vcc_lo
	s_waitcnt vmcnt(0)
	v_add_co_u32 v5, vcc_lo, v8, v10
	v_mov_b32_e32 v8, v0
	v_add_co_ci_u32_e32 v6, vcc_lo, v9, v11, vcc_lo
	.p2align	6
.LBB608_3:                              ; =>This Inner Loop Header: Depth=1
	global_load_b32 v9, v[3:4], off
	global_load_b32 v10, v[5:6], off
	v_add_nc_u32_e32 v8, 32, v8
	v_add_co_u32 v3, vcc_lo, v3, s4
	v_add_co_ci_u32_e32 v4, vcc_lo, s5, v4, vcc_lo
	v_add_co_u32 v5, vcc_lo, v5, s6
	v_add_co_ci_u32_e32 v6, vcc_lo, s7, v6, vcc_lo
	s_waitcnt vmcnt(0)
	v_fmac_f32_e32 v7, v9, v10
	v_cmp_le_i32_e64 s0, s12, v8
	s_delay_alu instid0(VALU_DEP_1) | instskip(NEXT) | instid1(SALU_CYCLE_1)
	s_or_b32 s1, s0, s1
	s_and_not1_b32 exec_lo, exec_lo, s1
	s_cbranch_execnz .LBB608_3
; %bb.4:
	s_or_b32 exec_lo, exec_lo, s1
.LBB608_5:
	s_delay_alu instid0(SALU_CYCLE_1)
	s_or_b32 exec_lo, exec_lo, s13
	v_mbcnt_lo_u32_b32 v3, -1, 0
	s_barrier
	buffer_gl0_inv
	v_cmp_gt_u32_e32 vcc_lo, 16, v3
	v_cndmask_b32_e64 v4, 0, 1, vcc_lo
	v_cmp_gt_u32_e32 vcc_lo, 24, v3
	s_delay_alu instid0(VALU_DEP_2) | instskip(SKIP_2) | instid1(VALU_DEP_3)
	v_lshlrev_b32_e32 v4, 4, v4
	v_cndmask_b32_e64 v5, 0, 1, vcc_lo
	v_cmp_gt_u32_e32 vcc_lo, 28, v3
	v_add_lshl_u32 v4, v4, v3, 2
	v_cndmask_b32_e64 v6, 0, 1, vcc_lo
	v_cmp_gt_u32_e32 vcc_lo, 30, v3
	ds_bpermute_b32 v4, v4, v7
	v_lshlrev_b32_e32 v5, 3, v5
	v_lshlrev_b32_e32 v6, 2, v6
	s_delay_alu instid0(VALU_DEP_1)
	v_add_lshl_u32 v6, v6, v3, 2
	s_waitcnt lgkmcnt(0)
	v_add_f32_e32 v4, v7, v4
	v_add_lshl_u32 v5, v5, v3, 2
	ds_bpermute_b32 v5, v5, v4
	s_waitcnt lgkmcnt(0)
	v_add_f32_e32 v4, v4, v5
	ds_bpermute_b32 v5, v6, v4
	v_cndmask_b32_e64 v6, 0, 1, vcc_lo
	v_cmp_ne_u32_e32 vcc_lo, 31, v3
	s_delay_alu instid0(VALU_DEP_2) | instskip(NEXT) | instid1(VALU_DEP_1)
	v_lshlrev_b32_e32 v6, 1, v6
	v_add_lshl_u32 v6, v6, v3, 2
	s_waitcnt lgkmcnt(0)
	v_add_f32_e32 v4, v4, v5
	ds_bpermute_b32 v5, v6, v4
	v_add_co_ci_u32_e32 v6, vcc_lo, 0, v3, vcc_lo
	v_cmp_eq_u32_e32 vcc_lo, 0, v0
	s_waitcnt lgkmcnt(0)
	s_delay_alu instid0(VALU_DEP_2)
	v_dual_add_f32 v3, v4, v5 :: v_dual_lshlrev_b32 v4, 2, v6
	ds_bpermute_b32 v4, v4, v3
	s_and_b32 exec_lo, exec_lo, vcc_lo
	s_cbranch_execz .LBB608_7
; %bb.6:
	v_lshlrev_b64 v[0:1], 2, v[1:2]
	s_waitcnt lgkmcnt(0)
	v_add_f32_e32 v2, v3, v4
	s_delay_alu instid0(VALU_DEP_2) | instskip(NEXT) | instid1(VALU_DEP_3)
	v_add_co_u32 v0, vcc_lo, s2, v0
	v_add_co_ci_u32_e32 v1, vcc_lo, s3, v1, vcc_lo
	global_store_b32 v[0:1], v2, off
.LBB608_7:
	s_nop 0
	s_sendmsg sendmsg(MSG_DEALLOC_VGPRS)
	s_endpgm
	.section	.rodata,"a",@progbits
	.p2align	6, 0x0
	.amdhsa_kernel _ZL28rocblas_dot_batched_4_kernelIiLi32ELi4ELb1EffPKPKfEviT5_lT_lS4_lS5_liPT4_
		.amdhsa_group_segment_fixed_size 0
		.amdhsa_private_segment_fixed_size 0
		.amdhsa_kernarg_size 88
		.amdhsa_user_sgpr_count 15
		.amdhsa_user_sgpr_dispatch_ptr 0
		.amdhsa_user_sgpr_queue_ptr 0
		.amdhsa_user_sgpr_kernarg_segment_ptr 1
		.amdhsa_user_sgpr_dispatch_id 0
		.amdhsa_user_sgpr_private_segment_size 0
		.amdhsa_wavefront_size32 1
		.amdhsa_uses_dynamic_stack 0
		.amdhsa_enable_private_segment 0
		.amdhsa_system_sgpr_workgroup_id_x 1
		.amdhsa_system_sgpr_workgroup_id_y 0
		.amdhsa_system_sgpr_workgroup_id_z 0
		.amdhsa_system_sgpr_workgroup_info 0
		.amdhsa_system_vgpr_workitem_id 1
		.amdhsa_next_free_vgpr 12
		.amdhsa_next_free_sgpr 16
		.amdhsa_reserve_vcc 1
		.amdhsa_float_round_mode_32 0
		.amdhsa_float_round_mode_16_64 0
		.amdhsa_float_denorm_mode_32 3
		.amdhsa_float_denorm_mode_16_64 3
		.amdhsa_dx10_clamp 1
		.amdhsa_ieee_mode 1
		.amdhsa_fp16_overflow 0
		.amdhsa_workgroup_processor_mode 1
		.amdhsa_memory_ordered 1
		.amdhsa_forward_progress 0
		.amdhsa_shared_vgpr_count 0
		.amdhsa_exception_fp_ieee_invalid_op 0
		.amdhsa_exception_fp_denorm_src 0
		.amdhsa_exception_fp_ieee_div_zero 0
		.amdhsa_exception_fp_ieee_overflow 0
		.amdhsa_exception_fp_ieee_underflow 0
		.amdhsa_exception_fp_ieee_inexact 0
		.amdhsa_exception_int_div_zero 0
	.end_amdhsa_kernel
	.section	.text._ZL28rocblas_dot_batched_4_kernelIiLi32ELi4ELb1EffPKPKfEviT5_lT_lS4_lS5_liPT4_,"axG",@progbits,_ZL28rocblas_dot_batched_4_kernelIiLi32ELi4ELb1EffPKPKfEviT5_lT_lS4_lS5_liPT4_,comdat
.Lfunc_end608:
	.size	_ZL28rocblas_dot_batched_4_kernelIiLi32ELi4ELb1EffPKPKfEviT5_lT_lS4_lS5_liPT4_, .Lfunc_end608-_ZL28rocblas_dot_batched_4_kernelIiLi32ELi4ELb1EffPKPKfEviT5_lT_lS4_lS5_liPT4_
                                        ; -- End function
	.section	.AMDGPU.csdata,"",@progbits
; Kernel info:
; codeLenInByte = 696
; NumSgprs: 18
; NumVgprs: 12
; ScratchSize: 0
; MemoryBound: 0
; FloatMode: 240
; IeeeMode: 1
; LDSByteSize: 0 bytes/workgroup (compile time only)
; SGPRBlocks: 2
; VGPRBlocks: 1
; NumSGPRsForWavesPerEU: 18
; NumVGPRsForWavesPerEU: 12
; Occupancy: 16
; WaveLimiterHint : 0
; COMPUTE_PGM_RSRC2:SCRATCH_EN: 0
; COMPUTE_PGM_RSRC2:USER_SGPR: 15
; COMPUTE_PGM_RSRC2:TRAP_HANDLER: 0
; COMPUTE_PGM_RSRC2:TGID_X_EN: 1
; COMPUTE_PGM_RSRC2:TGID_Y_EN: 0
; COMPUTE_PGM_RSRC2:TGID_Z_EN: 0
; COMPUTE_PGM_RSRC2:TIDIG_COMP_CNT: 1
	.section	.text._ZL28rocblas_dot_batched_4_kernelIiLi64ELi4ELb1EffPKPKfEviT5_lT_lS4_lS5_liPT4_,"axG",@progbits,_ZL28rocblas_dot_batched_4_kernelIiLi64ELi4ELb1EffPKPKfEviT5_lT_lS4_lS5_liPT4_,comdat
	.globl	_ZL28rocblas_dot_batched_4_kernelIiLi64ELi4ELb1EffPKPKfEviT5_lT_lS4_lS5_liPT4_ ; -- Begin function _ZL28rocblas_dot_batched_4_kernelIiLi64ELi4ELb1EffPKPKfEviT5_lT_lS4_lS5_liPT4_
	.p2align	8
	.type	_ZL28rocblas_dot_batched_4_kernelIiLi64ELi4ELb1EffPKPKfEviT5_lT_lS4_lS5_liPT4_,@function
_ZL28rocblas_dot_batched_4_kernelIiLi64ELi4ELb1EffPKPKfEviT5_lT_lS4_lS5_liPT4_: ; @_ZL28rocblas_dot_batched_4_kernelIiLi64ELi4ELb1EffPKPKfEviT5_lT_lS4_lS5_liPT4_
; %bb.0:
	s_load_b32 s2, s[0:1], 0x48
	v_bfe_u32 v1, v0, 10, 10
	s_delay_alu instid0(VALU_DEP_1) | instskip(SKIP_1) | instid1(VALU_DEP_1)
	v_lshl_add_u32 v1, s15, 2, v1
	s_waitcnt lgkmcnt(0)
	v_cmp_gt_u32_e32 vcc_lo, s2, v1
	s_and_saveexec_b32 s2, vcc_lo
	s_cbranch_execz .LBB609_7
; %bb.1:
	s_clause 0x1
	s_load_b32 s12, s[0:1], 0x0
	s_load_b64 s[2:3], s[0:1], 0x50
	v_mov_b32_e32 v2, 0
	v_and_b32_e32 v0, 0x3ff, v0
	s_mov_b32 s13, exec_lo
	s_delay_alu instid0(VALU_DEP_2) | instskip(SKIP_1) | instid1(VALU_DEP_2)
	v_mov_b32_e32 v7, v2
	s_waitcnt lgkmcnt(0)
	v_cmpx_gt_i32_e64 s12, v0
	s_cbranch_execz .LBB609_5
; %bb.2:
	s_clause 0x1
	s_load_b128 s[4:7], s[0:1], 0x8
	s_load_b128 s[8:11], s[0:1], 0x28
	v_lshlrev_b64 v[3:4], 3, v[1:2]
	s_clause 0x1
	s_load_b32 s14, s[0:1], 0x18
	s_load_b32 s0, s[0:1], 0x38
	v_mov_b32_e32 v7, 0
	s_waitcnt lgkmcnt(0)
	v_add_co_u32 v5, vcc_lo, s4, v3
	v_add_co_ci_u32_e32 v6, vcc_lo, s5, v4, vcc_lo
	v_add_co_u32 v3, vcc_lo, s8, v3
	v_add_co_ci_u32_e32 v4, vcc_lo, s9, v4, vcc_lo
	v_mad_i64_i32 v[10:11], null, s0, v0, 0
	global_load_b64 v[5:6], v[5:6], off
	global_load_b64 v[8:9], v[3:4], off
	v_mad_i64_i32 v[3:4], null, s14, v0, 0
	s_lshl_b64 s[4:5], s[6:7], 2
	s_lshl_b64 s[6:7], s[10:11], 2
	s_ashr_i32 s15, s14, 31
	v_lshlrev_b64 v[10:11], 2, v[10:11]
	s_ashr_i32 s1, s0, 31
	s_delay_alu instid0(VALU_DEP_2) | instskip(NEXT) | instid1(VALU_DEP_1)
	v_lshlrev_b64 v[3:4], 2, v[3:4]
	v_add_co_u32 v3, vcc_lo, v3, s4
	s_delay_alu instid0(VALU_DEP_2) | instskip(NEXT) | instid1(VALU_DEP_4)
	v_add_co_ci_u32_e32 v4, vcc_lo, s5, v4, vcc_lo
	v_add_co_u32 v10, vcc_lo, v10, s6
	v_add_co_ci_u32_e32 v11, vcc_lo, s7, v11, vcc_lo
	s_lshl_b64 s[4:5], s[14:15], 8
	s_lshl_b64 s[6:7], s[0:1], 8
	s_mov_b32 s1, 0
	s_waitcnt vmcnt(1)
	v_add_co_u32 v3, vcc_lo, v5, v3
	v_add_co_ci_u32_e32 v4, vcc_lo, v6, v4, vcc_lo
	s_waitcnt vmcnt(0)
	v_add_co_u32 v5, vcc_lo, v8, v10
	v_mov_b32_e32 v8, v0
	v_add_co_ci_u32_e32 v6, vcc_lo, v9, v11, vcc_lo
	.p2align	6
.LBB609_3:                              ; =>This Inner Loop Header: Depth=1
	global_load_b32 v9, v[3:4], off
	global_load_b32 v10, v[5:6], off
	v_add_nc_u32_e32 v8, 64, v8
	v_add_co_u32 v3, vcc_lo, v3, s4
	v_add_co_ci_u32_e32 v4, vcc_lo, s5, v4, vcc_lo
	v_add_co_u32 v5, vcc_lo, v5, s6
	v_add_co_ci_u32_e32 v6, vcc_lo, s7, v6, vcc_lo
	s_waitcnt vmcnt(0)
	v_fmac_f32_e32 v7, v9, v10
	v_cmp_le_i32_e64 s0, s12, v8
	s_delay_alu instid0(VALU_DEP_1) | instskip(NEXT) | instid1(SALU_CYCLE_1)
	s_or_b32 s1, s0, s1
	s_and_not1_b32 exec_lo, exec_lo, s1
	s_cbranch_execnz .LBB609_3
; %bb.4:
	s_or_b32 exec_lo, exec_lo, s1
.LBB609_5:
	s_delay_alu instid0(SALU_CYCLE_1)
	s_or_b32 exec_lo, exec_lo, s13
	v_mbcnt_lo_u32_b32 v3, -1, 0
	s_barrier
	buffer_gl0_inv
	v_lshlrev_b32_e32 v4, 2, v3
	v_cmp_gt_u32_e32 vcc_lo, 16, v3
	ds_bpermute_b32 v4, v4, v7
	v_cndmask_b32_e64 v5, 0, 1, vcc_lo
	v_cmp_gt_u32_e32 vcc_lo, 24, v3
	s_delay_alu instid0(VALU_DEP_2) | instskip(SKIP_2) | instid1(VALU_DEP_2)
	v_lshlrev_b32_e32 v5, 4, v5
	v_cndmask_b32_e64 v6, 0, 1, vcc_lo
	v_cmp_gt_u32_e32 vcc_lo, 28, v3
	v_lshlrev_b32_e32 v6, 3, v6
	s_delay_alu instid0(VALU_DEP_1)
	v_add_lshl_u32 v6, v6, v3, 2
	s_waitcnt lgkmcnt(0)
	v_add_f32_e32 v4, v7, v4
	v_add_lshl_u32 v5, v5, v3, 2
	ds_bpermute_b32 v5, v5, v4
	s_waitcnt lgkmcnt(0)
	v_add_f32_e32 v4, v4, v5
	ds_bpermute_b32 v5, v6, v4
	v_cndmask_b32_e64 v6, 0, 1, vcc_lo
	v_cmp_gt_u32_e32 vcc_lo, 30, v3
	s_delay_alu instid0(VALU_DEP_2) | instskip(NEXT) | instid1(VALU_DEP_1)
	v_lshlrev_b32_e32 v6, 2, v6
	v_add_lshl_u32 v6, v6, v3, 2
	s_waitcnt lgkmcnt(0)
	v_add_f32_e32 v4, v4, v5
	ds_bpermute_b32 v5, v6, v4
	v_cndmask_b32_e64 v6, 0, 1, vcc_lo
	v_cmp_ne_u32_e32 vcc_lo, 31, v3
	s_delay_alu instid0(VALU_DEP_2) | instskip(NEXT) | instid1(VALU_DEP_1)
	v_lshlrev_b32_e32 v6, 1, v6
	v_add_lshl_u32 v6, v6, v3, 2
	s_waitcnt lgkmcnt(0)
	v_add_f32_e32 v4, v4, v5
	ds_bpermute_b32 v5, v6, v4
	v_add_co_ci_u32_e32 v6, vcc_lo, 0, v3, vcc_lo
	v_cmp_eq_u32_e32 vcc_lo, 0, v0
	s_waitcnt lgkmcnt(0)
	s_delay_alu instid0(VALU_DEP_2)
	v_dual_add_f32 v3, v4, v5 :: v_dual_lshlrev_b32 v4, 2, v6
	ds_bpermute_b32 v4, v4, v3
	s_and_b32 exec_lo, exec_lo, vcc_lo
	s_cbranch_execz .LBB609_7
; %bb.6:
	v_lshlrev_b64 v[0:1], 2, v[1:2]
	s_waitcnt lgkmcnt(0)
	v_add_f32_e32 v2, v3, v4
	s_delay_alu instid0(VALU_DEP_2) | instskip(NEXT) | instid1(VALU_DEP_3)
	v_add_co_u32 v0, vcc_lo, s2, v0
	v_add_co_ci_u32_e32 v1, vcc_lo, s3, v1, vcc_lo
	global_store_b32 v[0:1], v2, off
.LBB609_7:
	s_nop 0
	s_sendmsg sendmsg(MSG_DEALLOC_VGPRS)
	s_endpgm
	.section	.rodata,"a",@progbits
	.p2align	6, 0x0
	.amdhsa_kernel _ZL28rocblas_dot_batched_4_kernelIiLi64ELi4ELb1EffPKPKfEviT5_lT_lS4_lS5_liPT4_
		.amdhsa_group_segment_fixed_size 0
		.amdhsa_private_segment_fixed_size 0
		.amdhsa_kernarg_size 88
		.amdhsa_user_sgpr_count 15
		.amdhsa_user_sgpr_dispatch_ptr 0
		.amdhsa_user_sgpr_queue_ptr 0
		.amdhsa_user_sgpr_kernarg_segment_ptr 1
		.amdhsa_user_sgpr_dispatch_id 0
		.amdhsa_user_sgpr_private_segment_size 0
		.amdhsa_wavefront_size32 1
		.amdhsa_uses_dynamic_stack 0
		.amdhsa_enable_private_segment 0
		.amdhsa_system_sgpr_workgroup_id_x 1
		.amdhsa_system_sgpr_workgroup_id_y 0
		.amdhsa_system_sgpr_workgroup_id_z 0
		.amdhsa_system_sgpr_workgroup_info 0
		.amdhsa_system_vgpr_workitem_id 1
		.amdhsa_next_free_vgpr 12
		.amdhsa_next_free_sgpr 16
		.amdhsa_reserve_vcc 1
		.amdhsa_float_round_mode_32 0
		.amdhsa_float_round_mode_16_64 0
		.amdhsa_float_denorm_mode_32 3
		.amdhsa_float_denorm_mode_16_64 3
		.amdhsa_dx10_clamp 1
		.amdhsa_ieee_mode 1
		.amdhsa_fp16_overflow 0
		.amdhsa_workgroup_processor_mode 1
		.amdhsa_memory_ordered 1
		.amdhsa_forward_progress 0
		.amdhsa_shared_vgpr_count 0
		.amdhsa_exception_fp_ieee_invalid_op 0
		.amdhsa_exception_fp_denorm_src 0
		.amdhsa_exception_fp_ieee_div_zero 0
		.amdhsa_exception_fp_ieee_overflow 0
		.amdhsa_exception_fp_ieee_underflow 0
		.amdhsa_exception_fp_ieee_inexact 0
		.amdhsa_exception_int_div_zero 0
	.end_amdhsa_kernel
	.section	.text._ZL28rocblas_dot_batched_4_kernelIiLi64ELi4ELb1EffPKPKfEviT5_lT_lS4_lS5_liPT4_,"axG",@progbits,_ZL28rocblas_dot_batched_4_kernelIiLi64ELi4ELb1EffPKPKfEviT5_lT_lS4_lS5_liPT4_,comdat
.Lfunc_end609:
	.size	_ZL28rocblas_dot_batched_4_kernelIiLi64ELi4ELb1EffPKPKfEviT5_lT_lS4_lS5_liPT4_, .Lfunc_end609-_ZL28rocblas_dot_batched_4_kernelIiLi64ELi4ELb1EffPKPKfEviT5_lT_lS4_lS5_liPT4_
                                        ; -- End function
	.section	.AMDGPU.csdata,"",@progbits
; Kernel info:
; codeLenInByte = 720
; NumSgprs: 18
; NumVgprs: 12
; ScratchSize: 0
; MemoryBound: 0
; FloatMode: 240
; IeeeMode: 1
; LDSByteSize: 0 bytes/workgroup (compile time only)
; SGPRBlocks: 2
; VGPRBlocks: 1
; NumSGPRsForWavesPerEU: 18
; NumVGPRsForWavesPerEU: 12
; Occupancy: 16
; WaveLimiterHint : 0
; COMPUTE_PGM_RSRC2:SCRATCH_EN: 0
; COMPUTE_PGM_RSRC2:USER_SGPR: 15
; COMPUTE_PGM_RSRC2:TRAP_HANDLER: 0
; COMPUTE_PGM_RSRC2:TGID_X_EN: 1
; COMPUTE_PGM_RSRC2:TGID_Y_EN: 0
; COMPUTE_PGM_RSRC2:TGID_Z_EN: 0
; COMPUTE_PGM_RSRC2:TIDIG_COMP_CNT: 1
	.section	.text._ZL26rocblas_dot_kernel_inc1by2ILb1ELi1024ELi32ELb1EfPKPKffEviT4_llS4_lliPT5_PT3_,"axG",@progbits,_ZL26rocblas_dot_kernel_inc1by2ILb1ELi1024ELi32ELb1EfPKPKffEviT4_llS4_lliPT5_PT3_,comdat
	.globl	_ZL26rocblas_dot_kernel_inc1by2ILb1ELi1024ELi32ELb1EfPKPKffEviT4_llS4_lliPT5_PT3_ ; -- Begin function _ZL26rocblas_dot_kernel_inc1by2ILb1ELi1024ELi32ELb1EfPKPKffEviT4_llS4_lliPT5_PT3_
	.p2align	8
	.type	_ZL26rocblas_dot_kernel_inc1by2ILb1ELi1024ELi32ELb1EfPKPKffEviT4_llS4_lliPT5_PT3_,@function
_ZL26rocblas_dot_kernel_inc1by2ILb1ELi1024ELi32ELb1EfPKPKffEviT4_llS4_lliPT5_PT3_: ; @_ZL26rocblas_dot_kernel_inc1by2ILb1ELi1024ELi32ELb1EfPKPKffEviT4_llS4_lliPT5_PT3_
; %bb.0:
	s_clause 0x1
	s_load_b128 s[8:11], s[0:1], 0x8
	s_load_b128 s[4:7], s[0:1], 0x20
	s_mov_b32 s2, s15
	s_mov_b32 s3, 0
	s_clause 0x1
	s_load_b32 s14, s[0:1], 0x0
	s_load_b64 s[12:13], s[0:1], 0x48
	s_lshl_b64 s[16:17], s[2:3], 3
	v_dual_mov_b32 v5, 0 :: v_dual_lshlrev_b32 v6, 1, v0
	s_waitcnt lgkmcnt(0)
	s_add_u32 s0, s8, s16
	s_addc_u32 s1, s9, s17
	s_add_u32 s4, s4, s16
	s_addc_u32 s5, s5, s17
	s_load_b64 s[8:9], s[0:1], 0x0
	s_load_b64 s[4:5], s[4:5], 0x0
	s_add_i32 s0, s14, -1
	s_mov_b32 s1, exec_lo
	v_cmpx_gt_i32_e64 s0, v6
	s_cbranch_execz .LBB610_4
; %bb.1:
	v_lshlrev_b32_e32 v1, 3, v0
	s_lshl_b64 s[16:17], s[6:7], 2
	v_mov_b32_e32 v5, 0
	s_waitcnt lgkmcnt(0)
	s_add_u32 s15, s4, s16
	s_addc_u32 s18, s5, s17
	s_lshl_b64 s[16:17], s[10:11], 2
	v_add_co_u32 v2, s15, s15, v1
	s_delay_alu instid0(VALU_DEP_1) | instskip(SKIP_3) | instid1(VALU_DEP_1)
	v_add_co_ci_u32_e64 v3, null, s18, 0, s15
	s_add_u32 s15, s8, s16
	s_addc_u32 s16, s9, s17
	v_add_co_u32 v4, s15, s15, v1
	v_add_co_ci_u32_e64 v7, null, s16, 0, s15
	v_add_co_u32 v1, vcc_lo, v2, 4
	v_add_co_ci_u32_e32 v2, vcc_lo, 0, v3, vcc_lo
	s_delay_alu instid0(VALU_DEP_4) | instskip(NEXT) | instid1(VALU_DEP_4)
	v_add_co_u32 v3, vcc_lo, v4, 4
	v_add_co_ci_u32_e32 v4, vcc_lo, 0, v7, vcc_lo
	s_mov_b32 s15, s3
	s_mov_b32 s16, s3
	.p2align	6
.LBB610_2:                              ; =>This Inner Loop Header: Depth=1
	global_load_b64 v[7:8], v[1:2], off offset:-4
	global_load_b64 v[9:10], v[3:4], off offset:-4
	v_add_co_u32 v1, vcc_lo, 0x2000, v1
	v_add_nc_u32_e32 v6, 0x800, v6
	v_add_co_ci_u32_e32 v2, vcc_lo, 0, v2, vcc_lo
	v_add_co_u32 v3, vcc_lo, 0x2000, v3
	v_add_co_ci_u32_e32 v4, vcc_lo, 0, v4, vcc_lo
	s_add_i32 s17, s16, 1
	s_cmp_gt_u32 s16, 30
	s_cselect_b32 s16, -1, 0
	s_waitcnt vmcnt(0)
	v_fmac_f32_e32 v5, v7, v9
	v_cmp_le_i32_e32 vcc_lo, s0, v6
	s_delay_alu instid0(VALU_DEP_2) | instskip(SKIP_1) | instid1(SALU_CYCLE_1)
	v_fmac_f32_e32 v5, v8, v10
	s_or_b32 s16, s16, vcc_lo
	s_and_b32 s16, exec_lo, s16
	s_delay_alu instid0(SALU_CYCLE_1)
	s_or_b32 s15, s16, s15
	s_mov_b32 s16, s17
	s_and_not1_b32 exec_lo, exec_lo, s15
	s_cbranch_execnz .LBB610_2
; %bb.3:
	s_or_b32 exec_lo, exec_lo, s15
.LBB610_4:
	s_delay_alu instid0(SALU_CYCLE_1) | instskip(SKIP_3) | instid1(SALU_CYCLE_1)
	s_or_b32 exec_lo, exec_lo, s1
	v_cmp_eq_u32_e32 vcc_lo, s0, v6
	s_bitcmp1_b32 s14, 0
	s_cselect_b32 s1, -1, 0
	s_and_b32 s1, s1, vcc_lo
	s_delay_alu instid0(SALU_CYCLE_1)
	s_and_saveexec_b32 s14, s1
	s_cbranch_execz .LBB610_6
; %bb.5:
	s_lshl_b64 s[10:11], s[10:11], 2
	s_mov_b32 s1, 0
	s_waitcnt lgkmcnt(0)
	s_add_u32 s8, s8, s10
	s_addc_u32 s9, s9, s11
	s_lshl_b64 s[6:7], s[6:7], 2
	s_delay_alu instid0(SALU_CYCLE_1) | instskip(SKIP_2) | instid1(SALU_CYCLE_1)
	s_add_u32 s6, s4, s6
	s_addc_u32 s7, s5, s7
	s_lshl_b64 s[0:1], s[0:1], 2
	s_add_u32 s4, s8, s0
	s_addc_u32 s5, s9, s1
	s_add_u32 s0, s6, s0
	s_addc_u32 s1, s7, s1
	s_load_b32 s0, s[0:1], 0x0
	s_load_b32 s1, s[4:5], 0x0
	s_waitcnt lgkmcnt(0)
	v_fmac_f32_e64 v5, s0, s1
.LBB610_6:
	s_or_b32 exec_lo, exec_lo, s14
	v_and_b32_e32 v7, 31, v0
	v_cmp_gt_u32_e32 vcc_lo, 32, v0
	s_delay_alu instid0(VALU_DEP_2)
	v_lshlrev_b32_e32 v1, 2, v7
	s_and_saveexec_b32 s0, vcc_lo
	s_cbranch_execz .LBB610_8
; %bb.7:
	v_mov_b32_e32 v2, 0
	ds_store_b32 v1, v2
.LBB610_8:
	s_or_b32 exec_lo, exec_lo, s0
	v_mbcnt_lo_u32_b32 v6, -1, 0
	s_mov_b32 s1, exec_lo
	s_waitcnt lgkmcnt(0)
	s_barrier
	buffer_gl0_inv
	v_cmp_gt_u32_e64 s0, 16, v6
	s_delay_alu instid0(VALU_DEP_1) | instskip(SKIP_1) | instid1(VALU_DEP_2)
	v_cndmask_b32_e64 v2, 0, 1, s0
	v_cmp_gt_u32_e64 s0, 24, v6
	v_lshlrev_b32_e32 v2, 4, v2
	s_delay_alu instid0(VALU_DEP_2) | instskip(SKIP_1) | instid1(VALU_DEP_3)
	v_cndmask_b32_e64 v3, 0, 1, s0
	v_cmp_gt_u32_e64 s0, 28, v6
	v_add_lshl_u32 v2, v2, v6, 2
	ds_bpermute_b32 v4, v2, v5
	s_waitcnt lgkmcnt(0)
	v_add_f32_e32 v5, v5, v4
	v_lshlrev_b32_e32 v3, 3, v3
	v_cndmask_b32_e64 v4, 0, 1, s0
	v_cmp_gt_u32_e64 s0, 30, v6
	s_delay_alu instid0(VALU_DEP_3) | instskip(NEXT) | instid1(VALU_DEP_3)
	v_add_lshl_u32 v3, v3, v6, 2
	v_lshlrev_b32_e32 v4, 2, v4
	ds_bpermute_b32 v8, v3, v5
	v_add_lshl_u32 v4, v4, v6, 2
	s_waitcnt lgkmcnt(0)
	v_add_f32_e32 v8, v5, v8
	v_cndmask_b32_e64 v5, 0, 1, s0
	v_cmp_ne_u32_e64 s0, 31, v6
	ds_bpermute_b32 v9, v4, v8
	v_lshlrev_b32_e32 v5, 1, v5
	s_delay_alu instid0(VALU_DEP_1) | instskip(SKIP_1) | instid1(VALU_DEP_1)
	v_add_lshl_u32 v5, v5, v6, 2
	v_add_co_ci_u32_e64 v6, s0, 0, v6, s0
	v_lshlrev_b32_e32 v6, 2, v6
	s_waitcnt lgkmcnt(0)
	v_add_f32_e32 v8, v8, v9
	ds_bpermute_b32 v9, v5, v8
	s_waitcnt lgkmcnt(0)
	v_add_f32_e32 v8, v8, v9
	ds_bpermute_b32 v9, v6, v8
	v_cmpx_eq_u32_e32 0, v7
	s_cbranch_execz .LBB610_10
; %bb.9:
	v_lshrrev_b32_e32 v7, 3, v0
	s_waitcnt lgkmcnt(0)
	s_delay_alu instid0(VALU_DEP_1)
	v_dual_add_f32 v8, v8, v9 :: v_dual_and_b32 v7, 0x7c, v7
	ds_store_b32 v7, v8
.LBB610_10:
	s_or_b32 exec_lo, exec_lo, s1
	v_mov_b32_e32 v7, 0
	s_waitcnt lgkmcnt(0)
	s_barrier
	buffer_gl0_inv
	s_and_saveexec_b32 s0, vcc_lo
	s_cbranch_execz .LBB610_12
; %bb.11:
	ds_load_b32 v7, v1
.LBB610_12:
	s_or_b32 exec_lo, exec_lo, s0
	s_and_saveexec_b32 s0, vcc_lo
	s_cbranch_execz .LBB610_14
; %bb.13:
	s_waitcnt lgkmcnt(0)
	ds_bpermute_b32 v1, v2, v7
	s_waitcnt lgkmcnt(0)
	v_add_f32_e32 v1, v7, v1
	ds_bpermute_b32 v2, v3, v1
	s_waitcnt lgkmcnt(0)
	v_add_f32_e32 v1, v1, v2
	;; [unrolled: 3-line block ×5, first 2 shown]
.LBB610_14:
	s_or_b32 exec_lo, exec_lo, s0
	s_delay_alu instid0(SALU_CYCLE_1)
	s_mov_b32 s0, exec_lo
	v_cmpx_eq_u32_e32 0, v0
	s_cbranch_execz .LBB610_16
; %bb.15:
	s_lshl_b64 s[0:1], s[2:3], 2
	v_mov_b32_e32 v0, 0
	s_add_u32 s0, s12, s0
	s_addc_u32 s1, s13, s1
	s_waitcnt lgkmcnt(0)
	global_store_b32 v0, v7, s[0:1]
.LBB610_16:
	s_nop 0
	s_sendmsg sendmsg(MSG_DEALLOC_VGPRS)
	s_endpgm
	.section	.rodata,"a",@progbits
	.p2align	6, 0x0
	.amdhsa_kernel _ZL26rocblas_dot_kernel_inc1by2ILb1ELi1024ELi32ELb1EfPKPKffEviT4_llS4_lliPT5_PT3_
		.amdhsa_group_segment_fixed_size 128
		.amdhsa_private_segment_fixed_size 0
		.amdhsa_kernarg_size 80
		.amdhsa_user_sgpr_count 14
		.amdhsa_user_sgpr_dispatch_ptr 0
		.amdhsa_user_sgpr_queue_ptr 0
		.amdhsa_user_sgpr_kernarg_segment_ptr 1
		.amdhsa_user_sgpr_dispatch_id 0
		.amdhsa_user_sgpr_private_segment_size 0
		.amdhsa_wavefront_size32 1
		.amdhsa_uses_dynamic_stack 0
		.amdhsa_enable_private_segment 0
		.amdhsa_system_sgpr_workgroup_id_x 1
		.amdhsa_system_sgpr_workgroup_id_y 0
		.amdhsa_system_sgpr_workgroup_id_z 1
		.amdhsa_system_sgpr_workgroup_info 0
		.amdhsa_system_vgpr_workitem_id 0
		.amdhsa_next_free_vgpr 11
		.amdhsa_next_free_sgpr 19
		.amdhsa_reserve_vcc 1
		.amdhsa_float_round_mode_32 0
		.amdhsa_float_round_mode_16_64 0
		.amdhsa_float_denorm_mode_32 3
		.amdhsa_float_denorm_mode_16_64 3
		.amdhsa_dx10_clamp 1
		.amdhsa_ieee_mode 1
		.amdhsa_fp16_overflow 0
		.amdhsa_workgroup_processor_mode 1
		.amdhsa_memory_ordered 1
		.amdhsa_forward_progress 0
		.amdhsa_shared_vgpr_count 0
		.amdhsa_exception_fp_ieee_invalid_op 0
		.amdhsa_exception_fp_denorm_src 0
		.amdhsa_exception_fp_ieee_div_zero 0
		.amdhsa_exception_fp_ieee_overflow 0
		.amdhsa_exception_fp_ieee_underflow 0
		.amdhsa_exception_fp_ieee_inexact 0
		.amdhsa_exception_int_div_zero 0
	.end_amdhsa_kernel
	.section	.text._ZL26rocblas_dot_kernel_inc1by2ILb1ELi1024ELi32ELb1EfPKPKffEviT4_llS4_lliPT5_PT3_,"axG",@progbits,_ZL26rocblas_dot_kernel_inc1by2ILb1ELi1024ELi32ELb1EfPKPKffEviT4_llS4_lliPT5_PT3_,comdat
.Lfunc_end610:
	.size	_ZL26rocblas_dot_kernel_inc1by2ILb1ELi1024ELi32ELb1EfPKPKffEviT4_llS4_lliPT5_PT3_, .Lfunc_end610-_ZL26rocblas_dot_kernel_inc1by2ILb1ELi1024ELi32ELb1EfPKPKffEviT4_llS4_lliPT5_PT3_
                                        ; -- End function
	.section	.AMDGPU.csdata,"",@progbits
; Kernel info:
; codeLenInByte = 992
; NumSgprs: 21
; NumVgprs: 11
; ScratchSize: 0
; MemoryBound: 0
; FloatMode: 240
; IeeeMode: 1
; LDSByteSize: 128 bytes/workgroup (compile time only)
; SGPRBlocks: 2
; VGPRBlocks: 1
; NumSGPRsForWavesPerEU: 21
; NumVGPRsForWavesPerEU: 11
; Occupancy: 16
; WaveLimiterHint : 1
; COMPUTE_PGM_RSRC2:SCRATCH_EN: 0
; COMPUTE_PGM_RSRC2:USER_SGPR: 14
; COMPUTE_PGM_RSRC2:TRAP_HANDLER: 0
; COMPUTE_PGM_RSRC2:TGID_X_EN: 1
; COMPUTE_PGM_RSRC2:TGID_Y_EN: 0
; COMPUTE_PGM_RSRC2:TGID_Z_EN: 1
; COMPUTE_PGM_RSRC2:TIDIG_COMP_CNT: 0
	.section	.text._ZL18rocblas_dot_kernelIiLb1ELi1024ELi32ELb1EfPKPKffEviT5_lT_lS4_lS5_liPT6_PT4_,"axG",@progbits,_ZL18rocblas_dot_kernelIiLb1ELi1024ELi32ELb1EfPKPKffEviT5_lT_lS4_lS5_liPT6_PT4_,comdat
	.globl	_ZL18rocblas_dot_kernelIiLb1ELi1024ELi32ELb1EfPKPKffEviT5_lT_lS4_lS5_liPT6_PT4_ ; -- Begin function _ZL18rocblas_dot_kernelIiLb1ELi1024ELi32ELb1EfPKPKffEviT5_lT_lS4_lS5_liPT6_PT4_
	.p2align	8
	.type	_ZL18rocblas_dot_kernelIiLb1ELi1024ELi32ELb1EfPKPKffEviT5_lT_lS4_lS5_liPT6_PT4_,@function
_ZL18rocblas_dot_kernelIiLb1ELi1024ELi32ELb1EfPKPKffEviT5_lT_lS4_lS5_liPT6_PT4_: ; @_ZL18rocblas_dot_kernelIiLb1ELi1024ELi32ELb1EfPKPKffEviT5_lT_lS4_lS5_liPT6_PT4_
; %bb.0:
	s_clause 0x1
	s_load_b32 s10, s[0:1], 0x0
	s_load_b64 s[2:3], s[0:1], 0x58
	v_mov_b32_e32 v5, 0
	s_mov_b32 s8, s15
	s_mov_b32 s9, 0
	s_mov_b32 s11, exec_lo
	s_waitcnt lgkmcnt(0)
	v_cmpx_gt_i32_e64 s10, v0
	s_cbranch_execz .LBB611_4
; %bb.1:
	s_clause 0x4
	s_load_b128 s[12:15], s[0:1], 0x8
	s_load_b128 s[4:7], s[0:1], 0x28
	s_load_b32 s18, s[0:1], 0x18
	s_load_b32 s20, s[0:1], 0x38
	;; [unrolled: 1-line block ×3, first 2 shown]
	s_lshl_b64 s[0:1], s[8:9], 3
	v_mov_b32_e32 v5, 0
	s_waitcnt lgkmcnt(0)
	s_add_u32 s12, s12, s0
	s_addc_u32 s13, s13, s1
	s_add_u32 s0, s4, s0
	s_load_b64 s[12:13], s[12:13], 0x0
	s_addc_u32 s1, s5, s1
	v_mad_i64_i32 v[1:2], null, s18, v0, 0
	s_load_b64 s[16:17], s[0:1], 0x0
	v_mad_i64_i32 v[3:4], null, s20, v0, 0
	s_lshl_b32 s1, s19, 10
	s_lshl_b64 s[4:5], s[14:15], 2
	s_mul_hi_i32 s15, s18, s1
	s_delay_alu instid0(VALU_DEP_2) | instskip(SKIP_2) | instid1(VALU_DEP_3)
	v_lshlrev_b64 v[1:2], 2, v[1:2]
	s_mul_i32 s14, s18, s1
	v_or_b32_e32 v6, s1, v0
	v_lshlrev_b64 v[3:4], 2, v[3:4]
	s_mul_hi_i32 s19, s20, s1
	s_mul_i32 s18, s20, s1
	s_waitcnt lgkmcnt(0)
	s_add_u32 s0, s12, s4
	s_addc_u32 s12, s13, s5
	s_lshl_b64 s[6:7], s[6:7], 2
	s_lshl_b64 s[4:5], s[14:15], 2
	v_add_co_u32 v1, vcc_lo, s0, v1
	s_add_u32 s0, s16, s6
	v_add_co_ci_u32_e32 v2, vcc_lo, s12, v2, vcc_lo
	s_addc_u32 s6, s17, s7
	v_add_co_u32 v3, vcc_lo, s0, v3
	v_add_co_ci_u32_e32 v4, vcc_lo, s6, v4, vcc_lo
	s_lshl_b64 s[6:7], s[18:19], 2
	s_mov_b32 s12, s9
	s_mov_b32 s13, s9
	.p2align	6
.LBB611_2:                              ; =>This Inner Loop Header: Depth=1
	global_load_b32 v7, v[3:4], off
	global_load_b32 v8, v[1:2], off
	v_add_co_u32 v1, s0, v1, s4
	s_delay_alu instid0(VALU_DEP_1)
	v_add_co_ci_u32_e64 v2, s0, s5, v2, s0
	s_add_i32 s14, s13, 1
	v_cmp_le_i32_e32 vcc_lo, s10, v6
	v_add_co_u32 v3, s0, v3, s6
	s_cmp_gt_u32 s13, 30
	v_add_co_ci_u32_e64 v4, s0, s7, v4, s0
	s_cselect_b32 s0, -1, 0
	v_add_nc_u32_e32 v6, s1, v6
	s_or_b32 s0, s0, vcc_lo
	s_mov_b32 s13, s14
	s_and_b32 s0, exec_lo, s0
	s_delay_alu instid0(SALU_CYCLE_1)
	s_or_b32 s12, s0, s12
	s_waitcnt vmcnt(0)
	v_fmac_f32_e32 v5, v7, v8
	s_and_not1_b32 exec_lo, exec_lo, s12
	s_cbranch_execnz .LBB611_2
; %bb.3:
	s_or_b32 exec_lo, exec_lo, s12
.LBB611_4:
	s_delay_alu instid0(SALU_CYCLE_1) | instskip(SKIP_2) | instid1(VALU_DEP_2)
	s_or_b32 exec_lo, exec_lo, s11
	v_and_b32_e32 v7, 31, v0
	v_cmp_gt_u32_e32 vcc_lo, 32, v0
	v_lshlrev_b32_e32 v1, 2, v7
	s_and_saveexec_b32 s0, vcc_lo
	s_cbranch_execz .LBB611_6
; %bb.5:
	v_mov_b32_e32 v2, 0
	ds_store_b32 v1, v2
.LBB611_6:
	s_or_b32 exec_lo, exec_lo, s0
	v_mbcnt_lo_u32_b32 v6, -1, 0
	s_mov_b32 s1, exec_lo
	s_waitcnt lgkmcnt(0)
	s_barrier
	buffer_gl0_inv
	v_cmp_gt_u32_e64 s0, 16, v6
	s_delay_alu instid0(VALU_DEP_1) | instskip(SKIP_1) | instid1(VALU_DEP_2)
	v_cndmask_b32_e64 v2, 0, 1, s0
	v_cmp_gt_u32_e64 s0, 24, v6
	v_lshlrev_b32_e32 v2, 4, v2
	s_delay_alu instid0(VALU_DEP_2) | instskip(SKIP_1) | instid1(VALU_DEP_3)
	v_cndmask_b32_e64 v3, 0, 1, s0
	v_cmp_gt_u32_e64 s0, 28, v6
	v_add_lshl_u32 v2, v2, v6, 2
	ds_bpermute_b32 v4, v2, v5
	s_waitcnt lgkmcnt(0)
	v_add_f32_e32 v5, v5, v4
	v_lshlrev_b32_e32 v3, 3, v3
	v_cndmask_b32_e64 v4, 0, 1, s0
	v_cmp_gt_u32_e64 s0, 30, v6
	s_delay_alu instid0(VALU_DEP_3) | instskip(NEXT) | instid1(VALU_DEP_3)
	v_add_lshl_u32 v3, v3, v6, 2
	v_lshlrev_b32_e32 v4, 2, v4
	ds_bpermute_b32 v8, v3, v5
	v_add_lshl_u32 v4, v4, v6, 2
	s_waitcnt lgkmcnt(0)
	v_add_f32_e32 v8, v5, v8
	v_cndmask_b32_e64 v5, 0, 1, s0
	v_cmp_ne_u32_e64 s0, 31, v6
	ds_bpermute_b32 v9, v4, v8
	v_lshlrev_b32_e32 v5, 1, v5
	s_delay_alu instid0(VALU_DEP_1) | instskip(SKIP_1) | instid1(VALU_DEP_1)
	v_add_lshl_u32 v5, v5, v6, 2
	v_add_co_ci_u32_e64 v6, s0, 0, v6, s0
	v_lshlrev_b32_e32 v6, 2, v6
	s_waitcnt lgkmcnt(0)
	v_add_f32_e32 v8, v8, v9
	ds_bpermute_b32 v9, v5, v8
	s_waitcnt lgkmcnt(0)
	v_add_f32_e32 v8, v8, v9
	ds_bpermute_b32 v9, v6, v8
	v_cmpx_eq_u32_e32 0, v7
	s_cbranch_execz .LBB611_8
; %bb.7:
	v_lshrrev_b32_e32 v7, 3, v0
	s_waitcnt lgkmcnt(0)
	s_delay_alu instid0(VALU_DEP_1)
	v_dual_add_f32 v8, v8, v9 :: v_dual_and_b32 v7, 0x7c, v7
	ds_store_b32 v7, v8
.LBB611_8:
	s_or_b32 exec_lo, exec_lo, s1
	v_mov_b32_e32 v7, 0
	s_waitcnt lgkmcnt(0)
	s_barrier
	buffer_gl0_inv
	s_and_saveexec_b32 s0, vcc_lo
	s_cbranch_execz .LBB611_10
; %bb.9:
	ds_load_b32 v7, v1
.LBB611_10:
	s_or_b32 exec_lo, exec_lo, s0
	s_and_saveexec_b32 s0, vcc_lo
	s_cbranch_execz .LBB611_12
; %bb.11:
	s_waitcnt lgkmcnt(0)
	ds_bpermute_b32 v1, v2, v7
	s_waitcnt lgkmcnt(0)
	v_add_f32_e32 v1, v7, v1
	ds_bpermute_b32 v2, v3, v1
	s_waitcnt lgkmcnt(0)
	v_add_f32_e32 v1, v1, v2
	;; [unrolled: 3-line block ×5, first 2 shown]
.LBB611_12:
	s_or_b32 exec_lo, exec_lo, s0
	s_delay_alu instid0(SALU_CYCLE_1)
	s_mov_b32 s0, exec_lo
	v_cmpx_eq_u32_e32 0, v0
	s_cbranch_execz .LBB611_14
; %bb.13:
	s_lshl_b64 s[0:1], s[8:9], 2
	v_mov_b32_e32 v0, 0
	s_add_u32 s0, s2, s0
	s_addc_u32 s1, s3, s1
	s_waitcnt lgkmcnt(0)
	global_store_b32 v0, v7, s[0:1]
.LBB611_14:
	s_nop 0
	s_sendmsg sendmsg(MSG_DEALLOC_VGPRS)
	s_endpgm
	.section	.rodata,"a",@progbits
	.p2align	6, 0x0
	.amdhsa_kernel _ZL18rocblas_dot_kernelIiLb1ELi1024ELi32ELb1EfPKPKffEviT5_lT_lS4_lS5_liPT6_PT4_
		.amdhsa_group_segment_fixed_size 128
		.amdhsa_private_segment_fixed_size 0
		.amdhsa_kernarg_size 352
		.amdhsa_user_sgpr_count 14
		.amdhsa_user_sgpr_dispatch_ptr 0
		.amdhsa_user_sgpr_queue_ptr 0
		.amdhsa_user_sgpr_kernarg_segment_ptr 1
		.amdhsa_user_sgpr_dispatch_id 0
		.amdhsa_user_sgpr_private_segment_size 0
		.amdhsa_wavefront_size32 1
		.amdhsa_uses_dynamic_stack 0
		.amdhsa_enable_private_segment 0
		.amdhsa_system_sgpr_workgroup_id_x 1
		.amdhsa_system_sgpr_workgroup_id_y 0
		.amdhsa_system_sgpr_workgroup_id_z 1
		.amdhsa_system_sgpr_workgroup_info 0
		.amdhsa_system_vgpr_workitem_id 0
		.amdhsa_next_free_vgpr 10
		.amdhsa_next_free_sgpr 21
		.amdhsa_reserve_vcc 1
		.amdhsa_float_round_mode_32 0
		.amdhsa_float_round_mode_16_64 0
		.amdhsa_float_denorm_mode_32 3
		.amdhsa_float_denorm_mode_16_64 3
		.amdhsa_dx10_clamp 1
		.amdhsa_ieee_mode 1
		.amdhsa_fp16_overflow 0
		.amdhsa_workgroup_processor_mode 1
		.amdhsa_memory_ordered 1
		.amdhsa_forward_progress 0
		.amdhsa_shared_vgpr_count 0
		.amdhsa_exception_fp_ieee_invalid_op 0
		.amdhsa_exception_fp_denorm_src 0
		.amdhsa_exception_fp_ieee_div_zero 0
		.amdhsa_exception_fp_ieee_overflow 0
		.amdhsa_exception_fp_ieee_underflow 0
		.amdhsa_exception_fp_ieee_inexact 0
		.amdhsa_exception_int_div_zero 0
	.end_amdhsa_kernel
	.section	.text._ZL18rocblas_dot_kernelIiLb1ELi1024ELi32ELb1EfPKPKffEviT5_lT_lS4_lS5_liPT6_PT4_,"axG",@progbits,_ZL18rocblas_dot_kernelIiLb1ELi1024ELi32ELb1EfPKPKffEviT5_lT_lS4_lS5_liPT6_PT4_,comdat
.Lfunc_end611:
	.size	_ZL18rocblas_dot_kernelIiLb1ELi1024ELi32ELb1EfPKPKffEviT5_lT_lS4_lS5_liPT6_PT4_, .Lfunc_end611-_ZL18rocblas_dot_kernelIiLb1ELi1024ELi32ELb1EfPKPKffEviT5_lT_lS4_lS5_liPT6_PT4_
                                        ; -- End function
	.section	.AMDGPU.csdata,"",@progbits
; Kernel info:
; codeLenInByte = 908
; NumSgprs: 23
; NumVgprs: 10
; ScratchSize: 0
; MemoryBound: 0
; FloatMode: 240
; IeeeMode: 1
; LDSByteSize: 128 bytes/workgroup (compile time only)
; SGPRBlocks: 2
; VGPRBlocks: 1
; NumSGPRsForWavesPerEU: 23
; NumVGPRsForWavesPerEU: 10
; Occupancy: 16
; WaveLimiterHint : 0
; COMPUTE_PGM_RSRC2:SCRATCH_EN: 0
; COMPUTE_PGM_RSRC2:USER_SGPR: 14
; COMPUTE_PGM_RSRC2:TRAP_HANDLER: 0
; COMPUTE_PGM_RSRC2:TGID_X_EN: 1
; COMPUTE_PGM_RSRC2:TGID_Y_EN: 0
; COMPUTE_PGM_RSRC2:TGID_Z_EN: 1
; COMPUTE_PGM_RSRC2:TIDIG_COMP_CNT: 0
	.section	.text._ZL24rocblas_dot_kernel_magsqIiLb1ELi1024ELi32ELb1EfPKPKffEviT5_lT_liPT6_PT4_,"axG",@progbits,_ZL24rocblas_dot_kernel_magsqIiLb1ELi1024ELi32ELb1EfPKPKffEviT5_lT_liPT6_PT4_,comdat
	.globl	_ZL24rocblas_dot_kernel_magsqIiLb1ELi1024ELi32ELb1EfPKPKffEviT5_lT_liPT6_PT4_ ; -- Begin function _ZL24rocblas_dot_kernel_magsqIiLb1ELi1024ELi32ELb1EfPKPKffEviT5_lT_liPT6_PT4_
	.p2align	8
	.type	_ZL24rocblas_dot_kernel_magsqIiLb1ELi1024ELi32ELb1EfPKPKffEviT5_lT_liPT6_PT4_,@function
_ZL24rocblas_dot_kernel_magsqIiLb1ELi1024ELi32ELb1EfPKPKffEviT5_lT_liPT6_PT4_: ; @_ZL24rocblas_dot_kernel_magsqIiLb1ELi1024ELi32ELb1EfPKPKffEviT5_lT_liPT6_PT4_
; %bb.0:
	s_clause 0x1
	s_load_b32 s8, s[0:1], 0x0
	s_load_b64 s[2:3], s[0:1], 0x38
	v_mov_b32_e32 v3, 0
	s_mov_b32 s4, s15
	s_mov_b32 s5, 0
	s_mov_b32 s9, exec_lo
	s_waitcnt lgkmcnt(0)
	v_cmpx_gt_i32_e64 s8, v0
	s_cbranch_execz .LBB612_4
; %bb.1:
	s_clause 0x2
	s_load_b128 s[12:15], s[0:1], 0x8
	s_load_b32 s16, s[0:1], 0x18
	s_load_b32 s10, s[0:1], 0x40
	s_lshl_b64 s[0:1], s[4:5], 3
	v_mov_b32_e32 v3, 0
	s_waitcnt lgkmcnt(0)
	s_add_u32 s0, s12, s0
	s_addc_u32 s1, s13, s1
	v_mad_i64_i32 v[1:2], null, s16, v0, 0
	s_load_b64 s[6:7], s[0:1], 0x0
	s_lshl_b32 s1, s10, 10
	s_lshl_b64 s[10:11], s[14:15], 2
	v_or_b32_e32 v4, s1, v0
	s_mul_hi_i32 s13, s16, s1
	s_mul_i32 s12, s16, s1
	s_delay_alu instid0(VALU_DEP_2) | instskip(SKIP_3) | instid1(VALU_DEP_1)
	v_lshlrev_b64 v[1:2], 2, v[1:2]
	s_waitcnt lgkmcnt(0)
	s_add_u32 s0, s6, s10
	s_addc_u32 s6, s7, s11
	v_add_co_u32 v1, vcc_lo, s0, v1
	s_delay_alu instid0(VALU_DEP_2)
	v_add_co_ci_u32_e32 v2, vcc_lo, s6, v2, vcc_lo
	s_lshl_b64 s[6:7], s[12:13], 2
	s_mov_b32 s10, s5
	s_mov_b32 s11, s5
	.p2align	6
.LBB612_2:                              ; =>This Inner Loop Header: Depth=1
	global_load_b32 v5, v[1:2], off
	s_add_i32 s12, s11, 1
	v_cmp_le_i32_e32 vcc_lo, s8, v4
	v_add_co_u32 v1, s0, v1, s6
	s_cmp_gt_u32 s11, 30
	v_add_co_ci_u32_e64 v2, s0, s7, v2, s0
	s_cselect_b32 s0, -1, 0
	v_add_nc_u32_e32 v4, s1, v4
	s_or_b32 s0, s0, vcc_lo
	s_mov_b32 s11, s12
	s_and_b32 s0, exec_lo, s0
	s_delay_alu instid0(SALU_CYCLE_1)
	s_or_b32 s10, s0, s10
	s_waitcnt vmcnt(0)
	v_fmac_f32_e32 v3, v5, v5
	s_and_not1_b32 exec_lo, exec_lo, s10
	s_cbranch_execnz .LBB612_2
; %bb.3:
	s_or_b32 exec_lo, exec_lo, s10
.LBB612_4:
	s_delay_alu instid0(SALU_CYCLE_1) | instskip(SKIP_2) | instid1(VALU_DEP_2)
	s_or_b32 exec_lo, exec_lo, s9
	v_and_b32_e32 v7, 31, v0
	v_cmp_gt_u32_e32 vcc_lo, 32, v0
	v_lshlrev_b32_e32 v1, 2, v7
	s_and_saveexec_b32 s0, vcc_lo
	s_cbranch_execz .LBB612_6
; %bb.5:
	v_mov_b32_e32 v2, 0
	ds_store_b32 v1, v2
.LBB612_6:
	s_or_b32 exec_lo, exec_lo, s0
	v_mbcnt_lo_u32_b32 v6, -1, 0
	s_mov_b32 s1, exec_lo
	s_waitcnt lgkmcnt(0)
	s_barrier
	buffer_gl0_inv
	v_cmp_gt_u32_e64 s0, 16, v6
	s_delay_alu instid0(VALU_DEP_1) | instskip(SKIP_1) | instid1(VALU_DEP_2)
	v_cndmask_b32_e64 v2, 0, 1, s0
	v_cmp_gt_u32_e64 s0, 24, v6
	v_lshlrev_b32_e32 v2, 4, v2
	s_delay_alu instid0(VALU_DEP_2) | instskip(SKIP_1) | instid1(VALU_DEP_3)
	v_cndmask_b32_e64 v4, 0, 1, s0
	v_cmp_gt_u32_e64 s0, 28, v6
	v_add_lshl_u32 v2, v2, v6, 2
	s_delay_alu instid0(VALU_DEP_3)
	v_lshlrev_b32_e32 v4, 3, v4
	ds_bpermute_b32 v5, v2, v3
	v_add_lshl_u32 v4, v4, v6, 2
	s_waitcnt lgkmcnt(0)
	v_add_f32_e32 v5, v3, v5
	v_cndmask_b32_e64 v3, 0, 1, s0
	v_cmp_gt_u32_e64 s0, 30, v6
	ds_bpermute_b32 v8, v4, v5
	s_waitcnt lgkmcnt(0)
	v_dual_add_f32 v8, v5, v8 :: v_dual_lshlrev_b32 v3, 2, v3
	s_delay_alu instid0(VALU_DEP_1) | instskip(SKIP_4) | instid1(VALU_DEP_1)
	v_add_lshl_u32 v3, v3, v6, 2
	v_cndmask_b32_e64 v5, 0, 1, s0
	v_cmp_ne_u32_e64 s0, 31, v6
	ds_bpermute_b32 v9, v3, v8
	v_lshlrev_b32_e32 v5, 1, v5
	v_add_lshl_u32 v5, v5, v6, 2
	v_add_co_ci_u32_e64 v6, s0, 0, v6, s0
	s_delay_alu instid0(VALU_DEP_1)
	v_lshlrev_b32_e32 v6, 2, v6
	s_waitcnt lgkmcnt(0)
	v_add_f32_e32 v8, v8, v9
	ds_bpermute_b32 v9, v5, v8
	s_waitcnt lgkmcnt(0)
	v_add_f32_e32 v8, v8, v9
	ds_bpermute_b32 v9, v6, v8
	v_cmpx_eq_u32_e32 0, v7
	s_cbranch_execz .LBB612_8
; %bb.7:
	v_lshrrev_b32_e32 v7, 3, v0
	s_waitcnt lgkmcnt(0)
	s_delay_alu instid0(VALU_DEP_1)
	v_dual_add_f32 v8, v8, v9 :: v_dual_and_b32 v7, 0x7c, v7
	ds_store_b32 v7, v8
.LBB612_8:
	s_or_b32 exec_lo, exec_lo, s1
	v_mov_b32_e32 v7, 0
	s_waitcnt lgkmcnt(0)
	s_barrier
	buffer_gl0_inv
	s_and_saveexec_b32 s0, vcc_lo
	s_cbranch_execz .LBB612_10
; %bb.9:
	ds_load_b32 v7, v1
.LBB612_10:
	s_or_b32 exec_lo, exec_lo, s0
	s_and_saveexec_b32 s0, vcc_lo
	s_cbranch_execz .LBB612_12
; %bb.11:
	s_waitcnt lgkmcnt(0)
	ds_bpermute_b32 v1, v2, v7
	s_waitcnt lgkmcnt(0)
	v_add_f32_e32 v1, v7, v1
	ds_bpermute_b32 v2, v4, v1
	s_waitcnt lgkmcnt(0)
	v_add_f32_e32 v1, v1, v2
	;; [unrolled: 3-line block ×5, first 2 shown]
.LBB612_12:
	s_or_b32 exec_lo, exec_lo, s0
	s_delay_alu instid0(SALU_CYCLE_1)
	s_mov_b32 s0, exec_lo
	v_cmpx_eq_u32_e32 0, v0
	s_cbranch_execz .LBB612_14
; %bb.13:
	s_lshl_b64 s[0:1], s[4:5], 2
	v_mov_b32_e32 v0, 0
	s_add_u32 s0, s2, s0
	s_addc_u32 s1, s3, s1
	s_waitcnt lgkmcnt(0)
	global_store_b32 v0, v7, s[0:1]
.LBB612_14:
	s_nop 0
	s_sendmsg sendmsg(MSG_DEALLOC_VGPRS)
	s_endpgm
	.section	.rodata,"a",@progbits
	.p2align	6, 0x0
	.amdhsa_kernel _ZL24rocblas_dot_kernel_magsqIiLb1ELi1024ELi32ELb1EfPKPKffEviT5_lT_liPT6_PT4_
		.amdhsa_group_segment_fixed_size 128
		.amdhsa_private_segment_fixed_size 0
		.amdhsa_kernarg_size 320
		.amdhsa_user_sgpr_count 14
		.amdhsa_user_sgpr_dispatch_ptr 0
		.amdhsa_user_sgpr_queue_ptr 0
		.amdhsa_user_sgpr_kernarg_segment_ptr 1
		.amdhsa_user_sgpr_dispatch_id 0
		.amdhsa_user_sgpr_private_segment_size 0
		.amdhsa_wavefront_size32 1
		.amdhsa_uses_dynamic_stack 0
		.amdhsa_enable_private_segment 0
		.amdhsa_system_sgpr_workgroup_id_x 1
		.amdhsa_system_sgpr_workgroup_id_y 0
		.amdhsa_system_sgpr_workgroup_id_z 1
		.amdhsa_system_sgpr_workgroup_info 0
		.amdhsa_system_vgpr_workitem_id 0
		.amdhsa_next_free_vgpr 10
		.amdhsa_next_free_sgpr 17
		.amdhsa_reserve_vcc 1
		.amdhsa_float_round_mode_32 0
		.amdhsa_float_round_mode_16_64 0
		.amdhsa_float_denorm_mode_32 3
		.amdhsa_float_denorm_mode_16_64 3
		.amdhsa_dx10_clamp 1
		.amdhsa_ieee_mode 1
		.amdhsa_fp16_overflow 0
		.amdhsa_workgroup_processor_mode 1
		.amdhsa_memory_ordered 1
		.amdhsa_forward_progress 0
		.amdhsa_shared_vgpr_count 0
		.amdhsa_exception_fp_ieee_invalid_op 0
		.amdhsa_exception_fp_denorm_src 0
		.amdhsa_exception_fp_ieee_div_zero 0
		.amdhsa_exception_fp_ieee_overflow 0
		.amdhsa_exception_fp_ieee_underflow 0
		.amdhsa_exception_fp_ieee_inexact 0
		.amdhsa_exception_int_div_zero 0
	.end_amdhsa_kernel
	.section	.text._ZL24rocblas_dot_kernel_magsqIiLb1ELi1024ELi32ELb1EfPKPKffEviT5_lT_liPT6_PT4_,"axG",@progbits,_ZL24rocblas_dot_kernel_magsqIiLb1ELi1024ELi32ELb1EfPKPKffEviT5_lT_liPT6_PT4_,comdat
.Lfunc_end612:
	.size	_ZL24rocblas_dot_kernel_magsqIiLb1ELi1024ELi32ELb1EfPKPKffEviT5_lT_liPT6_PT4_, .Lfunc_end612-_ZL24rocblas_dot_kernel_magsqIiLb1ELi1024ELi32ELb1EfPKPKffEviT5_lT_liPT6_PT4_
                                        ; -- End function
	.section	.AMDGPU.csdata,"",@progbits
; Kernel info:
; codeLenInByte = 804
; NumSgprs: 19
; NumVgprs: 10
; ScratchSize: 0
; MemoryBound: 0
; FloatMode: 240
; IeeeMode: 1
; LDSByteSize: 128 bytes/workgroup (compile time only)
; SGPRBlocks: 2
; VGPRBlocks: 1
; NumSGPRsForWavesPerEU: 19
; NumVGPRsForWavesPerEU: 10
; Occupancy: 16
; WaveLimiterHint : 0
; COMPUTE_PGM_RSRC2:SCRATCH_EN: 0
; COMPUTE_PGM_RSRC2:USER_SGPR: 14
; COMPUTE_PGM_RSRC2:TRAP_HANDLER: 0
; COMPUTE_PGM_RSRC2:TGID_X_EN: 1
; COMPUTE_PGM_RSRC2:TGID_Y_EN: 0
; COMPUTE_PGM_RSRC2:TGID_Z_EN: 1
; COMPUTE_PGM_RSRC2:TIDIG_COMP_CNT: 0
	.section	.text._ZL23rocblas_dot_kernel_inc1ILb0ELi512ELi4ELb1EfPKPKffEviT4_llS4_lliPT5_PT3_,"axG",@progbits,_ZL23rocblas_dot_kernel_inc1ILb0ELi512ELi4ELb1EfPKPKffEviT4_llS4_lliPT5_PT3_,comdat
	.globl	_ZL23rocblas_dot_kernel_inc1ILb0ELi512ELi4ELb1EfPKPKffEviT4_llS4_lliPT5_PT3_ ; -- Begin function _ZL23rocblas_dot_kernel_inc1ILb0ELi512ELi4ELb1EfPKPKffEviT4_llS4_lliPT5_PT3_
	.p2align	8
	.type	_ZL23rocblas_dot_kernel_inc1ILb0ELi512ELi4ELb1EfPKPKffEviT4_llS4_lliPT5_PT3_,@function
_ZL23rocblas_dot_kernel_inc1ILb0ELi512ELi4ELb1EfPKPKffEviT4_llS4_lliPT5_PT3_: ; @_ZL23rocblas_dot_kernel_inc1ILb0ELi512ELi4ELb1EfPKPKffEviT4_llS4_lliPT5_PT3_
; %bb.0:
	s_clause 0x2
	s_load_b32 s12, s[0:1], 0x50
	s_load_b32 s13, s[0:1], 0x0
	s_load_b128 s[4:7], s[0:1], 0x40
	v_lshl_or_b32 v3, s14, 9, v0
	v_mov_b32_e32 v5, 0
	s_mov_b32 s2, s15
	s_mov_b32 s3, 0
	s_mov_b32 s15, exec_lo
	s_waitcnt lgkmcnt(0)
	v_cmpx_gt_i32_e64 s13, v3
	s_cbranch_execz .LBB613_4
; %bb.1:
	s_clause 0x1
	s_load_b128 s[8:11], s[0:1], 0x8
	s_load_b128 s[20:23], s[0:1], 0x20
	s_lshl_b64 s[18:19], s[2:3], 3
	v_ashrrev_i32_e32 v4, 31, v3
	v_mov_b32_e32 v5, 0
	s_delay_alu instid0(VALU_DEP_2)
	v_lshlrev_b64 v[1:2], 2, v[3:4]
	s_waitcnt lgkmcnt(0)
	s_add_u32 s0, s8, s18
	s_addc_u32 s1, s9, s19
	s_lshl_b64 s[10:11], s[10:11], 2
	s_load_b64 s[8:9], s[0:1], 0x0
	s_waitcnt lgkmcnt(0)
	s_add_u32 s1, s8, s10
	s_addc_u32 s16, s9, s11
	s_add_u32 s8, s20, s18
	s_addc_u32 s9, s21, s19
	s_lshl_b64 s[10:11], s[22:23], 2
	s_load_b64 s[8:9], s[8:9], 0x0
	s_mov_b32 s19, s3
	s_waitcnt lgkmcnt(0)
	s_add_u32 s17, s8, s10
	s_addc_u32 s18, s9, s11
	s_lshl_b32 s8, s12, 9
	s_delay_alu instid0(SALU_CYCLE_1) | instskip(SKIP_1) | instid1(SALU_CYCLE_1)
	v_add_nc_u32_e32 v3, s8, v3
	s_ashr_i32 s9, s8, 31
	s_lshl_b64 s[10:11], s[8:9], 2
	s_mov_b32 s9, s3
	.p2align	6
.LBB613_2:                              ; =>This Inner Loop Header: Depth=1
	v_add_co_u32 v6, vcc_lo, s17, v1
	v_add_co_ci_u32_e32 v7, vcc_lo, s18, v2, vcc_lo
	v_add_co_u32 v8, vcc_lo, s1, v1
	v_add_co_ci_u32_e32 v9, vcc_lo, s16, v2, vcc_lo
	s_add_i32 s20, s19, 1
	global_load_b32 v4, v[6:7], off
	global_load_b32 v6, v[8:9], off
	v_cmp_le_i32_e32 vcc_lo, s13, v3
	v_add_co_u32 v1, s0, v1, s10
	s_cmp_gt_u32 s19, 2
	v_add_co_ci_u32_e64 v2, s0, s11, v2, s0
	s_cselect_b32 s0, -1, 0
	v_add_nc_u32_e32 v3, s8, v3
	s_or_b32 s0, s0, vcc_lo
	s_mov_b32 s19, s20
	s_and_b32 s0, exec_lo, s0
	s_delay_alu instid0(SALU_CYCLE_1)
	s_or_b32 s9, s0, s9
	s_waitcnt vmcnt(0)
	v_fmac_f32_e32 v5, v4, v6
	s_and_not1_b32 exec_lo, exec_lo, s9
	s_cbranch_execnz .LBB613_2
; %bb.3:
	s_or_b32 exec_lo, exec_lo, s9
.LBB613_4:
	s_delay_alu instid0(SALU_CYCLE_1) | instskip(SKIP_2) | instid1(VALU_DEP_2)
	s_or_b32 exec_lo, exec_lo, s15
	v_and_b32_e32 v2, 31, v0
	v_cmp_gt_u32_e32 vcc_lo, 32, v0
	v_lshlrev_b32_e32 v1, 2, v2
	s_and_saveexec_b32 s0, vcc_lo
	s_cbranch_execz .LBB613_6
; %bb.5:
	v_mov_b32_e32 v3, 0
	ds_store_b32 v1, v3
.LBB613_6:
	s_or_b32 exec_lo, exec_lo, s0
	v_mbcnt_lo_u32_b32 v6, -1, 0
	s_mov_b32 s1, exec_lo
	s_waitcnt lgkmcnt(0)
	s_barrier
	buffer_gl0_inv
	v_cmp_gt_u32_e64 s0, 16, v6
	s_delay_alu instid0(VALU_DEP_1) | instskip(SKIP_1) | instid1(VALU_DEP_2)
	v_cndmask_b32_e64 v3, 0, 1, s0
	v_cmp_gt_u32_e64 s0, 24, v6
	v_lshlrev_b32_e32 v3, 4, v3
	s_delay_alu instid0(VALU_DEP_1) | instskip(SKIP_3) | instid1(VALU_DEP_2)
	v_add_lshl_u32 v3, v3, v6, 2
	ds_bpermute_b32 v4, v3, v5
	v_cndmask_b32_e64 v3, 0, 1, s0
	v_cmp_gt_u32_e64 s0, 28, v6
	v_lshlrev_b32_e32 v3, 3, v3
	s_delay_alu instid0(VALU_DEP_1)
	v_add_lshl_u32 v3, v3, v6, 2
	s_waitcnt lgkmcnt(0)
	v_add_f32_e32 v5, v5, v4
	v_cndmask_b32_e64 v4, 0, 1, s0
	v_cmp_gt_u32_e64 s0, 30, v6
	ds_bpermute_b32 v7, v3, v5
	s_waitcnt lgkmcnt(0)
	v_dual_add_f32 v7, v5, v7 :: v_dual_lshlrev_b32 v4, 2, v4
	s_delay_alu instid0(VALU_DEP_1) | instskip(SKIP_4) | instid1(VALU_DEP_1)
	v_add_lshl_u32 v4, v4, v6, 2
	v_cndmask_b32_e64 v5, 0, 1, s0
	v_cmp_ne_u32_e64 s0, 31, v6
	ds_bpermute_b32 v8, v4, v7
	v_lshlrev_b32_e32 v5, 1, v5
	v_add_lshl_u32 v5, v5, v6, 2
	v_add_co_ci_u32_e64 v6, s0, 0, v6, s0
	s_waitcnt lgkmcnt(0)
	s_delay_alu instid0(VALU_DEP_1)
	v_dual_add_f32 v7, v7, v8 :: v_dual_lshlrev_b32 v6, 2, v6
	ds_bpermute_b32 v8, v5, v7
	s_waitcnt lgkmcnt(0)
	v_add_f32_e32 v7, v7, v8
	ds_bpermute_b32 v8, v6, v7
	v_cmpx_eq_u32_e32 0, v2
	s_cbranch_execz .LBB613_8
; %bb.7:
	v_lshrrev_b32_e32 v2, 3, v0
	s_waitcnt lgkmcnt(0)
	s_delay_alu instid0(VALU_DEP_1)
	v_dual_add_f32 v7, v7, v8 :: v_dual_and_b32 v2, 60, v2
	ds_store_b32 v2, v7
.LBB613_8:
	s_or_b32 exec_lo, exec_lo, s1
	v_mov_b32_e32 v2, 0
	s_mov_b32 s1, exec_lo
	s_waitcnt lgkmcnt(0)
	s_barrier
	buffer_gl0_inv
	v_cmpx_gt_u32_e32 16, v0
	s_cbranch_execz .LBB613_10
; %bb.9:
	ds_load_b32 v2, v1
.LBB613_10:
	s_or_b32 exec_lo, exec_lo, s1
	s_and_saveexec_b32 s0, vcc_lo
	s_cbranch_execz .LBB613_12
; %bb.11:
	s_waitcnt lgkmcnt(0)
	ds_bpermute_b32 v1, v3, v2
	s_waitcnt lgkmcnt(0)
	v_add_f32_e32 v1, v2, v1
	ds_bpermute_b32 v2, v4, v1
	s_waitcnt lgkmcnt(0)
	v_add_f32_e32 v1, v1, v2
	;; [unrolled: 3-line block ×4, first 2 shown]
.LBB613_12:
	s_or_b32 exec_lo, exec_lo, s0
	s_delay_alu instid0(SALU_CYCLE_1)
	s_mov_b32 s0, exec_lo
	v_cmpx_eq_u32_e32 0, v0
	s_cbranch_execz .LBB613_18
; %bb.13:
	s_cmp_lg_u32 s12, 1
	s_cbranch_scc0 .LBB613_15
; %bb.14:
	s_mul_hi_u32 s1, s12, s2
	s_mul_i32 s0, s12, s2
	s_mov_b32 s15, 0
	s_lshl_b64 s[0:1], s[0:1], 2
	s_delay_alu instid0(SALU_CYCLE_1) | instskip(SKIP_2) | instid1(SALU_CYCLE_1)
	s_add_u32 s4, s4, s0
	s_addc_u32 s5, s5, s1
	s_lshl_b64 s[0:1], s[14:15], 2
	s_add_u32 s0, s4, s0
	s_addc_u32 s1, s5, s1
	s_cbranch_execz .LBB613_16
	s_branch .LBB613_17
.LBB613_15:
                                        ; implicit-def: $sgpr0_sgpr1
.LBB613_16:
	s_lshl_b64 s[0:1], s[2:3], 2
	s_delay_alu instid0(SALU_CYCLE_1)
	s_add_u32 s0, s6, s0
	s_addc_u32 s1, s7, s1
.LBB613_17:
	v_mov_b32_e32 v0, 0
	s_waitcnt lgkmcnt(0)
	global_store_b32 v0, v2, s[0:1]
.LBB613_18:
	s_nop 0
	s_sendmsg sendmsg(MSG_DEALLOC_VGPRS)
	s_endpgm
	.section	.rodata,"a",@progbits
	.p2align	6, 0x0
	.amdhsa_kernel _ZL23rocblas_dot_kernel_inc1ILb0ELi512ELi4ELb1EfPKPKffEviT4_llS4_lliPT5_PT3_
		.amdhsa_group_segment_fixed_size 128
		.amdhsa_private_segment_fixed_size 0
		.amdhsa_kernarg_size 336
		.amdhsa_user_sgpr_count 14
		.amdhsa_user_sgpr_dispatch_ptr 0
		.amdhsa_user_sgpr_queue_ptr 0
		.amdhsa_user_sgpr_kernarg_segment_ptr 1
		.amdhsa_user_sgpr_dispatch_id 0
		.amdhsa_user_sgpr_private_segment_size 0
		.amdhsa_wavefront_size32 1
		.amdhsa_uses_dynamic_stack 0
		.amdhsa_enable_private_segment 0
		.amdhsa_system_sgpr_workgroup_id_x 1
		.amdhsa_system_sgpr_workgroup_id_y 0
		.amdhsa_system_sgpr_workgroup_id_z 1
		.amdhsa_system_sgpr_workgroup_info 0
		.amdhsa_system_vgpr_workitem_id 0
		.amdhsa_next_free_vgpr 10
		.amdhsa_next_free_sgpr 24
		.amdhsa_reserve_vcc 1
		.amdhsa_float_round_mode_32 0
		.amdhsa_float_round_mode_16_64 0
		.amdhsa_float_denorm_mode_32 3
		.amdhsa_float_denorm_mode_16_64 3
		.amdhsa_dx10_clamp 1
		.amdhsa_ieee_mode 1
		.amdhsa_fp16_overflow 0
		.amdhsa_workgroup_processor_mode 1
		.amdhsa_memory_ordered 1
		.amdhsa_forward_progress 0
		.amdhsa_shared_vgpr_count 0
		.amdhsa_exception_fp_ieee_invalid_op 0
		.amdhsa_exception_fp_denorm_src 0
		.amdhsa_exception_fp_ieee_div_zero 0
		.amdhsa_exception_fp_ieee_overflow 0
		.amdhsa_exception_fp_ieee_underflow 0
		.amdhsa_exception_fp_ieee_inexact 0
		.amdhsa_exception_int_div_zero 0
	.end_amdhsa_kernel
	.section	.text._ZL23rocblas_dot_kernel_inc1ILb0ELi512ELi4ELb1EfPKPKffEviT4_llS4_lliPT5_PT3_,"axG",@progbits,_ZL23rocblas_dot_kernel_inc1ILb0ELi512ELi4ELb1EfPKPKffEviT4_llS4_lliPT5_PT3_,comdat
.Lfunc_end613:
	.size	_ZL23rocblas_dot_kernel_inc1ILb0ELi512ELi4ELb1EfPKPKffEviT4_llS4_lliPT5_PT3_, .Lfunc_end613-_ZL23rocblas_dot_kernel_inc1ILb0ELi512ELi4ELb1EfPKPKffEviT4_llS4_lliPT5_PT3_
                                        ; -- End function
	.section	.AMDGPU.csdata,"",@progbits
; Kernel info:
; codeLenInByte = 900
; NumSgprs: 26
; NumVgprs: 10
; ScratchSize: 0
; MemoryBound: 0
; FloatMode: 240
; IeeeMode: 1
; LDSByteSize: 128 bytes/workgroup (compile time only)
; SGPRBlocks: 3
; VGPRBlocks: 1
; NumSGPRsForWavesPerEU: 26
; NumVGPRsForWavesPerEU: 10
; Occupancy: 16
; WaveLimiterHint : 1
; COMPUTE_PGM_RSRC2:SCRATCH_EN: 0
; COMPUTE_PGM_RSRC2:USER_SGPR: 14
; COMPUTE_PGM_RSRC2:TRAP_HANDLER: 0
; COMPUTE_PGM_RSRC2:TGID_X_EN: 1
; COMPUTE_PGM_RSRC2:TGID_Y_EN: 0
; COMPUTE_PGM_RSRC2:TGID_Z_EN: 1
; COMPUTE_PGM_RSRC2:TIDIG_COMP_CNT: 0
	.section	.text._ZL18rocblas_dot_kernelIiLb0ELi512ELi4ELb1EfPKPKffEviT5_lT_lS4_lS5_liPT6_PT4_,"axG",@progbits,_ZL18rocblas_dot_kernelIiLb0ELi512ELi4ELb1EfPKPKffEviT5_lT_lS4_lS5_liPT6_PT4_,comdat
	.globl	_ZL18rocblas_dot_kernelIiLb0ELi512ELi4ELb1EfPKPKffEviT5_lT_lS4_lS5_liPT6_PT4_ ; -- Begin function _ZL18rocblas_dot_kernelIiLb0ELi512ELi4ELb1EfPKPKffEviT5_lT_lS4_lS5_liPT6_PT4_
	.p2align	8
	.type	_ZL18rocblas_dot_kernelIiLb0ELi512ELi4ELb1EfPKPKffEviT5_lT_lS4_lS5_liPT6_PT4_,@function
_ZL18rocblas_dot_kernelIiLb0ELi512ELi4ELb1EfPKPKffEviT5_lT_lS4_lS5_liPT6_PT4_: ; @_ZL18rocblas_dot_kernelIiLb0ELi512ELi4ELb1EfPKPKffEviT5_lT_lS4_lS5_liPT6_PT4_
; %bb.0:
	s_clause 0x2
	s_load_b32 s12, s[0:1], 0x60
	s_load_b32 s13, s[0:1], 0x0
	s_load_b128 s[4:7], s[0:1], 0x50
	v_lshl_or_b32 v1, s14, 9, v0
	v_mov_b32_e32 v5, 0
	s_mov_b32 s2, s15
	s_mov_b32 s3, 0
	s_mov_b32 s15, exec_lo
	s_waitcnt lgkmcnt(0)
	v_cmpx_gt_i32_e64 s13, v1
	s_cbranch_execz .LBB614_4
; %bb.1:
	s_clause 0x3
	s_load_b128 s[16:19], s[0:1], 0x8
	s_load_b128 s[8:11], s[0:1], 0x28
	s_load_b32 s22, s[0:1], 0x18
	s_load_b32 s24, s[0:1], 0x38
	s_lshl_b64 s[0:1], s[2:3], 3
	s_waitcnt lgkmcnt(0)
	s_add_u32 s16, s16, s0
	s_addc_u32 s17, s17, s1
	s_add_u32 s0, s8, s0
	s_load_b64 s[16:17], s[16:17], 0x0
	s_addc_u32 s1, s9, s1
	v_mad_i64_i32 v[2:3], null, s22, v1, 0
	s_load_b64 s[20:21], s[0:1], 0x0
	v_mad_i64_i32 v[4:5], null, s24, v1, 0
	s_lshl_b32 s1, s12, 9
	s_lshl_b64 s[8:9], s[18:19], 2
	v_add_nc_u32_e32 v6, s1, v1
	s_delay_alu instid0(VALU_DEP_3) | instskip(SKIP_2) | instid1(VALU_DEP_3)
	v_lshlrev_b64 v[1:2], 2, v[2:3]
	s_mul_hi_i32 s19, s22, s1
	s_mul_i32 s18, s22, s1
	v_lshlrev_b64 v[3:4], 2, v[4:5]
	v_mov_b32_e32 v5, 0
	s_mul_hi_i32 s23, s24, s1
	s_mul_i32 s22, s24, s1
	s_waitcnt lgkmcnt(0)
	s_add_u32 s0, s16, s8
	s_addc_u32 s16, s17, s9
	s_lshl_b64 s[10:11], s[10:11], 2
	s_lshl_b64 s[8:9], s[18:19], 2
	v_add_co_u32 v1, vcc_lo, s0, v1
	s_add_u32 s0, s20, s10
	v_add_co_ci_u32_e32 v2, vcc_lo, s16, v2, vcc_lo
	s_addc_u32 s10, s21, s11
	v_add_co_u32 v3, vcc_lo, s0, v3
	v_add_co_ci_u32_e32 v4, vcc_lo, s10, v4, vcc_lo
	s_lshl_b64 s[10:11], s[22:23], 2
	s_mov_b32 s16, s3
	s_mov_b32 s17, s3
	.p2align	6
.LBB614_2:                              ; =>This Inner Loop Header: Depth=1
	global_load_b32 v7, v[3:4], off
	global_load_b32 v8, v[1:2], off
	v_add_co_u32 v1, s0, v1, s8
	s_delay_alu instid0(VALU_DEP_1)
	v_add_co_ci_u32_e64 v2, s0, s9, v2, s0
	s_add_i32 s18, s17, 1
	v_cmp_le_i32_e32 vcc_lo, s13, v6
	v_add_co_u32 v3, s0, v3, s10
	s_cmp_gt_u32 s17, 2
	v_add_co_ci_u32_e64 v4, s0, s11, v4, s0
	s_cselect_b32 s0, -1, 0
	v_add_nc_u32_e32 v6, s1, v6
	s_or_b32 s0, s0, vcc_lo
	s_mov_b32 s17, s18
	s_and_b32 s0, exec_lo, s0
	s_delay_alu instid0(SALU_CYCLE_1)
	s_or_b32 s16, s0, s16
	s_waitcnt vmcnt(0)
	v_fmac_f32_e32 v5, v7, v8
	s_and_not1_b32 exec_lo, exec_lo, s16
	s_cbranch_execnz .LBB614_2
; %bb.3:
	s_or_b32 exec_lo, exec_lo, s16
.LBB614_4:
	s_delay_alu instid0(SALU_CYCLE_1) | instskip(SKIP_2) | instid1(VALU_DEP_2)
	s_or_b32 exec_lo, exec_lo, s15
	v_and_b32_e32 v2, 31, v0
	v_cmp_gt_u32_e32 vcc_lo, 32, v0
	v_lshlrev_b32_e32 v1, 2, v2
	s_and_saveexec_b32 s0, vcc_lo
	s_cbranch_execz .LBB614_6
; %bb.5:
	v_mov_b32_e32 v3, 0
	ds_store_b32 v1, v3
.LBB614_6:
	s_or_b32 exec_lo, exec_lo, s0
	v_mbcnt_lo_u32_b32 v6, -1, 0
	s_mov_b32 s1, exec_lo
	s_waitcnt lgkmcnt(0)
	s_barrier
	buffer_gl0_inv
	v_cmp_gt_u32_e64 s0, 16, v6
	s_delay_alu instid0(VALU_DEP_1) | instskip(SKIP_1) | instid1(VALU_DEP_2)
	v_cndmask_b32_e64 v3, 0, 1, s0
	v_cmp_gt_u32_e64 s0, 24, v6
	v_lshlrev_b32_e32 v3, 4, v3
	s_delay_alu instid0(VALU_DEP_1) | instskip(SKIP_3) | instid1(VALU_DEP_2)
	v_add_lshl_u32 v3, v3, v6, 2
	ds_bpermute_b32 v4, v3, v5
	v_cndmask_b32_e64 v3, 0, 1, s0
	v_cmp_gt_u32_e64 s0, 28, v6
	v_lshlrev_b32_e32 v3, 3, v3
	s_delay_alu instid0(VALU_DEP_1)
	v_add_lshl_u32 v3, v3, v6, 2
	s_waitcnt lgkmcnt(0)
	v_add_f32_e32 v5, v5, v4
	v_cndmask_b32_e64 v4, 0, 1, s0
	v_cmp_gt_u32_e64 s0, 30, v6
	ds_bpermute_b32 v7, v3, v5
	s_waitcnt lgkmcnt(0)
	v_dual_add_f32 v7, v5, v7 :: v_dual_lshlrev_b32 v4, 2, v4
	s_delay_alu instid0(VALU_DEP_1) | instskip(SKIP_4) | instid1(VALU_DEP_1)
	v_add_lshl_u32 v4, v4, v6, 2
	v_cndmask_b32_e64 v5, 0, 1, s0
	v_cmp_ne_u32_e64 s0, 31, v6
	ds_bpermute_b32 v8, v4, v7
	v_lshlrev_b32_e32 v5, 1, v5
	v_add_lshl_u32 v5, v5, v6, 2
	v_add_co_ci_u32_e64 v6, s0, 0, v6, s0
	s_waitcnt lgkmcnt(0)
	s_delay_alu instid0(VALU_DEP_1)
	v_dual_add_f32 v7, v7, v8 :: v_dual_lshlrev_b32 v6, 2, v6
	ds_bpermute_b32 v8, v5, v7
	s_waitcnt lgkmcnt(0)
	v_add_f32_e32 v7, v7, v8
	ds_bpermute_b32 v8, v6, v7
	v_cmpx_eq_u32_e32 0, v2
	s_cbranch_execz .LBB614_8
; %bb.7:
	v_lshrrev_b32_e32 v2, 3, v0
	s_waitcnt lgkmcnt(0)
	s_delay_alu instid0(VALU_DEP_1)
	v_dual_add_f32 v7, v7, v8 :: v_dual_and_b32 v2, 60, v2
	ds_store_b32 v2, v7
.LBB614_8:
	s_or_b32 exec_lo, exec_lo, s1
	v_mov_b32_e32 v2, 0
	s_mov_b32 s1, exec_lo
	s_waitcnt lgkmcnt(0)
	s_barrier
	buffer_gl0_inv
	v_cmpx_gt_u32_e32 16, v0
	s_cbranch_execz .LBB614_10
; %bb.9:
	ds_load_b32 v2, v1
.LBB614_10:
	s_or_b32 exec_lo, exec_lo, s1
	s_and_saveexec_b32 s0, vcc_lo
	s_cbranch_execz .LBB614_12
; %bb.11:
	s_waitcnt lgkmcnt(0)
	ds_bpermute_b32 v1, v3, v2
	s_waitcnt lgkmcnt(0)
	v_add_f32_e32 v1, v2, v1
	ds_bpermute_b32 v2, v4, v1
	s_waitcnt lgkmcnt(0)
	v_add_f32_e32 v1, v1, v2
	;; [unrolled: 3-line block ×4, first 2 shown]
.LBB614_12:
	s_or_b32 exec_lo, exec_lo, s0
	s_delay_alu instid0(SALU_CYCLE_1)
	s_mov_b32 s0, exec_lo
	v_cmpx_eq_u32_e32 0, v0
	s_cbranch_execz .LBB614_18
; %bb.13:
	s_cmp_lg_u32 s12, 1
	s_cbranch_scc0 .LBB614_15
; %bb.14:
	s_mul_hi_u32 s1, s12, s2
	s_mul_i32 s0, s12, s2
	s_mov_b32 s15, 0
	s_lshl_b64 s[0:1], s[0:1], 2
	s_delay_alu instid0(SALU_CYCLE_1) | instskip(SKIP_2) | instid1(SALU_CYCLE_1)
	s_add_u32 s4, s4, s0
	s_addc_u32 s5, s5, s1
	s_lshl_b64 s[0:1], s[14:15], 2
	s_add_u32 s0, s4, s0
	s_addc_u32 s1, s5, s1
	s_cbranch_execz .LBB614_16
	s_branch .LBB614_17
.LBB614_15:
                                        ; implicit-def: $sgpr0_sgpr1
.LBB614_16:
	s_lshl_b64 s[0:1], s[2:3], 2
	s_delay_alu instid0(SALU_CYCLE_1)
	s_add_u32 s0, s6, s0
	s_addc_u32 s1, s7, s1
.LBB614_17:
	v_mov_b32_e32 v0, 0
	s_waitcnt lgkmcnt(0)
	global_store_b32 v0, v2, s[0:1]
.LBB614_18:
	s_nop 0
	s_sendmsg sendmsg(MSG_DEALLOC_VGPRS)
	s_endpgm
	.section	.rodata,"a",@progbits
	.p2align	6, 0x0
	.amdhsa_kernel _ZL18rocblas_dot_kernelIiLb0ELi512ELi4ELb1EfPKPKffEviT5_lT_lS4_lS5_liPT6_PT4_
		.amdhsa_group_segment_fixed_size 128
		.amdhsa_private_segment_fixed_size 0
		.amdhsa_kernarg_size 352
		.amdhsa_user_sgpr_count 14
		.amdhsa_user_sgpr_dispatch_ptr 0
		.amdhsa_user_sgpr_queue_ptr 0
		.amdhsa_user_sgpr_kernarg_segment_ptr 1
		.amdhsa_user_sgpr_dispatch_id 0
		.amdhsa_user_sgpr_private_segment_size 0
		.amdhsa_wavefront_size32 1
		.amdhsa_uses_dynamic_stack 0
		.amdhsa_enable_private_segment 0
		.amdhsa_system_sgpr_workgroup_id_x 1
		.amdhsa_system_sgpr_workgroup_id_y 0
		.amdhsa_system_sgpr_workgroup_id_z 1
		.amdhsa_system_sgpr_workgroup_info 0
		.amdhsa_system_vgpr_workitem_id 0
		.amdhsa_next_free_vgpr 9
		.amdhsa_next_free_sgpr 25
		.amdhsa_reserve_vcc 1
		.amdhsa_float_round_mode_32 0
		.amdhsa_float_round_mode_16_64 0
		.amdhsa_float_denorm_mode_32 3
		.amdhsa_float_denorm_mode_16_64 3
		.amdhsa_dx10_clamp 1
		.amdhsa_ieee_mode 1
		.amdhsa_fp16_overflow 0
		.amdhsa_workgroup_processor_mode 1
		.amdhsa_memory_ordered 1
		.amdhsa_forward_progress 0
		.amdhsa_shared_vgpr_count 0
		.amdhsa_exception_fp_ieee_invalid_op 0
		.amdhsa_exception_fp_denorm_src 0
		.amdhsa_exception_fp_ieee_div_zero 0
		.amdhsa_exception_fp_ieee_overflow 0
		.amdhsa_exception_fp_ieee_underflow 0
		.amdhsa_exception_fp_ieee_inexact 0
		.amdhsa_exception_int_div_zero 0
	.end_amdhsa_kernel
	.section	.text._ZL18rocblas_dot_kernelIiLb0ELi512ELi4ELb1EfPKPKffEviT5_lT_lS4_lS5_liPT6_PT4_,"axG",@progbits,_ZL18rocblas_dot_kernelIiLb0ELi512ELi4ELb1EfPKPKffEviT5_lT_lS4_lS5_liPT6_PT4_,comdat
.Lfunc_end614:
	.size	_ZL18rocblas_dot_kernelIiLb0ELi512ELi4ELb1EfPKPKffEviT5_lT_lS4_lS5_liPT6_PT4_, .Lfunc_end614-_ZL18rocblas_dot_kernelIiLb0ELi512ELi4ELb1EfPKPKffEviT5_lT_lS4_lS5_liPT6_PT4_
                                        ; -- End function
	.section	.AMDGPU.csdata,"",@progbits
; Kernel info:
; codeLenInByte = 964
; NumSgprs: 27
; NumVgprs: 9
; ScratchSize: 0
; MemoryBound: 0
; FloatMode: 240
; IeeeMode: 1
; LDSByteSize: 128 bytes/workgroup (compile time only)
; SGPRBlocks: 3
; VGPRBlocks: 1
; NumSGPRsForWavesPerEU: 27
; NumVGPRsForWavesPerEU: 9
; Occupancy: 16
; WaveLimiterHint : 0
; COMPUTE_PGM_RSRC2:SCRATCH_EN: 0
; COMPUTE_PGM_RSRC2:USER_SGPR: 14
; COMPUTE_PGM_RSRC2:TRAP_HANDLER: 0
; COMPUTE_PGM_RSRC2:TGID_X_EN: 1
; COMPUTE_PGM_RSRC2:TGID_Y_EN: 0
; COMPUTE_PGM_RSRC2:TGID_Z_EN: 1
; COMPUTE_PGM_RSRC2:TIDIG_COMP_CNT: 0
	.section	.text._ZL24rocblas_dot_kernel_magsqIiLb0ELi512ELi4ELb1EfPKPKffEviT5_lT_liPT6_PT4_,"axG",@progbits,_ZL24rocblas_dot_kernel_magsqIiLb0ELi512ELi4ELb1EfPKPKffEviT5_lT_liPT6_PT4_,comdat
	.globl	_ZL24rocblas_dot_kernel_magsqIiLb0ELi512ELi4ELb1EfPKPKffEviT5_lT_liPT6_PT4_ ; -- Begin function _ZL24rocblas_dot_kernel_magsqIiLb0ELi512ELi4ELb1EfPKPKffEviT5_lT_liPT6_PT4_
	.p2align	8
	.type	_ZL24rocblas_dot_kernel_magsqIiLb0ELi512ELi4ELb1EfPKPKffEviT5_lT_liPT6_PT4_,@function
_ZL24rocblas_dot_kernel_magsqIiLb0ELi512ELi4ELb1EfPKPKffEviT5_lT_liPT6_PT4_: ; @_ZL24rocblas_dot_kernel_magsqIiLb0ELi512ELi4ELb1EfPKPKffEviT5_lT_liPT6_PT4_
; %bb.0:
	s_clause 0x2
	s_load_b32 s11, s[0:1], 0x0
	s_load_b128 s[4:7], s[0:1], 0x30
	s_load_b32 s10, s[0:1], 0x40
	v_lshl_or_b32 v1, s14, 9, v0
	v_mov_b32_e32 v3, 0
	s_mov_b32 s2, s15
	s_mov_b32 s3, 0
	s_mov_b32 s12, exec_lo
	s_waitcnt lgkmcnt(0)
	v_cmpx_gt_i32_e64 s11, v1
	s_cbranch_execz .LBB615_4
; %bb.1:
	s_clause 0x1
	s_load_b128 s[16:19], s[0:1], 0x8
	s_load_b32 s13, s[0:1], 0x18
	s_lshl_b64 s[0:1], s[2:3], 3
	s_mov_b32 s15, s3
	s_waitcnt lgkmcnt(0)
	s_add_u32 s0, s16, s0
	s_addc_u32 s1, s17, s1
	v_mad_i64_i32 v[2:3], null, s13, v1, 0
	s_load_b64 s[8:9], s[0:1], 0x0
	s_lshl_b32 s1, s10, 9
	s_lshl_b64 s[16:17], s[18:19], 2
	v_add_nc_u32_e32 v4, s1, v1
	s_mul_hi_i32 s19, s13, s1
	s_mul_i32 s18, s13, s1
	s_delay_alu instid0(VALU_DEP_2)
	v_lshlrev_b64 v[1:2], 2, v[2:3]
	v_mov_b32_e32 v3, 0
	s_mov_b32 s13, s3
	s_waitcnt lgkmcnt(0)
	s_add_u32 s0, s8, s16
	s_addc_u32 s8, s9, s17
	v_add_co_u32 v1, vcc_lo, s0, v1
	v_add_co_ci_u32_e32 v2, vcc_lo, s8, v2, vcc_lo
	s_lshl_b64 s[8:9], s[18:19], 2
	.p2align	6
.LBB615_2:                              ; =>This Inner Loop Header: Depth=1
	global_load_b32 v5, v[1:2], off
	s_add_i32 s16, s15, 1
	v_cmp_le_i32_e32 vcc_lo, s11, v4
	v_add_co_u32 v1, s0, v1, s8
	s_cmp_gt_u32 s15, 2
	v_add_co_ci_u32_e64 v2, s0, s9, v2, s0
	s_cselect_b32 s0, -1, 0
	v_add_nc_u32_e32 v4, s1, v4
	s_or_b32 s0, s0, vcc_lo
	s_mov_b32 s15, s16
	s_and_b32 s0, exec_lo, s0
	s_delay_alu instid0(SALU_CYCLE_1)
	s_or_b32 s13, s0, s13
	s_waitcnt vmcnt(0)
	v_fmac_f32_e32 v3, v5, v5
	s_and_not1_b32 exec_lo, exec_lo, s13
	s_cbranch_execnz .LBB615_2
; %bb.3:
	s_or_b32 exec_lo, exec_lo, s13
.LBB615_4:
	s_delay_alu instid0(SALU_CYCLE_1) | instskip(SKIP_2) | instid1(VALU_DEP_2)
	s_or_b32 exec_lo, exec_lo, s12
	v_and_b32_e32 v2, 31, v0
	v_cmp_gt_u32_e32 vcc_lo, 32, v0
	v_lshlrev_b32_e32 v1, 2, v2
	s_and_saveexec_b32 s0, vcc_lo
	s_cbranch_execz .LBB615_6
; %bb.5:
	v_mov_b32_e32 v4, 0
	ds_store_b32 v1, v4
.LBB615_6:
	s_or_b32 exec_lo, exec_lo, s0
	v_mbcnt_lo_u32_b32 v6, -1, 0
	s_mov_b32 s1, exec_lo
	s_waitcnt lgkmcnt(0)
	s_barrier
	buffer_gl0_inv
	v_cmp_gt_u32_e64 s0, 16, v6
	s_delay_alu instid0(VALU_DEP_1) | instskip(SKIP_1) | instid1(VALU_DEP_2)
	v_cndmask_b32_e64 v4, 0, 1, s0
	v_cmp_gt_u32_e64 s0, 24, v6
	v_lshlrev_b32_e32 v4, 4, v4
	s_delay_alu instid0(VALU_DEP_1) | instskip(SKIP_4) | instid1(VALU_DEP_2)
	v_add_lshl_u32 v4, v4, v6, 2
	ds_bpermute_b32 v5, v4, v3
	v_cndmask_b32_e64 v4, 0, 1, s0
	v_cmp_gt_u32_e64 s0, 28, v6
	s_waitcnt lgkmcnt(0)
	v_dual_add_f32 v5, v3, v5 :: v_dual_lshlrev_b32 v4, 3, v4
	s_delay_alu instid0(VALU_DEP_2) | instskip(SKIP_1) | instid1(VALU_DEP_3)
	v_cndmask_b32_e64 v3, 0, 1, s0
	v_cmp_gt_u32_e64 s0, 30, v6
	v_add_lshl_u32 v4, v4, v6, 2
	s_delay_alu instid0(VALU_DEP_3)
	v_lshlrev_b32_e32 v3, 2, v3
	ds_bpermute_b32 v7, v4, v5
	v_add_lshl_u32 v3, v3, v6, 2
	s_waitcnt lgkmcnt(0)
	v_add_f32_e32 v7, v5, v7
	v_cndmask_b32_e64 v5, 0, 1, s0
	v_cmp_ne_u32_e64 s0, 31, v6
	ds_bpermute_b32 v8, v3, v7
	v_lshlrev_b32_e32 v5, 1, v5
	s_delay_alu instid0(VALU_DEP_1) | instskip(SKIP_2) | instid1(VALU_DEP_1)
	v_add_lshl_u32 v5, v5, v6, 2
	v_add_co_ci_u32_e64 v6, s0, 0, v6, s0
	s_waitcnt lgkmcnt(0)
	v_dual_add_f32 v7, v7, v8 :: v_dual_lshlrev_b32 v6, 2, v6
	ds_bpermute_b32 v8, v5, v7
	s_waitcnt lgkmcnt(0)
	v_add_f32_e32 v7, v7, v8
	ds_bpermute_b32 v8, v6, v7
	v_cmpx_eq_u32_e32 0, v2
	s_cbranch_execz .LBB615_8
; %bb.7:
	v_lshrrev_b32_e32 v2, 3, v0
	s_waitcnt lgkmcnt(0)
	s_delay_alu instid0(VALU_DEP_1)
	v_dual_add_f32 v7, v7, v8 :: v_dual_and_b32 v2, 60, v2
	ds_store_b32 v2, v7
.LBB615_8:
	s_or_b32 exec_lo, exec_lo, s1
	v_mov_b32_e32 v2, 0
	s_mov_b32 s1, exec_lo
	s_waitcnt lgkmcnt(0)
	s_barrier
	buffer_gl0_inv
	v_cmpx_gt_u32_e32 16, v0
	s_cbranch_execz .LBB615_10
; %bb.9:
	ds_load_b32 v2, v1
.LBB615_10:
	s_or_b32 exec_lo, exec_lo, s1
	s_and_saveexec_b32 s0, vcc_lo
	s_cbranch_execz .LBB615_12
; %bb.11:
	s_waitcnt lgkmcnt(0)
	ds_bpermute_b32 v1, v4, v2
	s_waitcnt lgkmcnt(0)
	v_add_f32_e32 v1, v2, v1
	ds_bpermute_b32 v2, v3, v1
	s_waitcnt lgkmcnt(0)
	v_add_f32_e32 v1, v1, v2
	;; [unrolled: 3-line block ×4, first 2 shown]
.LBB615_12:
	s_or_b32 exec_lo, exec_lo, s0
	s_delay_alu instid0(SALU_CYCLE_1)
	s_mov_b32 s0, exec_lo
	v_cmpx_eq_u32_e32 0, v0
	s_cbranch_execz .LBB615_18
; %bb.13:
	s_cmp_lg_u32 s10, 1
	s_cbranch_scc0 .LBB615_15
; %bb.14:
	s_mul_hi_u32 s1, s10, s2
	s_mul_i32 s0, s10, s2
	s_mov_b32 s15, 0
	s_lshl_b64 s[0:1], s[0:1], 2
	s_delay_alu instid0(SALU_CYCLE_1) | instskip(SKIP_2) | instid1(SALU_CYCLE_1)
	s_add_u32 s4, s4, s0
	s_addc_u32 s5, s5, s1
	s_lshl_b64 s[0:1], s[14:15], 2
	s_add_u32 s0, s4, s0
	s_addc_u32 s1, s5, s1
	s_cbranch_execz .LBB615_16
	s_branch .LBB615_17
.LBB615_15:
                                        ; implicit-def: $sgpr0_sgpr1
.LBB615_16:
	s_lshl_b64 s[0:1], s[2:3], 2
	s_delay_alu instid0(SALU_CYCLE_1)
	s_add_u32 s0, s6, s0
	s_addc_u32 s1, s7, s1
.LBB615_17:
	v_mov_b32_e32 v0, 0
	s_waitcnt lgkmcnt(0)
	global_store_b32 v0, v2, s[0:1]
.LBB615_18:
	s_nop 0
	s_sendmsg sendmsg(MSG_DEALLOC_VGPRS)
	s_endpgm
	.section	.rodata,"a",@progbits
	.p2align	6, 0x0
	.amdhsa_kernel _ZL24rocblas_dot_kernel_magsqIiLb0ELi512ELi4ELb1EfPKPKffEviT5_lT_liPT6_PT4_
		.amdhsa_group_segment_fixed_size 128
		.amdhsa_private_segment_fixed_size 0
		.amdhsa_kernarg_size 320
		.amdhsa_user_sgpr_count 14
		.amdhsa_user_sgpr_dispatch_ptr 0
		.amdhsa_user_sgpr_queue_ptr 0
		.amdhsa_user_sgpr_kernarg_segment_ptr 1
		.amdhsa_user_sgpr_dispatch_id 0
		.amdhsa_user_sgpr_private_segment_size 0
		.amdhsa_wavefront_size32 1
		.amdhsa_uses_dynamic_stack 0
		.amdhsa_enable_private_segment 0
		.amdhsa_system_sgpr_workgroup_id_x 1
		.amdhsa_system_sgpr_workgroup_id_y 0
		.amdhsa_system_sgpr_workgroup_id_z 1
		.amdhsa_system_sgpr_workgroup_info 0
		.amdhsa_system_vgpr_workitem_id 0
		.amdhsa_next_free_vgpr 9
		.amdhsa_next_free_sgpr 20
		.amdhsa_reserve_vcc 1
		.amdhsa_float_round_mode_32 0
		.amdhsa_float_round_mode_16_64 0
		.amdhsa_float_denorm_mode_32 3
		.amdhsa_float_denorm_mode_16_64 3
		.amdhsa_dx10_clamp 1
		.amdhsa_ieee_mode 1
		.amdhsa_fp16_overflow 0
		.amdhsa_workgroup_processor_mode 1
		.amdhsa_memory_ordered 1
		.amdhsa_forward_progress 0
		.amdhsa_shared_vgpr_count 0
		.amdhsa_exception_fp_ieee_invalid_op 0
		.amdhsa_exception_fp_denorm_src 0
		.amdhsa_exception_fp_ieee_div_zero 0
		.amdhsa_exception_fp_ieee_overflow 0
		.amdhsa_exception_fp_ieee_underflow 0
		.amdhsa_exception_fp_ieee_inexact 0
		.amdhsa_exception_int_div_zero 0
	.end_amdhsa_kernel
	.section	.text._ZL24rocblas_dot_kernel_magsqIiLb0ELi512ELi4ELb1EfPKPKffEviT5_lT_liPT6_PT4_,"axG",@progbits,_ZL24rocblas_dot_kernel_magsqIiLb0ELi512ELi4ELb1EfPKPKffEviT5_lT_liPT6_PT4_,comdat
.Lfunc_end615:
	.size	_ZL24rocblas_dot_kernel_magsqIiLb0ELi512ELi4ELb1EfPKPKffEviT5_lT_liPT6_PT4_, .Lfunc_end615-_ZL24rocblas_dot_kernel_magsqIiLb0ELi512ELi4ELb1EfPKPKffEviT5_lT_liPT6_PT4_
                                        ; -- End function
	.section	.AMDGPU.csdata,"",@progbits
; Kernel info:
; codeLenInByte = 852
; NumSgprs: 22
; NumVgprs: 9
; ScratchSize: 0
; MemoryBound: 0
; FloatMode: 240
; IeeeMode: 1
; LDSByteSize: 128 bytes/workgroup (compile time only)
; SGPRBlocks: 2
; VGPRBlocks: 1
; NumSGPRsForWavesPerEU: 22
; NumVGPRsForWavesPerEU: 9
; Occupancy: 16
; WaveLimiterHint : 0
; COMPUTE_PGM_RSRC2:SCRATCH_EN: 0
; COMPUTE_PGM_RSRC2:USER_SGPR: 14
; COMPUTE_PGM_RSRC2:TRAP_HANDLER: 0
; COMPUTE_PGM_RSRC2:TGID_X_EN: 1
; COMPUTE_PGM_RSRC2:TGID_Y_EN: 0
; COMPUTE_PGM_RSRC2:TGID_Z_EN: 1
; COMPUTE_PGM_RSRC2:TIDIG_COMP_CNT: 0
	.section	.text._ZL28rocblas_dot_batched_4_kernelIlLi32ELi4ELb1EffPKPKfEviT5_lT_lS4_lS5_liPT4_,"axG",@progbits,_ZL28rocblas_dot_batched_4_kernelIlLi32ELi4ELb1EffPKPKfEviT5_lT_lS4_lS5_liPT4_,comdat
	.globl	_ZL28rocblas_dot_batched_4_kernelIlLi32ELi4ELb1EffPKPKfEviT5_lT_lS4_lS5_liPT4_ ; -- Begin function _ZL28rocblas_dot_batched_4_kernelIlLi32ELi4ELb1EffPKPKfEviT5_lT_lS4_lS5_liPT4_
	.p2align	8
	.type	_ZL28rocblas_dot_batched_4_kernelIlLi32ELi4ELb1EffPKPKfEviT5_lT_lS4_lS5_liPT4_,@function
_ZL28rocblas_dot_batched_4_kernelIlLi32ELi4ELb1EffPKPKfEviT5_lT_lS4_lS5_liPT4_: ; @_ZL28rocblas_dot_batched_4_kernelIlLi32ELi4ELb1EffPKPKfEviT5_lT_lS4_lS5_liPT4_
; %bb.0:
	s_load_b32 s2, s[0:1], 0x48
	v_bfe_u32 v1, v0, 10, 10
	s_delay_alu instid0(VALU_DEP_1) | instskip(SKIP_1) | instid1(VALU_DEP_1)
	v_lshl_add_u32 v1, s15, 2, v1
	s_waitcnt lgkmcnt(0)
	v_cmp_gt_u32_e32 vcc_lo, s2, v1
	s_and_saveexec_b32 s2, vcc_lo
	s_cbranch_execz .LBB616_7
; %bb.1:
	s_clause 0x1
	s_load_b32 s10, s[0:1], 0x0
	s_load_b64 s[8:9], s[0:1], 0x50
	v_mov_b32_e32 v2, 0
	v_and_b32_e32 v0, 0x3ff, v0
	s_mov_b32 s11, exec_lo
	s_delay_alu instid0(VALU_DEP_2) | instskip(SKIP_1) | instid1(VALU_DEP_2)
	v_mov_b32_e32 v7, v2
	s_waitcnt lgkmcnt(0)
	v_cmpx_gt_i32_e64 s10, v0
	s_cbranch_execz .LBB616_5
; %bb.2:
	s_clause 0x1
	s_load_b64 s[12:13], s[0:1], 0x8
	s_load_b64 s[14:15], s[0:1], 0x28
	v_lshlrev_b64 v[3:4], 3, v[1:2]
	s_clause 0x1
	s_load_b128 s[4:7], s[0:1], 0x10
	s_load_b128 s[0:3], s[0:1], 0x30
	s_waitcnt lgkmcnt(0)
	s_delay_alu instid0(VALU_DEP_1)
	v_add_co_u32 v5, vcc_lo, s12, v3
	v_add_co_ci_u32_e32 v6, vcc_lo, s13, v4, vcc_lo
	v_add_co_u32 v3, vcc_lo, s14, v3
	v_add_co_ci_u32_e32 v4, vcc_lo, s15, v4, vcc_lo
	v_mad_u64_u32 v[10:11], null, s2, v0, 0
	global_load_b64 v[5:6], v[5:6], off
	global_load_b64 v[8:9], v[3:4], off
	v_mad_u64_u32 v[3:4], null, s6, v0, 0
	s_lshl_b64 s[4:5], s[4:5], 2
	s_lshl_b64 s[0:1], s[0:1], 2
	v_mov_b32_e32 v7, v11
	s_waitcnt vmcnt(1)
	s_delay_alu instid0(VALU_DEP_2) | instskip(SKIP_1) | instid1(VALU_DEP_2)
	v_mad_u64_u32 v[11:12], null, s7, v0, v[4:5]
	s_waitcnt vmcnt(0)
	v_mad_u64_u32 v[12:13], null, s3, v0, v[7:8]
	v_mov_b32_e32 v7, 0
	s_lshl_b64 s[2:3], s[2:3], 7
	s_delay_alu instid0(VALU_DEP_2) | instskip(NEXT) | instid1(VALU_DEP_1)
	v_dual_mov_b32 v4, v11 :: v_dual_mov_b32 v11, v12
	v_lshlrev_b64 v[3:4], 2, v[3:4]
	s_delay_alu instid0(VALU_DEP_2) | instskip(NEXT) | instid1(VALU_DEP_2)
	v_lshlrev_b64 v[10:11], 2, v[10:11]
	v_add_co_u32 v3, vcc_lo, v3, s4
	s_delay_alu instid0(VALU_DEP_3) | instskip(NEXT) | instid1(VALU_DEP_3)
	v_add_co_ci_u32_e32 v4, vcc_lo, s5, v4, vcc_lo
	v_add_co_u32 v10, vcc_lo, v10, s0
	s_delay_alu instid0(VALU_DEP_4) | instskip(NEXT) | instid1(VALU_DEP_4)
	v_add_co_ci_u32_e32 v11, vcc_lo, s1, v11, vcc_lo
	v_add_co_u32 v3, vcc_lo, v5, v3
	s_delay_alu instid0(VALU_DEP_4) | instskip(NEXT) | instid1(VALU_DEP_4)
	v_add_co_ci_u32_e32 v4, vcc_lo, v6, v4, vcc_lo
	v_add_co_u32 v5, vcc_lo, v8, v10
	s_delay_alu instid0(VALU_DEP_4)
	v_add_co_ci_u32_e32 v6, vcc_lo, v9, v11, vcc_lo
	v_mov_b32_e32 v8, v0
	s_lshl_b64 s[4:5], s[6:7], 7
	s_mov_b32 s1, 0
	.p2align	6
.LBB616_3:                              ; =>This Inner Loop Header: Depth=1
	global_load_b32 v9, v[3:4], off
	global_load_b32 v10, v[5:6], off
	v_add_nc_u32_e32 v8, 32, v8
	v_add_co_u32 v3, vcc_lo, v3, s4
	v_add_co_ci_u32_e32 v4, vcc_lo, s5, v4, vcc_lo
	v_add_co_u32 v5, vcc_lo, v5, s2
	v_add_co_ci_u32_e32 v6, vcc_lo, s3, v6, vcc_lo
	s_waitcnt vmcnt(0)
	v_fmac_f32_e32 v7, v9, v10
	v_cmp_le_i32_e64 s0, s10, v8
	s_delay_alu instid0(VALU_DEP_1) | instskip(NEXT) | instid1(SALU_CYCLE_1)
	s_or_b32 s1, s0, s1
	s_and_not1_b32 exec_lo, exec_lo, s1
	s_cbranch_execnz .LBB616_3
; %bb.4:
	s_or_b32 exec_lo, exec_lo, s1
.LBB616_5:
	s_delay_alu instid0(SALU_CYCLE_1)
	s_or_b32 exec_lo, exec_lo, s11
	v_mbcnt_lo_u32_b32 v3, -1, 0
	s_barrier
	buffer_gl0_inv
	v_cmp_gt_u32_e32 vcc_lo, 16, v3
	v_cndmask_b32_e64 v4, 0, 1, vcc_lo
	v_cmp_gt_u32_e32 vcc_lo, 24, v3
	s_delay_alu instid0(VALU_DEP_2) | instskip(SKIP_2) | instid1(VALU_DEP_3)
	v_lshlrev_b32_e32 v4, 4, v4
	v_cndmask_b32_e64 v5, 0, 1, vcc_lo
	v_cmp_gt_u32_e32 vcc_lo, 28, v3
	v_add_lshl_u32 v4, v4, v3, 2
	v_cndmask_b32_e64 v6, 0, 1, vcc_lo
	v_cmp_gt_u32_e32 vcc_lo, 30, v3
	ds_bpermute_b32 v4, v4, v7
	v_lshlrev_b32_e32 v5, 3, v5
	v_lshlrev_b32_e32 v6, 2, v6
	s_delay_alu instid0(VALU_DEP_1)
	v_add_lshl_u32 v6, v6, v3, 2
	s_waitcnt lgkmcnt(0)
	v_add_f32_e32 v4, v7, v4
	v_add_lshl_u32 v5, v5, v3, 2
	ds_bpermute_b32 v5, v5, v4
	s_waitcnt lgkmcnt(0)
	v_add_f32_e32 v4, v4, v5
	ds_bpermute_b32 v5, v6, v4
	v_cndmask_b32_e64 v6, 0, 1, vcc_lo
	v_cmp_ne_u32_e32 vcc_lo, 31, v3
	s_delay_alu instid0(VALU_DEP_2) | instskip(NEXT) | instid1(VALU_DEP_1)
	v_lshlrev_b32_e32 v6, 1, v6
	v_add_lshl_u32 v6, v6, v3, 2
	s_waitcnt lgkmcnt(0)
	v_add_f32_e32 v4, v4, v5
	ds_bpermute_b32 v5, v6, v4
	v_add_co_ci_u32_e32 v6, vcc_lo, 0, v3, vcc_lo
	v_cmp_eq_u32_e32 vcc_lo, 0, v0
	s_waitcnt lgkmcnt(0)
	s_delay_alu instid0(VALU_DEP_2)
	v_dual_add_f32 v3, v4, v5 :: v_dual_lshlrev_b32 v4, 2, v6
	ds_bpermute_b32 v4, v4, v3
	s_and_b32 exec_lo, exec_lo, vcc_lo
	s_cbranch_execz .LBB616_7
; %bb.6:
	v_lshlrev_b64 v[0:1], 2, v[1:2]
	s_waitcnt lgkmcnt(0)
	v_add_f32_e32 v2, v3, v4
	s_delay_alu instid0(VALU_DEP_2) | instskip(NEXT) | instid1(VALU_DEP_3)
	v_add_co_u32 v0, vcc_lo, s8, v0
	v_add_co_ci_u32_e32 v1, vcc_lo, s9, v1, vcc_lo
	global_store_b32 v[0:1], v2, off
.LBB616_7:
	s_nop 0
	s_sendmsg sendmsg(MSG_DEALLOC_VGPRS)
	s_endpgm
	.section	.rodata,"a",@progbits
	.p2align	6, 0x0
	.amdhsa_kernel _ZL28rocblas_dot_batched_4_kernelIlLi32ELi4ELb1EffPKPKfEviT5_lT_lS4_lS5_liPT4_
		.amdhsa_group_segment_fixed_size 0
		.amdhsa_private_segment_fixed_size 0
		.amdhsa_kernarg_size 88
		.amdhsa_user_sgpr_count 15
		.amdhsa_user_sgpr_dispatch_ptr 0
		.amdhsa_user_sgpr_queue_ptr 0
		.amdhsa_user_sgpr_kernarg_segment_ptr 1
		.amdhsa_user_sgpr_dispatch_id 0
		.amdhsa_user_sgpr_private_segment_size 0
		.amdhsa_wavefront_size32 1
		.amdhsa_uses_dynamic_stack 0
		.amdhsa_enable_private_segment 0
		.amdhsa_system_sgpr_workgroup_id_x 1
		.amdhsa_system_sgpr_workgroup_id_y 0
		.amdhsa_system_sgpr_workgroup_id_z 0
		.amdhsa_system_sgpr_workgroup_info 0
		.amdhsa_system_vgpr_workitem_id 1
		.amdhsa_next_free_vgpr 14
		.amdhsa_next_free_sgpr 16
		.amdhsa_reserve_vcc 1
		.amdhsa_float_round_mode_32 0
		.amdhsa_float_round_mode_16_64 0
		.amdhsa_float_denorm_mode_32 3
		.amdhsa_float_denorm_mode_16_64 3
		.amdhsa_dx10_clamp 1
		.amdhsa_ieee_mode 1
		.amdhsa_fp16_overflow 0
		.amdhsa_workgroup_processor_mode 1
		.amdhsa_memory_ordered 1
		.amdhsa_forward_progress 0
		.amdhsa_shared_vgpr_count 0
		.amdhsa_exception_fp_ieee_invalid_op 0
		.amdhsa_exception_fp_denorm_src 0
		.amdhsa_exception_fp_ieee_div_zero 0
		.amdhsa_exception_fp_ieee_overflow 0
		.amdhsa_exception_fp_ieee_underflow 0
		.amdhsa_exception_fp_ieee_inexact 0
		.amdhsa_exception_int_div_zero 0
	.end_amdhsa_kernel
	.section	.text._ZL28rocblas_dot_batched_4_kernelIlLi32ELi4ELb1EffPKPKfEviT5_lT_lS4_lS5_liPT4_,"axG",@progbits,_ZL28rocblas_dot_batched_4_kernelIlLi32ELi4ELb1EffPKPKfEviT5_lT_lS4_lS5_liPT4_,comdat
.Lfunc_end616:
	.size	_ZL28rocblas_dot_batched_4_kernelIlLi32ELi4ELb1EffPKPKfEviT5_lT_lS4_lS5_liPT4_, .Lfunc_end616-_ZL28rocblas_dot_batched_4_kernelIlLi32ELi4ELb1EffPKPKfEviT5_lT_lS4_lS5_liPT4_
                                        ; -- End function
	.section	.AMDGPU.csdata,"",@progbits
; Kernel info:
; codeLenInByte = 740
; NumSgprs: 18
; NumVgprs: 14
; ScratchSize: 0
; MemoryBound: 0
; FloatMode: 240
; IeeeMode: 1
; LDSByteSize: 0 bytes/workgroup (compile time only)
; SGPRBlocks: 2
; VGPRBlocks: 1
; NumSGPRsForWavesPerEU: 18
; NumVGPRsForWavesPerEU: 14
; Occupancy: 16
; WaveLimiterHint : 0
; COMPUTE_PGM_RSRC2:SCRATCH_EN: 0
; COMPUTE_PGM_RSRC2:USER_SGPR: 15
; COMPUTE_PGM_RSRC2:TRAP_HANDLER: 0
; COMPUTE_PGM_RSRC2:TGID_X_EN: 1
; COMPUTE_PGM_RSRC2:TGID_Y_EN: 0
; COMPUTE_PGM_RSRC2:TGID_Z_EN: 0
; COMPUTE_PGM_RSRC2:TIDIG_COMP_CNT: 1
	.section	.text._ZL28rocblas_dot_batched_4_kernelIlLi64ELi4ELb1EffPKPKfEviT5_lT_lS4_lS5_liPT4_,"axG",@progbits,_ZL28rocblas_dot_batched_4_kernelIlLi64ELi4ELb1EffPKPKfEviT5_lT_lS4_lS5_liPT4_,comdat
	.globl	_ZL28rocblas_dot_batched_4_kernelIlLi64ELi4ELb1EffPKPKfEviT5_lT_lS4_lS5_liPT4_ ; -- Begin function _ZL28rocblas_dot_batched_4_kernelIlLi64ELi4ELb1EffPKPKfEviT5_lT_lS4_lS5_liPT4_
	.p2align	8
	.type	_ZL28rocblas_dot_batched_4_kernelIlLi64ELi4ELb1EffPKPKfEviT5_lT_lS4_lS5_liPT4_,@function
_ZL28rocblas_dot_batched_4_kernelIlLi64ELi4ELb1EffPKPKfEviT5_lT_lS4_lS5_liPT4_: ; @_ZL28rocblas_dot_batched_4_kernelIlLi64ELi4ELb1EffPKPKfEviT5_lT_lS4_lS5_liPT4_
; %bb.0:
	s_load_b32 s2, s[0:1], 0x48
	v_bfe_u32 v1, v0, 10, 10
	s_delay_alu instid0(VALU_DEP_1) | instskip(SKIP_1) | instid1(VALU_DEP_1)
	v_lshl_add_u32 v1, s15, 2, v1
	s_waitcnt lgkmcnt(0)
	v_cmp_gt_u32_e32 vcc_lo, s2, v1
	s_and_saveexec_b32 s2, vcc_lo
	s_cbranch_execz .LBB617_7
; %bb.1:
	s_clause 0x1
	s_load_b32 s10, s[0:1], 0x0
	s_load_b64 s[8:9], s[0:1], 0x50
	v_mov_b32_e32 v2, 0
	v_and_b32_e32 v0, 0x3ff, v0
	s_mov_b32 s11, exec_lo
	s_delay_alu instid0(VALU_DEP_2) | instskip(SKIP_1) | instid1(VALU_DEP_2)
	v_mov_b32_e32 v7, v2
	s_waitcnt lgkmcnt(0)
	v_cmpx_gt_i32_e64 s10, v0
	s_cbranch_execz .LBB617_5
; %bb.2:
	s_clause 0x1
	s_load_b64 s[12:13], s[0:1], 0x8
	s_load_b64 s[14:15], s[0:1], 0x28
	v_lshlrev_b64 v[3:4], 3, v[1:2]
	s_clause 0x1
	s_load_b128 s[4:7], s[0:1], 0x10
	s_load_b128 s[0:3], s[0:1], 0x30
	s_waitcnt lgkmcnt(0)
	s_delay_alu instid0(VALU_DEP_1)
	v_add_co_u32 v5, vcc_lo, s12, v3
	v_add_co_ci_u32_e32 v6, vcc_lo, s13, v4, vcc_lo
	v_add_co_u32 v3, vcc_lo, s14, v3
	v_add_co_ci_u32_e32 v4, vcc_lo, s15, v4, vcc_lo
	v_mad_u64_u32 v[10:11], null, s2, v0, 0
	global_load_b64 v[5:6], v[5:6], off
	global_load_b64 v[8:9], v[3:4], off
	v_mad_u64_u32 v[3:4], null, s6, v0, 0
	s_lshl_b64 s[4:5], s[4:5], 2
	s_lshl_b64 s[0:1], s[0:1], 2
	v_mov_b32_e32 v7, v11
	s_waitcnt vmcnt(1)
	s_delay_alu instid0(VALU_DEP_2) | instskip(SKIP_1) | instid1(VALU_DEP_2)
	v_mad_u64_u32 v[11:12], null, s7, v0, v[4:5]
	s_waitcnt vmcnt(0)
	v_mad_u64_u32 v[12:13], null, s3, v0, v[7:8]
	v_mov_b32_e32 v7, 0
	s_lshl_b64 s[2:3], s[2:3], 8
	s_delay_alu instid0(VALU_DEP_2) | instskip(NEXT) | instid1(VALU_DEP_1)
	v_dual_mov_b32 v4, v11 :: v_dual_mov_b32 v11, v12
	v_lshlrev_b64 v[3:4], 2, v[3:4]
	s_delay_alu instid0(VALU_DEP_2) | instskip(NEXT) | instid1(VALU_DEP_2)
	v_lshlrev_b64 v[10:11], 2, v[10:11]
	v_add_co_u32 v3, vcc_lo, v3, s4
	s_delay_alu instid0(VALU_DEP_3) | instskip(NEXT) | instid1(VALU_DEP_3)
	v_add_co_ci_u32_e32 v4, vcc_lo, s5, v4, vcc_lo
	v_add_co_u32 v10, vcc_lo, v10, s0
	s_delay_alu instid0(VALU_DEP_4) | instskip(NEXT) | instid1(VALU_DEP_4)
	v_add_co_ci_u32_e32 v11, vcc_lo, s1, v11, vcc_lo
	v_add_co_u32 v3, vcc_lo, v5, v3
	s_delay_alu instid0(VALU_DEP_4) | instskip(NEXT) | instid1(VALU_DEP_4)
	v_add_co_ci_u32_e32 v4, vcc_lo, v6, v4, vcc_lo
	v_add_co_u32 v5, vcc_lo, v8, v10
	s_delay_alu instid0(VALU_DEP_4)
	v_add_co_ci_u32_e32 v6, vcc_lo, v9, v11, vcc_lo
	v_mov_b32_e32 v8, v0
	s_lshl_b64 s[4:5], s[6:7], 8
	s_mov_b32 s1, 0
	.p2align	6
.LBB617_3:                              ; =>This Inner Loop Header: Depth=1
	global_load_b32 v9, v[3:4], off
	global_load_b32 v10, v[5:6], off
	v_add_nc_u32_e32 v8, 64, v8
	v_add_co_u32 v3, vcc_lo, v3, s4
	v_add_co_ci_u32_e32 v4, vcc_lo, s5, v4, vcc_lo
	v_add_co_u32 v5, vcc_lo, v5, s2
	v_add_co_ci_u32_e32 v6, vcc_lo, s3, v6, vcc_lo
	s_waitcnt vmcnt(0)
	v_fmac_f32_e32 v7, v9, v10
	v_cmp_le_i32_e64 s0, s10, v8
	s_delay_alu instid0(VALU_DEP_1) | instskip(NEXT) | instid1(SALU_CYCLE_1)
	s_or_b32 s1, s0, s1
	s_and_not1_b32 exec_lo, exec_lo, s1
	s_cbranch_execnz .LBB617_3
; %bb.4:
	s_or_b32 exec_lo, exec_lo, s1
.LBB617_5:
	s_delay_alu instid0(SALU_CYCLE_1)
	s_or_b32 exec_lo, exec_lo, s11
	v_mbcnt_lo_u32_b32 v3, -1, 0
	s_barrier
	buffer_gl0_inv
	v_lshlrev_b32_e32 v4, 2, v3
	v_cmp_gt_u32_e32 vcc_lo, 16, v3
	ds_bpermute_b32 v4, v4, v7
	v_cndmask_b32_e64 v5, 0, 1, vcc_lo
	v_cmp_gt_u32_e32 vcc_lo, 24, v3
	s_delay_alu instid0(VALU_DEP_2) | instskip(SKIP_2) | instid1(VALU_DEP_2)
	v_lshlrev_b32_e32 v5, 4, v5
	v_cndmask_b32_e64 v6, 0, 1, vcc_lo
	v_cmp_gt_u32_e32 vcc_lo, 28, v3
	v_lshlrev_b32_e32 v6, 3, v6
	s_delay_alu instid0(VALU_DEP_1)
	v_add_lshl_u32 v6, v6, v3, 2
	s_waitcnt lgkmcnt(0)
	v_add_f32_e32 v4, v7, v4
	v_add_lshl_u32 v5, v5, v3, 2
	ds_bpermute_b32 v5, v5, v4
	s_waitcnt lgkmcnt(0)
	v_add_f32_e32 v4, v4, v5
	ds_bpermute_b32 v5, v6, v4
	v_cndmask_b32_e64 v6, 0, 1, vcc_lo
	v_cmp_gt_u32_e32 vcc_lo, 30, v3
	s_delay_alu instid0(VALU_DEP_2) | instskip(NEXT) | instid1(VALU_DEP_1)
	v_lshlrev_b32_e32 v6, 2, v6
	v_add_lshl_u32 v6, v6, v3, 2
	s_waitcnt lgkmcnt(0)
	v_add_f32_e32 v4, v4, v5
	ds_bpermute_b32 v5, v6, v4
	v_cndmask_b32_e64 v6, 0, 1, vcc_lo
	v_cmp_ne_u32_e32 vcc_lo, 31, v3
	s_delay_alu instid0(VALU_DEP_2) | instskip(NEXT) | instid1(VALU_DEP_1)
	v_lshlrev_b32_e32 v6, 1, v6
	v_add_lshl_u32 v6, v6, v3, 2
	s_waitcnt lgkmcnt(0)
	v_add_f32_e32 v4, v4, v5
	ds_bpermute_b32 v5, v6, v4
	v_add_co_ci_u32_e32 v6, vcc_lo, 0, v3, vcc_lo
	v_cmp_eq_u32_e32 vcc_lo, 0, v0
	s_waitcnt lgkmcnt(0)
	s_delay_alu instid0(VALU_DEP_2)
	v_dual_add_f32 v3, v4, v5 :: v_dual_lshlrev_b32 v4, 2, v6
	ds_bpermute_b32 v4, v4, v3
	s_and_b32 exec_lo, exec_lo, vcc_lo
	s_cbranch_execz .LBB617_7
; %bb.6:
	v_lshlrev_b64 v[0:1], 2, v[1:2]
	s_waitcnt lgkmcnt(0)
	v_add_f32_e32 v2, v3, v4
	s_delay_alu instid0(VALU_DEP_2) | instskip(NEXT) | instid1(VALU_DEP_3)
	v_add_co_u32 v0, vcc_lo, s8, v0
	v_add_co_ci_u32_e32 v1, vcc_lo, s9, v1, vcc_lo
	global_store_b32 v[0:1], v2, off
.LBB617_7:
	s_nop 0
	s_sendmsg sendmsg(MSG_DEALLOC_VGPRS)
	s_endpgm
	.section	.rodata,"a",@progbits
	.p2align	6, 0x0
	.amdhsa_kernel _ZL28rocblas_dot_batched_4_kernelIlLi64ELi4ELb1EffPKPKfEviT5_lT_lS4_lS5_liPT4_
		.amdhsa_group_segment_fixed_size 0
		.amdhsa_private_segment_fixed_size 0
		.amdhsa_kernarg_size 88
		.amdhsa_user_sgpr_count 15
		.amdhsa_user_sgpr_dispatch_ptr 0
		.amdhsa_user_sgpr_queue_ptr 0
		.amdhsa_user_sgpr_kernarg_segment_ptr 1
		.amdhsa_user_sgpr_dispatch_id 0
		.amdhsa_user_sgpr_private_segment_size 0
		.amdhsa_wavefront_size32 1
		.amdhsa_uses_dynamic_stack 0
		.amdhsa_enable_private_segment 0
		.amdhsa_system_sgpr_workgroup_id_x 1
		.amdhsa_system_sgpr_workgroup_id_y 0
		.amdhsa_system_sgpr_workgroup_id_z 0
		.amdhsa_system_sgpr_workgroup_info 0
		.amdhsa_system_vgpr_workitem_id 1
		.amdhsa_next_free_vgpr 14
		.amdhsa_next_free_sgpr 16
		.amdhsa_reserve_vcc 1
		.amdhsa_float_round_mode_32 0
		.amdhsa_float_round_mode_16_64 0
		.amdhsa_float_denorm_mode_32 3
		.amdhsa_float_denorm_mode_16_64 3
		.amdhsa_dx10_clamp 1
		.amdhsa_ieee_mode 1
		.amdhsa_fp16_overflow 0
		.amdhsa_workgroup_processor_mode 1
		.amdhsa_memory_ordered 1
		.amdhsa_forward_progress 0
		.amdhsa_shared_vgpr_count 0
		.amdhsa_exception_fp_ieee_invalid_op 0
		.amdhsa_exception_fp_denorm_src 0
		.amdhsa_exception_fp_ieee_div_zero 0
		.amdhsa_exception_fp_ieee_overflow 0
		.amdhsa_exception_fp_ieee_underflow 0
		.amdhsa_exception_fp_ieee_inexact 0
		.amdhsa_exception_int_div_zero 0
	.end_amdhsa_kernel
	.section	.text._ZL28rocblas_dot_batched_4_kernelIlLi64ELi4ELb1EffPKPKfEviT5_lT_lS4_lS5_liPT4_,"axG",@progbits,_ZL28rocblas_dot_batched_4_kernelIlLi64ELi4ELb1EffPKPKfEviT5_lT_lS4_lS5_liPT4_,comdat
.Lfunc_end617:
	.size	_ZL28rocblas_dot_batched_4_kernelIlLi64ELi4ELb1EffPKPKfEviT5_lT_lS4_lS5_liPT4_, .Lfunc_end617-_ZL28rocblas_dot_batched_4_kernelIlLi64ELi4ELb1EffPKPKfEviT5_lT_lS4_lS5_liPT4_
                                        ; -- End function
	.section	.AMDGPU.csdata,"",@progbits
; Kernel info:
; codeLenInByte = 764
; NumSgprs: 18
; NumVgprs: 14
; ScratchSize: 0
; MemoryBound: 0
; FloatMode: 240
; IeeeMode: 1
; LDSByteSize: 0 bytes/workgroup (compile time only)
; SGPRBlocks: 2
; VGPRBlocks: 1
; NumSGPRsForWavesPerEU: 18
; NumVGPRsForWavesPerEU: 14
; Occupancy: 16
; WaveLimiterHint : 0
; COMPUTE_PGM_RSRC2:SCRATCH_EN: 0
; COMPUTE_PGM_RSRC2:USER_SGPR: 15
; COMPUTE_PGM_RSRC2:TRAP_HANDLER: 0
; COMPUTE_PGM_RSRC2:TGID_X_EN: 1
; COMPUTE_PGM_RSRC2:TGID_Y_EN: 0
; COMPUTE_PGM_RSRC2:TGID_Z_EN: 0
; COMPUTE_PGM_RSRC2:TIDIG_COMP_CNT: 1
	.section	.text._ZL18rocblas_dot_kernelIlLb1ELi1024ELi32ELb1EfPKPKffEviT5_lT_lS4_lS5_liPT6_PT4_,"axG",@progbits,_ZL18rocblas_dot_kernelIlLb1ELi1024ELi32ELb1EfPKPKffEviT5_lT_lS4_lS5_liPT6_PT4_,comdat
	.globl	_ZL18rocblas_dot_kernelIlLb1ELi1024ELi32ELb1EfPKPKffEviT5_lT_lS4_lS5_liPT6_PT4_ ; -- Begin function _ZL18rocblas_dot_kernelIlLb1ELi1024ELi32ELb1EfPKPKffEviT5_lT_lS4_lS5_liPT6_PT4_
	.p2align	8
	.type	_ZL18rocblas_dot_kernelIlLb1ELi1024ELi32ELb1EfPKPKffEviT5_lT_lS4_lS5_liPT6_PT4_,@function
_ZL18rocblas_dot_kernelIlLb1ELi1024ELi32ELb1EfPKPKffEviT5_lT_lS4_lS5_liPT6_PT4_: ; @_ZL18rocblas_dot_kernelIlLb1ELi1024ELi32ELb1EfPKPKffEviT5_lT_lS4_lS5_liPT6_PT4_
; %bb.0:
	s_clause 0x1
	s_load_b32 s14, s[0:1], 0x0
	s_load_b64 s[2:3], s[0:1], 0x58
	v_mov_b32_e32 v5, 0
	s_mov_b32 s12, s15
	s_mov_b32 s13, 0
	s_mov_b32 s15, exec_lo
	s_waitcnt lgkmcnt(0)
	v_cmpx_gt_i32_e64 s14, v0
	s_cbranch_execz .LBB618_4
; %bb.1:
	s_clause 0x4
	s_load_b64 s[16:17], s[0:1], 0x8
	s_load_b128 s[8:11], s[0:1], 0x10
	s_load_b128 s[4:7], s[0:1], 0x30
	s_load_b64 s[18:19], s[0:1], 0x28
	s_load_b32 s20, s[0:1], 0x60
	s_lshl_b64 s[0:1], s[12:13], 3
	s_waitcnt lgkmcnt(0)
	s_add_u32 s16, s16, s0
	v_mad_u64_u32 v[1:2], null, s10, v0, 0
	v_mad_u64_u32 v[3:4], null, s6, v0, 0
	s_addc_u32 s17, s17, s1
	s_add_u32 s18, s18, s0
	s_load_b64 s[16:17], s[16:17], 0x0
	s_addc_u32 s19, s19, s1
	s_lshl_b64 s[8:9], s[8:9], 2
	s_load_b64 s[18:19], s[18:19], 0x0
	s_delay_alu instid0(VALU_DEP_1) | instskip(SKIP_2) | instid1(SALU_CYCLE_1)
	v_mad_u64_u32 v[7:8], null, s11, v0, v[2:3]
	v_mov_b32_e32 v5, 0
	s_lshl_b32 s1, s20, 10
	s_mul_hi_u32 s0, s10, s1
	s_mul_i32 s11, s11, s1
	s_mul_i32 s20, s10, s1
	s_delay_alu instid0(VALU_DEP_2) | instskip(SKIP_3) | instid1(VALU_DEP_2)
	v_mov_b32_e32 v2, v7
	v_mad_u64_u32 v[8:9], null, s7, v0, v[4:5]
	s_mul_hi_u32 s23, s6, s1
	s_mul_i32 s22, s6, s1
	v_lshlrev_b64 v[1:2], 2, v[1:2]
	s_mul_i32 s7, s7, s1
	v_or_b32_e32 v6, s1, v0
	s_waitcnt lgkmcnt(0)
	s_add_u32 s16, s16, s8
	v_mov_b32_e32 v4, v8
	s_addc_u32 s17, s17, s9
	s_ashr_i32 s24, s1, 31
	s_lshl_b64 s[8:9], s[4:5], 2
	s_mul_i32 s4, s10, s24
	v_lshlrev_b64 v[3:4], 2, v[3:4]
	s_add_i32 s0, s0, s4
	v_add_co_u32 v1, vcc_lo, s16, v1
	s_add_i32 s21, s0, s11
	s_mul_i32 s0, s6, s24
	s_lshl_b64 s[4:5], s[20:21], 2
	s_add_u32 s6, s18, s8
	v_add_co_ci_u32_e32 v2, vcc_lo, s17, v2, vcc_lo
	s_addc_u32 s8, s19, s9
	v_add_co_u32 v3, vcc_lo, s6, v3
	s_add_i32 s0, s23, s0
	v_add_co_ci_u32_e32 v4, vcc_lo, s8, v4, vcc_lo
	s_add_i32 s23, s0, s7
	s_mov_b32 s8, s13
	s_lshl_b64 s[6:7], s[22:23], 2
	s_mov_b32 s9, s13
	.p2align	6
.LBB618_2:                              ; =>This Inner Loop Header: Depth=1
	global_load_b32 v7, v[3:4], off
	global_load_b32 v8, v[1:2], off
	v_add_co_u32 v1, s0, v1, s4
	s_delay_alu instid0(VALU_DEP_1)
	v_add_co_ci_u32_e64 v2, s0, s5, v2, s0
	s_add_i32 s10, s9, 1
	v_cmp_le_i32_e32 vcc_lo, s14, v6
	v_add_co_u32 v3, s0, v3, s6
	s_cmp_gt_u32 s9, 30
	v_add_co_ci_u32_e64 v4, s0, s7, v4, s0
	s_cselect_b32 s0, -1, 0
	v_add_nc_u32_e32 v6, s1, v6
	s_or_b32 s0, s0, vcc_lo
	s_mov_b32 s9, s10
	s_and_b32 s0, exec_lo, s0
	s_delay_alu instid0(SALU_CYCLE_1)
	s_or_b32 s8, s0, s8
	s_waitcnt vmcnt(0)
	v_fmac_f32_e32 v5, v7, v8
	s_and_not1_b32 exec_lo, exec_lo, s8
	s_cbranch_execnz .LBB618_2
; %bb.3:
	s_or_b32 exec_lo, exec_lo, s8
.LBB618_4:
	s_delay_alu instid0(SALU_CYCLE_1) | instskip(SKIP_2) | instid1(VALU_DEP_2)
	s_or_b32 exec_lo, exec_lo, s15
	v_and_b32_e32 v7, 31, v0
	v_cmp_gt_u32_e32 vcc_lo, 32, v0
	v_lshlrev_b32_e32 v1, 2, v7
	s_and_saveexec_b32 s0, vcc_lo
	s_cbranch_execz .LBB618_6
; %bb.5:
	v_mov_b32_e32 v2, 0
	ds_store_b32 v1, v2
.LBB618_6:
	s_or_b32 exec_lo, exec_lo, s0
	v_mbcnt_lo_u32_b32 v6, -1, 0
	s_mov_b32 s1, exec_lo
	s_waitcnt lgkmcnt(0)
	s_barrier
	buffer_gl0_inv
	v_cmp_gt_u32_e64 s0, 16, v6
	s_delay_alu instid0(VALU_DEP_1) | instskip(SKIP_1) | instid1(VALU_DEP_2)
	v_cndmask_b32_e64 v2, 0, 1, s0
	v_cmp_gt_u32_e64 s0, 24, v6
	v_lshlrev_b32_e32 v2, 4, v2
	s_delay_alu instid0(VALU_DEP_2) | instskip(SKIP_1) | instid1(VALU_DEP_3)
	v_cndmask_b32_e64 v3, 0, 1, s0
	v_cmp_gt_u32_e64 s0, 28, v6
	v_add_lshl_u32 v2, v2, v6, 2
	ds_bpermute_b32 v4, v2, v5
	s_waitcnt lgkmcnt(0)
	v_add_f32_e32 v5, v5, v4
	v_lshlrev_b32_e32 v3, 3, v3
	v_cndmask_b32_e64 v4, 0, 1, s0
	v_cmp_gt_u32_e64 s0, 30, v6
	s_delay_alu instid0(VALU_DEP_3) | instskip(NEXT) | instid1(VALU_DEP_3)
	v_add_lshl_u32 v3, v3, v6, 2
	v_lshlrev_b32_e32 v4, 2, v4
	ds_bpermute_b32 v8, v3, v5
	v_add_lshl_u32 v4, v4, v6, 2
	s_waitcnt lgkmcnt(0)
	v_add_f32_e32 v8, v5, v8
	v_cndmask_b32_e64 v5, 0, 1, s0
	v_cmp_ne_u32_e64 s0, 31, v6
	ds_bpermute_b32 v9, v4, v8
	v_lshlrev_b32_e32 v5, 1, v5
	s_delay_alu instid0(VALU_DEP_1) | instskip(SKIP_1) | instid1(VALU_DEP_1)
	v_add_lshl_u32 v5, v5, v6, 2
	v_add_co_ci_u32_e64 v6, s0, 0, v6, s0
	v_lshlrev_b32_e32 v6, 2, v6
	s_waitcnt lgkmcnt(0)
	v_add_f32_e32 v8, v8, v9
	ds_bpermute_b32 v9, v5, v8
	s_waitcnt lgkmcnt(0)
	v_add_f32_e32 v8, v8, v9
	ds_bpermute_b32 v9, v6, v8
	v_cmpx_eq_u32_e32 0, v7
	s_cbranch_execz .LBB618_8
; %bb.7:
	v_lshrrev_b32_e32 v7, 3, v0
	s_waitcnt lgkmcnt(0)
	s_delay_alu instid0(VALU_DEP_1)
	v_dual_add_f32 v8, v8, v9 :: v_dual_and_b32 v7, 0x7c, v7
	ds_store_b32 v7, v8
.LBB618_8:
	s_or_b32 exec_lo, exec_lo, s1
	v_mov_b32_e32 v7, 0
	s_waitcnt lgkmcnt(0)
	s_barrier
	buffer_gl0_inv
	s_and_saveexec_b32 s0, vcc_lo
	s_cbranch_execz .LBB618_10
; %bb.9:
	ds_load_b32 v7, v1
.LBB618_10:
	s_or_b32 exec_lo, exec_lo, s0
	s_and_saveexec_b32 s0, vcc_lo
	s_cbranch_execz .LBB618_12
; %bb.11:
	s_waitcnt lgkmcnt(0)
	ds_bpermute_b32 v1, v2, v7
	s_waitcnt lgkmcnt(0)
	v_add_f32_e32 v1, v7, v1
	ds_bpermute_b32 v2, v3, v1
	s_waitcnt lgkmcnt(0)
	v_add_f32_e32 v1, v1, v2
	;; [unrolled: 3-line block ×5, first 2 shown]
.LBB618_12:
	s_or_b32 exec_lo, exec_lo, s0
	s_delay_alu instid0(SALU_CYCLE_1)
	s_mov_b32 s0, exec_lo
	v_cmpx_eq_u32_e32 0, v0
	s_cbranch_execz .LBB618_14
; %bb.13:
	s_lshl_b64 s[0:1], s[12:13], 2
	v_mov_b32_e32 v0, 0
	s_add_u32 s0, s2, s0
	s_addc_u32 s1, s3, s1
	s_waitcnt lgkmcnt(0)
	global_store_b32 v0, v7, s[0:1]
.LBB618_14:
	s_nop 0
	s_sendmsg sendmsg(MSG_DEALLOC_VGPRS)
	s_endpgm
	.section	.rodata,"a",@progbits
	.p2align	6, 0x0
	.amdhsa_kernel _ZL18rocblas_dot_kernelIlLb1ELi1024ELi32ELb1EfPKPKffEviT5_lT_lS4_lS5_liPT6_PT4_
		.amdhsa_group_segment_fixed_size 128
		.amdhsa_private_segment_fixed_size 0
		.amdhsa_kernarg_size 352
		.amdhsa_user_sgpr_count 14
		.amdhsa_user_sgpr_dispatch_ptr 0
		.amdhsa_user_sgpr_queue_ptr 0
		.amdhsa_user_sgpr_kernarg_segment_ptr 1
		.amdhsa_user_sgpr_dispatch_id 0
		.amdhsa_user_sgpr_private_segment_size 0
		.amdhsa_wavefront_size32 1
		.amdhsa_uses_dynamic_stack 0
		.amdhsa_enable_private_segment 0
		.amdhsa_system_sgpr_workgroup_id_x 1
		.amdhsa_system_sgpr_workgroup_id_y 0
		.amdhsa_system_sgpr_workgroup_id_z 1
		.amdhsa_system_sgpr_workgroup_info 0
		.amdhsa_system_vgpr_workitem_id 0
		.amdhsa_next_free_vgpr 10
		.amdhsa_next_free_sgpr 25
		.amdhsa_reserve_vcc 1
		.amdhsa_float_round_mode_32 0
		.amdhsa_float_round_mode_16_64 0
		.amdhsa_float_denorm_mode_32 3
		.amdhsa_float_denorm_mode_16_64 3
		.amdhsa_dx10_clamp 1
		.amdhsa_ieee_mode 1
		.amdhsa_fp16_overflow 0
		.amdhsa_workgroup_processor_mode 1
		.amdhsa_memory_ordered 1
		.amdhsa_forward_progress 0
		.amdhsa_shared_vgpr_count 0
		.amdhsa_exception_fp_ieee_invalid_op 0
		.amdhsa_exception_fp_denorm_src 0
		.amdhsa_exception_fp_ieee_div_zero 0
		.amdhsa_exception_fp_ieee_overflow 0
		.amdhsa_exception_fp_ieee_underflow 0
		.amdhsa_exception_fp_ieee_inexact 0
		.amdhsa_exception_int_div_zero 0
	.end_amdhsa_kernel
	.section	.text._ZL18rocblas_dot_kernelIlLb1ELi1024ELi32ELb1EfPKPKffEviT5_lT_lS4_lS5_liPT6_PT4_,"axG",@progbits,_ZL18rocblas_dot_kernelIlLb1ELi1024ELi32ELb1EfPKPKffEviT5_lT_lS4_lS5_liPT6_PT4_,comdat
.Lfunc_end618:
	.size	_ZL18rocblas_dot_kernelIlLb1ELi1024ELi32ELb1EfPKPKffEviT5_lT_lS4_lS5_liPT6_PT4_, .Lfunc_end618-_ZL18rocblas_dot_kernelIlLb1ELi1024ELi32ELb1EfPKPKffEviT5_lT_lS4_lS5_liPT6_PT4_
                                        ; -- End function
	.section	.AMDGPU.csdata,"",@progbits
; Kernel info:
; codeLenInByte = 972
; NumSgprs: 27
; NumVgprs: 10
; ScratchSize: 0
; MemoryBound: 0
; FloatMode: 240
; IeeeMode: 1
; LDSByteSize: 128 bytes/workgroup (compile time only)
; SGPRBlocks: 3
; VGPRBlocks: 1
; NumSGPRsForWavesPerEU: 27
; NumVGPRsForWavesPerEU: 10
; Occupancy: 16
; WaveLimiterHint : 0
; COMPUTE_PGM_RSRC2:SCRATCH_EN: 0
; COMPUTE_PGM_RSRC2:USER_SGPR: 14
; COMPUTE_PGM_RSRC2:TRAP_HANDLER: 0
; COMPUTE_PGM_RSRC2:TGID_X_EN: 1
; COMPUTE_PGM_RSRC2:TGID_Y_EN: 0
; COMPUTE_PGM_RSRC2:TGID_Z_EN: 1
; COMPUTE_PGM_RSRC2:TIDIG_COMP_CNT: 0
	.section	.text._ZL24rocblas_dot_kernel_magsqIlLb1ELi1024ELi32ELb1EfPKPKffEviT5_lT_liPT6_PT4_,"axG",@progbits,_ZL24rocblas_dot_kernel_magsqIlLb1ELi1024ELi32ELb1EfPKPKffEviT5_lT_liPT6_PT4_,comdat
	.globl	_ZL24rocblas_dot_kernel_magsqIlLb1ELi1024ELi32ELb1EfPKPKffEviT5_lT_liPT6_PT4_ ; -- Begin function _ZL24rocblas_dot_kernel_magsqIlLb1ELi1024ELi32ELb1EfPKPKffEviT5_lT_liPT6_PT4_
	.p2align	8
	.type	_ZL24rocblas_dot_kernel_magsqIlLb1ELi1024ELi32ELb1EfPKPKffEviT5_lT_liPT6_PT4_,@function
_ZL24rocblas_dot_kernel_magsqIlLb1ELi1024ELi32ELb1EfPKPKffEviT5_lT_liPT6_PT4_: ; @_ZL24rocblas_dot_kernel_magsqIlLb1ELi1024ELi32ELb1EfPKPKffEviT5_lT_liPT6_PT4_
; %bb.0:
	s_clause 0x1
	s_load_b32 s8, s[0:1], 0x0
	s_load_b64 s[2:3], s[0:1], 0x38
	v_mov_b32_e32 v3, 0
	s_mov_b32 s4, s15
	s_mov_b32 s5, 0
	s_mov_b32 s9, exec_lo
	s_waitcnt lgkmcnt(0)
	v_cmpx_gt_i32_e64 s8, v0
	s_cbranch_execz .LBB619_4
; %bb.1:
	s_clause 0x1
	s_load_b64 s[6:7], s[0:1], 0x8
	s_load_b128 s[12:15], s[0:1], 0x10
	s_lshl_b64 s[10:11], s[4:5], 3
	s_load_b32 s16, s[0:1], 0x40
	s_waitcnt lgkmcnt(0)
	s_add_u32 s0, s6, s10
	v_mad_u64_u32 v[1:2], null, s14, v0, 0
	s_addc_u32 s1, s7, s11
	s_lshl_b64 s[10:11], s[12:13], 2
	s_load_b64 s[6:7], s[0:1], 0x0
	s_lshl_b32 s1, s16, 10
	s_delay_alu instid0(SALU_CYCLE_1) | instskip(NEXT) | instid1(VALU_DEP_1)
	s_mul_hi_u32 s0, s14, s1
	v_mad_u64_u32 v[3:4], null, s15, v0, v[2:3]
	v_or_b32_e32 v4, s1, v0
	s_delay_alu instid0(VALU_DEP_2) | instskip(NEXT) | instid1(VALU_DEP_1)
	v_dual_mov_b32 v2, v3 :: v_dual_mov_b32 v3, 0
	v_lshlrev_b64 v[1:2], 2, v[1:2]
	s_waitcnt lgkmcnt(0)
	s_add_u32 s10, s6, s10
	s_addc_u32 s11, s7, s11
	s_ashr_i32 s6, s1, 31
	s_delay_alu instid0(VALU_DEP_1)
	v_add_co_u32 v1, vcc_lo, s10, v1
	s_mul_i32 s6, s14, s6
	s_mul_i32 s7, s15, s1
	s_add_i32 s0, s0, s6
	v_add_co_ci_u32_e32 v2, vcc_lo, s11, v2, vcc_lo
	s_mul_i32 s6, s14, s1
	s_add_i32 s7, s0, s7
	s_mov_b32 s10, s5
	s_lshl_b64 s[6:7], s[6:7], 2
	s_mov_b32 s11, s5
	.p2align	6
.LBB619_2:                              ; =>This Inner Loop Header: Depth=1
	global_load_b32 v5, v[1:2], off
	s_add_i32 s12, s11, 1
	v_cmp_le_i32_e32 vcc_lo, s8, v4
	v_add_co_u32 v1, s0, v1, s6
	s_cmp_gt_u32 s11, 30
	v_add_co_ci_u32_e64 v2, s0, s7, v2, s0
	s_cselect_b32 s0, -1, 0
	v_add_nc_u32_e32 v4, s1, v4
	s_or_b32 s0, s0, vcc_lo
	s_mov_b32 s11, s12
	s_and_b32 s0, exec_lo, s0
	s_delay_alu instid0(SALU_CYCLE_1)
	s_or_b32 s10, s0, s10
	s_waitcnt vmcnt(0)
	v_fmac_f32_e32 v3, v5, v5
	s_and_not1_b32 exec_lo, exec_lo, s10
	s_cbranch_execnz .LBB619_2
; %bb.3:
	s_or_b32 exec_lo, exec_lo, s10
.LBB619_4:
	s_delay_alu instid0(SALU_CYCLE_1) | instskip(SKIP_2) | instid1(VALU_DEP_2)
	s_or_b32 exec_lo, exec_lo, s9
	v_and_b32_e32 v7, 31, v0
	v_cmp_gt_u32_e32 vcc_lo, 32, v0
	v_lshlrev_b32_e32 v1, 2, v7
	s_and_saveexec_b32 s0, vcc_lo
	s_cbranch_execz .LBB619_6
; %bb.5:
	v_mov_b32_e32 v2, 0
	ds_store_b32 v1, v2
.LBB619_6:
	s_or_b32 exec_lo, exec_lo, s0
	v_mbcnt_lo_u32_b32 v6, -1, 0
	s_mov_b32 s1, exec_lo
	s_waitcnt lgkmcnt(0)
	s_barrier
	buffer_gl0_inv
	v_cmp_gt_u32_e64 s0, 16, v6
	s_delay_alu instid0(VALU_DEP_1) | instskip(SKIP_1) | instid1(VALU_DEP_2)
	v_cndmask_b32_e64 v2, 0, 1, s0
	v_cmp_gt_u32_e64 s0, 24, v6
	v_lshlrev_b32_e32 v2, 4, v2
	s_delay_alu instid0(VALU_DEP_2) | instskip(SKIP_1) | instid1(VALU_DEP_3)
	v_cndmask_b32_e64 v4, 0, 1, s0
	v_cmp_gt_u32_e64 s0, 28, v6
	v_add_lshl_u32 v2, v2, v6, 2
	s_delay_alu instid0(VALU_DEP_3)
	v_lshlrev_b32_e32 v4, 3, v4
	ds_bpermute_b32 v5, v2, v3
	v_add_lshl_u32 v4, v4, v6, 2
	s_waitcnt lgkmcnt(0)
	v_add_f32_e32 v5, v3, v5
	v_cndmask_b32_e64 v3, 0, 1, s0
	v_cmp_gt_u32_e64 s0, 30, v6
	ds_bpermute_b32 v8, v4, v5
	s_waitcnt lgkmcnt(0)
	v_dual_add_f32 v8, v5, v8 :: v_dual_lshlrev_b32 v3, 2, v3
	s_delay_alu instid0(VALU_DEP_1) | instskip(SKIP_4) | instid1(VALU_DEP_1)
	v_add_lshl_u32 v3, v3, v6, 2
	v_cndmask_b32_e64 v5, 0, 1, s0
	v_cmp_ne_u32_e64 s0, 31, v6
	ds_bpermute_b32 v9, v3, v8
	v_lshlrev_b32_e32 v5, 1, v5
	v_add_lshl_u32 v5, v5, v6, 2
	v_add_co_ci_u32_e64 v6, s0, 0, v6, s0
	s_delay_alu instid0(VALU_DEP_1)
	v_lshlrev_b32_e32 v6, 2, v6
	s_waitcnt lgkmcnt(0)
	v_add_f32_e32 v8, v8, v9
	ds_bpermute_b32 v9, v5, v8
	s_waitcnt lgkmcnt(0)
	v_add_f32_e32 v8, v8, v9
	ds_bpermute_b32 v9, v6, v8
	v_cmpx_eq_u32_e32 0, v7
	s_cbranch_execz .LBB619_8
; %bb.7:
	v_lshrrev_b32_e32 v7, 3, v0
	s_waitcnt lgkmcnt(0)
	s_delay_alu instid0(VALU_DEP_1)
	v_dual_add_f32 v8, v8, v9 :: v_dual_and_b32 v7, 0x7c, v7
	ds_store_b32 v7, v8
.LBB619_8:
	s_or_b32 exec_lo, exec_lo, s1
	v_mov_b32_e32 v7, 0
	s_waitcnt lgkmcnt(0)
	s_barrier
	buffer_gl0_inv
	s_and_saveexec_b32 s0, vcc_lo
	s_cbranch_execz .LBB619_10
; %bb.9:
	ds_load_b32 v7, v1
.LBB619_10:
	s_or_b32 exec_lo, exec_lo, s0
	s_and_saveexec_b32 s0, vcc_lo
	s_cbranch_execz .LBB619_12
; %bb.11:
	s_waitcnt lgkmcnt(0)
	ds_bpermute_b32 v1, v2, v7
	s_waitcnt lgkmcnt(0)
	v_add_f32_e32 v1, v7, v1
	ds_bpermute_b32 v2, v4, v1
	s_waitcnt lgkmcnt(0)
	v_add_f32_e32 v1, v1, v2
	;; [unrolled: 3-line block ×5, first 2 shown]
.LBB619_12:
	s_or_b32 exec_lo, exec_lo, s0
	s_delay_alu instid0(SALU_CYCLE_1)
	s_mov_b32 s0, exec_lo
	v_cmpx_eq_u32_e32 0, v0
	s_cbranch_execz .LBB619_14
; %bb.13:
	s_lshl_b64 s[0:1], s[4:5], 2
	v_mov_b32_e32 v0, 0
	s_add_u32 s0, s2, s0
	s_addc_u32 s1, s3, s1
	s_waitcnt lgkmcnt(0)
	global_store_b32 v0, v7, s[0:1]
.LBB619_14:
	s_nop 0
	s_sendmsg sendmsg(MSG_DEALLOC_VGPRS)
	s_endpgm
	.section	.rodata,"a",@progbits
	.p2align	6, 0x0
	.amdhsa_kernel _ZL24rocblas_dot_kernel_magsqIlLb1ELi1024ELi32ELb1EfPKPKffEviT5_lT_liPT6_PT4_
		.amdhsa_group_segment_fixed_size 128
		.amdhsa_private_segment_fixed_size 0
		.amdhsa_kernarg_size 320
		.amdhsa_user_sgpr_count 14
		.amdhsa_user_sgpr_dispatch_ptr 0
		.amdhsa_user_sgpr_queue_ptr 0
		.amdhsa_user_sgpr_kernarg_segment_ptr 1
		.amdhsa_user_sgpr_dispatch_id 0
		.amdhsa_user_sgpr_private_segment_size 0
		.amdhsa_wavefront_size32 1
		.amdhsa_uses_dynamic_stack 0
		.amdhsa_enable_private_segment 0
		.amdhsa_system_sgpr_workgroup_id_x 1
		.amdhsa_system_sgpr_workgroup_id_y 0
		.amdhsa_system_sgpr_workgroup_id_z 1
		.amdhsa_system_sgpr_workgroup_info 0
		.amdhsa_system_vgpr_workitem_id 0
		.amdhsa_next_free_vgpr 10
		.amdhsa_next_free_sgpr 17
		.amdhsa_reserve_vcc 1
		.amdhsa_float_round_mode_32 0
		.amdhsa_float_round_mode_16_64 0
		.amdhsa_float_denorm_mode_32 3
		.amdhsa_float_denorm_mode_16_64 3
		.amdhsa_dx10_clamp 1
		.amdhsa_ieee_mode 1
		.amdhsa_fp16_overflow 0
		.amdhsa_workgroup_processor_mode 1
		.amdhsa_memory_ordered 1
		.amdhsa_forward_progress 0
		.amdhsa_shared_vgpr_count 0
		.amdhsa_exception_fp_ieee_invalid_op 0
		.amdhsa_exception_fp_denorm_src 0
		.amdhsa_exception_fp_ieee_div_zero 0
		.amdhsa_exception_fp_ieee_overflow 0
		.amdhsa_exception_fp_ieee_underflow 0
		.amdhsa_exception_fp_ieee_inexact 0
		.amdhsa_exception_int_div_zero 0
	.end_amdhsa_kernel
	.section	.text._ZL24rocblas_dot_kernel_magsqIlLb1ELi1024ELi32ELb1EfPKPKffEviT5_lT_liPT6_PT4_,"axG",@progbits,_ZL24rocblas_dot_kernel_magsqIlLb1ELi1024ELi32ELb1EfPKPKffEviT5_lT_liPT6_PT4_,comdat
.Lfunc_end619:
	.size	_ZL24rocblas_dot_kernel_magsqIlLb1ELi1024ELi32ELb1EfPKPKffEviT5_lT_liPT6_PT4_, .Lfunc_end619-_ZL24rocblas_dot_kernel_magsqIlLb1ELi1024ELi32ELb1EfPKPKffEviT5_lT_liPT6_PT4_
                                        ; -- End function
	.section	.AMDGPU.csdata,"",@progbits
; Kernel info:
; codeLenInByte = 840
; NumSgprs: 19
; NumVgprs: 10
; ScratchSize: 0
; MemoryBound: 0
; FloatMode: 240
; IeeeMode: 1
; LDSByteSize: 128 bytes/workgroup (compile time only)
; SGPRBlocks: 2
; VGPRBlocks: 1
; NumSGPRsForWavesPerEU: 19
; NumVGPRsForWavesPerEU: 10
; Occupancy: 16
; WaveLimiterHint : 0
; COMPUTE_PGM_RSRC2:SCRATCH_EN: 0
; COMPUTE_PGM_RSRC2:USER_SGPR: 14
; COMPUTE_PGM_RSRC2:TRAP_HANDLER: 0
; COMPUTE_PGM_RSRC2:TGID_X_EN: 1
; COMPUTE_PGM_RSRC2:TGID_Y_EN: 0
; COMPUTE_PGM_RSRC2:TGID_Z_EN: 1
; COMPUTE_PGM_RSRC2:TIDIG_COMP_CNT: 0
	.section	.text._ZL18rocblas_dot_kernelIlLb0ELi512ELi4ELb1EfPKPKffEviT5_lT_lS4_lS5_liPT6_PT4_,"axG",@progbits,_ZL18rocblas_dot_kernelIlLb0ELi512ELi4ELb1EfPKPKffEviT5_lT_lS4_lS5_liPT6_PT4_,comdat
	.globl	_ZL18rocblas_dot_kernelIlLb0ELi512ELi4ELb1EfPKPKffEviT5_lT_lS4_lS5_liPT6_PT4_ ; -- Begin function _ZL18rocblas_dot_kernelIlLb0ELi512ELi4ELb1EfPKPKffEviT5_lT_lS4_lS5_liPT6_PT4_
	.p2align	8
	.type	_ZL18rocblas_dot_kernelIlLb0ELi512ELi4ELb1EfPKPKffEviT5_lT_lS4_lS5_liPT6_PT4_,@function
_ZL18rocblas_dot_kernelIlLb0ELi512ELi4ELb1EfPKPKffEviT5_lT_lS4_lS5_liPT6_PT4_: ; @_ZL18rocblas_dot_kernelIlLb0ELi512ELi4ELb1EfPKPKffEviT5_lT_lS4_lS5_liPT6_PT4_
; %bb.0:
	s_clause 0x2
	s_load_b32 s12, s[0:1], 0x60
	s_load_b32 s13, s[0:1], 0x0
	s_load_b128 s[4:7], s[0:1], 0x50
	v_lshl_or_b32 v1, s14, 9, v0
	v_mov_b32_e32 v5, 0
	s_mov_b32 s2, s15
	s_mov_b32 s3, 0
	s_mov_b32 s15, exec_lo
	s_waitcnt lgkmcnt(0)
	v_cmpx_gt_i32_e64 s13, v1
	s_cbranch_execz .LBB620_4
; %bb.1:
	s_clause 0x3
	s_load_b64 s[20:21], s[0:1], 0x8
	s_load_b128 s[16:19], s[0:1], 0x10
	s_load_b128 s[8:11], s[0:1], 0x30
	s_load_b64 s[0:1], s[0:1], 0x28
	s_lshl_b64 s[22:23], s[2:3], 3
	v_ashrrev_i32_e32 v4, 31, v1
	s_waitcnt lgkmcnt(0)
	s_add_u32 s20, s20, s22
	s_addc_u32 s21, s21, s23
	v_mul_lo_u32 v9, s19, v1
	s_load_b64 s[20:21], s[20:21], 0x0
	s_add_u32 s22, s0, s22
	s_addc_u32 s23, s1, s23
	v_mul_lo_u32 v10, s18, v4
	v_mad_u64_u32 v[2:3], null, s18, v1, 0
	s_load_b64 s[22:23], s[22:23], 0x0
	v_mul_lo_u32 v11, s11, v1
	v_mul_lo_u32 v4, s10, v4
	v_mad_u64_u32 v[7:8], null, s10, v1, 0
	s_lshl_b64 s[16:17], s[16:17], 2
	s_delay_alu instid0(VALU_DEP_4) | instskip(SKIP_1) | instid1(SALU_CYCLE_1)
	v_add3_u32 v3, v3, v10, v9
	s_lshl_b32 s1, s12, 9
	v_dual_mov_b32 v5, 0 :: v_dual_add_nc_u32 v6, s1, v1
	s_mul_hi_u32 s0, s18, s1
	s_delay_alu instid0(VALU_DEP_3)
	v_add3_u32 v8, v8, v4, v11
	v_lshlrev_b64 v[1:2], 2, v[2:3]
	s_mul_i32 s19, s19, s1
	s_waitcnt lgkmcnt(0)
	s_add_u32 s20, s20, s16
	s_addc_u32 s21, s21, s17
	s_ashr_i32 s28, s1, 31
	v_lshlrev_b64 v[3:4], 2, v[7:8]
	s_mul_i32 s16, s18, s28
	s_mul_i32 s24, s18, s1
	s_add_i32 s0, s0, s16
	s_lshl_b64 s[16:17], s[8:9], 2
	s_add_i32 s25, s0, s19
	v_add_co_u32 v1, vcc_lo, s20, v1
	s_lshl_b64 s[8:9], s[24:25], 2
	s_mul_hi_u32 s27, s10, s1
	s_mul_i32 s26, s10, s1
	s_mul_i32 s0, s10, s28
	s_add_u32 s10, s22, s16
	v_add_co_ci_u32_e32 v2, vcc_lo, s21, v2, vcc_lo
	s_addc_u32 s16, s23, s17
	v_add_co_u32 v3, vcc_lo, s10, v3
	s_mul_i32 s11, s11, s1
	s_add_i32 s0, s27, s0
	v_add_co_ci_u32_e32 v4, vcc_lo, s16, v4, vcc_lo
	s_add_i32 s27, s0, s11
	s_mov_b32 s16, s3
	s_lshl_b64 s[10:11], s[26:27], 2
	s_mov_b32 s17, s3
	.p2align	6
.LBB620_2:                              ; =>This Inner Loop Header: Depth=1
	global_load_b32 v7, v[3:4], off
	global_load_b32 v8, v[1:2], off
	v_add_co_u32 v1, s0, v1, s8
	s_delay_alu instid0(VALU_DEP_1)
	v_add_co_ci_u32_e64 v2, s0, s9, v2, s0
	s_add_i32 s18, s17, 1
	v_cmp_le_i32_e32 vcc_lo, s13, v6
	v_add_co_u32 v3, s0, v3, s10
	s_cmp_gt_u32 s17, 2
	v_add_co_ci_u32_e64 v4, s0, s11, v4, s0
	s_cselect_b32 s0, -1, 0
	v_add_nc_u32_e32 v6, s1, v6
	s_or_b32 s0, s0, vcc_lo
	s_mov_b32 s17, s18
	s_and_b32 s0, exec_lo, s0
	s_delay_alu instid0(SALU_CYCLE_1)
	s_or_b32 s16, s0, s16
	s_waitcnt vmcnt(0)
	v_fmac_f32_e32 v5, v7, v8
	s_and_not1_b32 exec_lo, exec_lo, s16
	s_cbranch_execnz .LBB620_2
; %bb.3:
	s_or_b32 exec_lo, exec_lo, s16
.LBB620_4:
	s_delay_alu instid0(SALU_CYCLE_1) | instskip(SKIP_2) | instid1(VALU_DEP_2)
	s_or_b32 exec_lo, exec_lo, s15
	v_and_b32_e32 v2, 31, v0
	v_cmp_gt_u32_e32 vcc_lo, 32, v0
	v_lshlrev_b32_e32 v1, 2, v2
	s_and_saveexec_b32 s0, vcc_lo
	s_cbranch_execz .LBB620_6
; %bb.5:
	v_mov_b32_e32 v3, 0
	ds_store_b32 v1, v3
.LBB620_6:
	s_or_b32 exec_lo, exec_lo, s0
	v_mbcnt_lo_u32_b32 v6, -1, 0
	s_mov_b32 s1, exec_lo
	s_waitcnt lgkmcnt(0)
	s_barrier
	buffer_gl0_inv
	v_cmp_gt_u32_e64 s0, 16, v6
	s_delay_alu instid0(VALU_DEP_1) | instskip(SKIP_1) | instid1(VALU_DEP_2)
	v_cndmask_b32_e64 v3, 0, 1, s0
	v_cmp_gt_u32_e64 s0, 24, v6
	v_lshlrev_b32_e32 v3, 4, v3
	s_delay_alu instid0(VALU_DEP_1) | instskip(SKIP_3) | instid1(VALU_DEP_2)
	v_add_lshl_u32 v3, v3, v6, 2
	ds_bpermute_b32 v4, v3, v5
	v_cndmask_b32_e64 v3, 0, 1, s0
	v_cmp_gt_u32_e64 s0, 28, v6
	v_lshlrev_b32_e32 v3, 3, v3
	s_delay_alu instid0(VALU_DEP_1)
	v_add_lshl_u32 v3, v3, v6, 2
	s_waitcnt lgkmcnt(0)
	v_add_f32_e32 v5, v5, v4
	v_cndmask_b32_e64 v4, 0, 1, s0
	v_cmp_gt_u32_e64 s0, 30, v6
	ds_bpermute_b32 v7, v3, v5
	s_waitcnt lgkmcnt(0)
	v_dual_add_f32 v7, v5, v7 :: v_dual_lshlrev_b32 v4, 2, v4
	s_delay_alu instid0(VALU_DEP_1) | instskip(SKIP_4) | instid1(VALU_DEP_1)
	v_add_lshl_u32 v4, v4, v6, 2
	v_cndmask_b32_e64 v5, 0, 1, s0
	v_cmp_ne_u32_e64 s0, 31, v6
	ds_bpermute_b32 v8, v4, v7
	v_lshlrev_b32_e32 v5, 1, v5
	v_add_lshl_u32 v5, v5, v6, 2
	v_add_co_ci_u32_e64 v6, s0, 0, v6, s0
	s_waitcnt lgkmcnt(0)
	s_delay_alu instid0(VALU_DEP_1)
	v_dual_add_f32 v7, v7, v8 :: v_dual_lshlrev_b32 v6, 2, v6
	ds_bpermute_b32 v8, v5, v7
	s_waitcnt lgkmcnt(0)
	v_add_f32_e32 v7, v7, v8
	ds_bpermute_b32 v8, v6, v7
	v_cmpx_eq_u32_e32 0, v2
	s_cbranch_execz .LBB620_8
; %bb.7:
	v_lshrrev_b32_e32 v2, 3, v0
	s_waitcnt lgkmcnt(0)
	s_delay_alu instid0(VALU_DEP_1)
	v_dual_add_f32 v7, v7, v8 :: v_dual_and_b32 v2, 60, v2
	ds_store_b32 v2, v7
.LBB620_8:
	s_or_b32 exec_lo, exec_lo, s1
	v_mov_b32_e32 v2, 0
	s_mov_b32 s1, exec_lo
	s_waitcnt lgkmcnt(0)
	s_barrier
	buffer_gl0_inv
	v_cmpx_gt_u32_e32 16, v0
	s_cbranch_execz .LBB620_10
; %bb.9:
	ds_load_b32 v2, v1
.LBB620_10:
	s_or_b32 exec_lo, exec_lo, s1
	s_and_saveexec_b32 s0, vcc_lo
	s_cbranch_execz .LBB620_12
; %bb.11:
	s_waitcnt lgkmcnt(0)
	ds_bpermute_b32 v1, v3, v2
	s_waitcnt lgkmcnt(0)
	v_add_f32_e32 v1, v2, v1
	ds_bpermute_b32 v2, v4, v1
	s_waitcnt lgkmcnt(0)
	v_add_f32_e32 v1, v1, v2
	;; [unrolled: 3-line block ×4, first 2 shown]
.LBB620_12:
	s_or_b32 exec_lo, exec_lo, s0
	s_delay_alu instid0(SALU_CYCLE_1)
	s_mov_b32 s0, exec_lo
	v_cmpx_eq_u32_e32 0, v0
	s_cbranch_execz .LBB620_18
; %bb.13:
	s_cmp_lg_u32 s12, 1
	s_cbranch_scc0 .LBB620_15
; %bb.14:
	s_mul_hi_u32 s1, s12, s2
	s_mul_i32 s0, s12, s2
	s_mov_b32 s15, 0
	s_lshl_b64 s[0:1], s[0:1], 2
	s_delay_alu instid0(SALU_CYCLE_1) | instskip(SKIP_2) | instid1(SALU_CYCLE_1)
	s_add_u32 s4, s4, s0
	s_addc_u32 s5, s5, s1
	s_lshl_b64 s[0:1], s[14:15], 2
	s_add_u32 s0, s4, s0
	s_addc_u32 s1, s5, s1
	s_cbranch_execz .LBB620_16
	s_branch .LBB620_17
.LBB620_15:
                                        ; implicit-def: $sgpr0_sgpr1
.LBB620_16:
	s_lshl_b64 s[0:1], s[2:3], 2
	s_delay_alu instid0(SALU_CYCLE_1)
	s_add_u32 s0, s6, s0
	s_addc_u32 s1, s7, s1
.LBB620_17:
	v_mov_b32_e32 v0, 0
	s_waitcnt lgkmcnt(0)
	global_store_b32 v0, v2, s[0:1]
.LBB620_18:
	s_nop 0
	s_sendmsg sendmsg(MSG_DEALLOC_VGPRS)
	s_endpgm
	.section	.rodata,"a",@progbits
	.p2align	6, 0x0
	.amdhsa_kernel _ZL18rocblas_dot_kernelIlLb0ELi512ELi4ELb1EfPKPKffEviT5_lT_lS4_lS5_liPT6_PT4_
		.amdhsa_group_segment_fixed_size 128
		.amdhsa_private_segment_fixed_size 0
		.amdhsa_kernarg_size 352
		.amdhsa_user_sgpr_count 14
		.amdhsa_user_sgpr_dispatch_ptr 0
		.amdhsa_user_sgpr_queue_ptr 0
		.amdhsa_user_sgpr_kernarg_segment_ptr 1
		.amdhsa_user_sgpr_dispatch_id 0
		.amdhsa_user_sgpr_private_segment_size 0
		.amdhsa_wavefront_size32 1
		.amdhsa_uses_dynamic_stack 0
		.amdhsa_enable_private_segment 0
		.amdhsa_system_sgpr_workgroup_id_x 1
		.amdhsa_system_sgpr_workgroup_id_y 0
		.amdhsa_system_sgpr_workgroup_id_z 1
		.amdhsa_system_sgpr_workgroup_info 0
		.amdhsa_system_vgpr_workitem_id 0
		.amdhsa_next_free_vgpr 12
		.amdhsa_next_free_sgpr 29
		.amdhsa_reserve_vcc 1
		.amdhsa_float_round_mode_32 0
		.amdhsa_float_round_mode_16_64 0
		.amdhsa_float_denorm_mode_32 3
		.amdhsa_float_denorm_mode_16_64 3
		.amdhsa_dx10_clamp 1
		.amdhsa_ieee_mode 1
		.amdhsa_fp16_overflow 0
		.amdhsa_workgroup_processor_mode 1
		.amdhsa_memory_ordered 1
		.amdhsa_forward_progress 0
		.amdhsa_shared_vgpr_count 0
		.amdhsa_exception_fp_ieee_invalid_op 0
		.amdhsa_exception_fp_denorm_src 0
		.amdhsa_exception_fp_ieee_div_zero 0
		.amdhsa_exception_fp_ieee_overflow 0
		.amdhsa_exception_fp_ieee_underflow 0
		.amdhsa_exception_fp_ieee_inexact 0
		.amdhsa_exception_int_div_zero 0
	.end_amdhsa_kernel
	.section	.text._ZL18rocblas_dot_kernelIlLb0ELi512ELi4ELb1EfPKPKffEviT5_lT_lS4_lS5_liPT6_PT4_,"axG",@progbits,_ZL18rocblas_dot_kernelIlLb0ELi512ELi4ELb1EfPKPKffEviT5_lT_lS4_lS5_liPT6_PT4_,comdat
.Lfunc_end620:
	.size	_ZL18rocblas_dot_kernelIlLb0ELi512ELi4ELb1EfPKPKffEviT5_lT_lS4_lS5_liPT6_PT4_, .Lfunc_end620-_ZL18rocblas_dot_kernelIlLb0ELi512ELi4ELb1EfPKPKffEviT5_lT_lS4_lS5_liPT6_PT4_
                                        ; -- End function
	.section	.AMDGPU.csdata,"",@progbits
; Kernel info:
; codeLenInByte = 1056
; NumSgprs: 31
; NumVgprs: 12
; ScratchSize: 0
; MemoryBound: 0
; FloatMode: 240
; IeeeMode: 1
; LDSByteSize: 128 bytes/workgroup (compile time only)
; SGPRBlocks: 3
; VGPRBlocks: 1
; NumSGPRsForWavesPerEU: 31
; NumVGPRsForWavesPerEU: 12
; Occupancy: 16
; WaveLimiterHint : 0
; COMPUTE_PGM_RSRC2:SCRATCH_EN: 0
; COMPUTE_PGM_RSRC2:USER_SGPR: 14
; COMPUTE_PGM_RSRC2:TRAP_HANDLER: 0
; COMPUTE_PGM_RSRC2:TGID_X_EN: 1
; COMPUTE_PGM_RSRC2:TGID_Y_EN: 0
; COMPUTE_PGM_RSRC2:TGID_Z_EN: 1
; COMPUTE_PGM_RSRC2:TIDIG_COMP_CNT: 0
	.section	.text._ZL24rocblas_dot_kernel_magsqIlLb0ELi512ELi4ELb1EfPKPKffEviT5_lT_liPT6_PT4_,"axG",@progbits,_ZL24rocblas_dot_kernel_magsqIlLb0ELi512ELi4ELb1EfPKPKffEviT5_lT_liPT6_PT4_,comdat
	.globl	_ZL24rocblas_dot_kernel_magsqIlLb0ELi512ELi4ELb1EfPKPKffEviT5_lT_liPT6_PT4_ ; -- Begin function _ZL24rocblas_dot_kernel_magsqIlLb0ELi512ELi4ELb1EfPKPKffEviT5_lT_liPT6_PT4_
	.p2align	8
	.type	_ZL24rocblas_dot_kernel_magsqIlLb0ELi512ELi4ELb1EfPKPKffEviT5_lT_liPT6_PT4_,@function
_ZL24rocblas_dot_kernel_magsqIlLb0ELi512ELi4ELb1EfPKPKffEviT5_lT_liPT6_PT4_: ; @_ZL24rocblas_dot_kernel_magsqIlLb0ELi512ELi4ELb1EfPKPKffEviT5_lT_liPT6_PT4_
; %bb.0:
	s_clause 0x2
	s_load_b32 s11, s[0:1], 0x0
	s_load_b128 s[4:7], s[0:1], 0x30
	s_load_b32 s10, s[0:1], 0x40
	v_lshl_or_b32 v1, s14, 9, v0
	v_mov_b32_e32 v3, 0
	s_mov_b32 s8, s15
	s_mov_b32 s9, 0
	s_mov_b32 s12, exec_lo
	s_waitcnt lgkmcnt(0)
	v_cmpx_gt_i32_e64 s11, v1
	s_cbranch_execz .LBB621_4
; %bb.1:
	s_clause 0x1
	s_load_b64 s[16:17], s[0:1], 0x8
	s_load_b128 s[0:3], s[0:1], 0x10
	s_lshl_b64 s[18:19], s[8:9], 3
	v_ashrrev_i32_e32 v2, 31, v1
	s_waitcnt lgkmcnt(0)
	s_add_u32 s16, s16, s18
	s_addc_u32 s17, s17, s19
	v_mul_lo_u32 v4, s3, v1
	s_load_b64 s[16:17], s[16:17], 0x0
	v_mul_lo_u32 v2, s2, v2
	v_mad_u64_u32 v[5:6], null, s2, v1, 0
	s_lshl_b32 s13, s10, 9
	v_mov_b32_e32 v3, 0
	s_lshl_b64 s[0:1], s[0:1], 2
	s_mul_hi_u32 s15, s2, s13
	s_mul_i32 s3, s3, s13
	s_delay_alu instid0(VALU_DEP_2) | instskip(SKIP_1) | instid1(VALU_DEP_2)
	v_add3_u32 v6, v6, v2, v4
	v_add_nc_u32_e32 v4, s13, v1
	v_lshlrev_b64 v[1:2], 2, v[5:6]
	s_waitcnt lgkmcnt(0)
	s_add_u32 s0, s16, s0
	s_addc_u32 s1, s17, s1
	s_ashr_i32 s16, s13, 31
	s_delay_alu instid0(VALU_DEP_1)
	v_add_co_u32 v1, vcc_lo, s0, v1
	s_mul_i32 s16, s2, s16
	v_add_co_ci_u32_e32 v2, vcc_lo, s1, v2, vcc_lo
	s_add_i32 s15, s15, s16
	s_mul_i32 s2, s2, s13
	s_add_i32 s3, s15, s3
	s_mov_b32 s1, s9
	s_lshl_b64 s[2:3], s[2:3], 2
	s_mov_b32 s15, s9
	.p2align	6
.LBB621_2:                              ; =>This Inner Loop Header: Depth=1
	global_load_b32 v5, v[1:2], off
	s_add_i32 s16, s15, 1
	v_cmp_le_i32_e32 vcc_lo, s11, v4
	v_add_co_u32 v1, s0, v1, s2
	s_cmp_gt_u32 s15, 2
	v_add_co_ci_u32_e64 v2, s0, s3, v2, s0
	s_cselect_b32 s0, -1, 0
	v_add_nc_u32_e32 v4, s13, v4
	s_or_b32 s0, s0, vcc_lo
	s_mov_b32 s15, s16
	s_and_b32 s0, exec_lo, s0
	s_delay_alu instid0(SALU_CYCLE_1)
	s_or_b32 s1, s0, s1
	s_waitcnt vmcnt(0)
	v_fmac_f32_e32 v3, v5, v5
	s_and_not1_b32 exec_lo, exec_lo, s1
	s_cbranch_execnz .LBB621_2
; %bb.3:
	s_or_b32 exec_lo, exec_lo, s1
.LBB621_4:
	s_delay_alu instid0(SALU_CYCLE_1) | instskip(SKIP_2) | instid1(VALU_DEP_2)
	s_or_b32 exec_lo, exec_lo, s12
	v_and_b32_e32 v2, 31, v0
	v_cmp_gt_u32_e32 vcc_lo, 32, v0
	v_lshlrev_b32_e32 v1, 2, v2
	s_and_saveexec_b32 s0, vcc_lo
	s_cbranch_execz .LBB621_6
; %bb.5:
	v_mov_b32_e32 v4, 0
	ds_store_b32 v1, v4
.LBB621_6:
	s_or_b32 exec_lo, exec_lo, s0
	v_mbcnt_lo_u32_b32 v6, -1, 0
	s_mov_b32 s1, exec_lo
	s_waitcnt lgkmcnt(0)
	s_barrier
	buffer_gl0_inv
	v_cmp_gt_u32_e64 s0, 16, v6
	s_delay_alu instid0(VALU_DEP_1) | instskip(SKIP_1) | instid1(VALU_DEP_2)
	v_cndmask_b32_e64 v4, 0, 1, s0
	v_cmp_gt_u32_e64 s0, 24, v6
	v_lshlrev_b32_e32 v4, 4, v4
	s_delay_alu instid0(VALU_DEP_1) | instskip(SKIP_4) | instid1(VALU_DEP_2)
	v_add_lshl_u32 v4, v4, v6, 2
	ds_bpermute_b32 v5, v4, v3
	v_cndmask_b32_e64 v4, 0, 1, s0
	v_cmp_gt_u32_e64 s0, 28, v6
	s_waitcnt lgkmcnt(0)
	v_dual_add_f32 v5, v3, v5 :: v_dual_lshlrev_b32 v4, 3, v4
	s_delay_alu instid0(VALU_DEP_2) | instskip(SKIP_1) | instid1(VALU_DEP_3)
	v_cndmask_b32_e64 v3, 0, 1, s0
	v_cmp_gt_u32_e64 s0, 30, v6
	v_add_lshl_u32 v4, v4, v6, 2
	s_delay_alu instid0(VALU_DEP_3)
	v_lshlrev_b32_e32 v3, 2, v3
	ds_bpermute_b32 v7, v4, v5
	v_add_lshl_u32 v3, v3, v6, 2
	s_waitcnt lgkmcnt(0)
	v_add_f32_e32 v7, v5, v7
	v_cndmask_b32_e64 v5, 0, 1, s0
	v_cmp_ne_u32_e64 s0, 31, v6
	ds_bpermute_b32 v8, v3, v7
	v_lshlrev_b32_e32 v5, 1, v5
	s_delay_alu instid0(VALU_DEP_1) | instskip(SKIP_2) | instid1(VALU_DEP_1)
	v_add_lshl_u32 v5, v5, v6, 2
	v_add_co_ci_u32_e64 v6, s0, 0, v6, s0
	s_waitcnt lgkmcnt(0)
	v_dual_add_f32 v7, v7, v8 :: v_dual_lshlrev_b32 v6, 2, v6
	ds_bpermute_b32 v8, v5, v7
	s_waitcnt lgkmcnt(0)
	v_add_f32_e32 v7, v7, v8
	ds_bpermute_b32 v8, v6, v7
	v_cmpx_eq_u32_e32 0, v2
	s_cbranch_execz .LBB621_8
; %bb.7:
	v_lshrrev_b32_e32 v2, 3, v0
	s_waitcnt lgkmcnt(0)
	s_delay_alu instid0(VALU_DEP_1)
	v_dual_add_f32 v7, v7, v8 :: v_dual_and_b32 v2, 60, v2
	ds_store_b32 v2, v7
.LBB621_8:
	s_or_b32 exec_lo, exec_lo, s1
	v_mov_b32_e32 v2, 0
	s_mov_b32 s1, exec_lo
	s_waitcnt lgkmcnt(0)
	s_barrier
	buffer_gl0_inv
	v_cmpx_gt_u32_e32 16, v0
	s_cbranch_execz .LBB621_10
; %bb.9:
	ds_load_b32 v2, v1
.LBB621_10:
	s_or_b32 exec_lo, exec_lo, s1
	s_and_saveexec_b32 s0, vcc_lo
	s_cbranch_execz .LBB621_12
; %bb.11:
	s_waitcnt lgkmcnt(0)
	ds_bpermute_b32 v1, v4, v2
	s_waitcnt lgkmcnt(0)
	v_add_f32_e32 v1, v2, v1
	ds_bpermute_b32 v2, v3, v1
	s_waitcnt lgkmcnt(0)
	v_add_f32_e32 v1, v1, v2
	;; [unrolled: 3-line block ×4, first 2 shown]
.LBB621_12:
	s_or_b32 exec_lo, exec_lo, s0
	s_delay_alu instid0(SALU_CYCLE_1)
	s_mov_b32 s0, exec_lo
	v_cmpx_eq_u32_e32 0, v0
	s_cbranch_execz .LBB621_18
; %bb.13:
	s_cmp_lg_u32 s10, 1
	s_cbranch_scc0 .LBB621_15
; %bb.14:
	s_mul_hi_u32 s1, s10, s8
	s_mul_i32 s0, s10, s8
	s_mov_b32 s15, 0
	s_lshl_b64 s[0:1], s[0:1], 2
	s_delay_alu instid0(SALU_CYCLE_1) | instskip(SKIP_2) | instid1(SALU_CYCLE_1)
	s_add_u32 s2, s4, s0
	s_addc_u32 s3, s5, s1
	s_lshl_b64 s[0:1], s[14:15], 2
	s_add_u32 s0, s2, s0
	s_addc_u32 s1, s3, s1
	s_cbranch_execz .LBB621_16
	s_branch .LBB621_17
.LBB621_15:
                                        ; implicit-def: $sgpr0_sgpr1
.LBB621_16:
	s_lshl_b64 s[0:1], s[8:9], 2
	s_delay_alu instid0(SALU_CYCLE_1)
	s_add_u32 s0, s6, s0
	s_addc_u32 s1, s7, s1
.LBB621_17:
	v_mov_b32_e32 v0, 0
	s_waitcnt lgkmcnt(0)
	global_store_b32 v0, v2, s[0:1]
.LBB621_18:
	s_nop 0
	s_sendmsg sendmsg(MSG_DEALLOC_VGPRS)
	s_endpgm
	.section	.rodata,"a",@progbits
	.p2align	6, 0x0
	.amdhsa_kernel _ZL24rocblas_dot_kernel_magsqIlLb0ELi512ELi4ELb1EfPKPKffEviT5_lT_liPT6_PT4_
		.amdhsa_group_segment_fixed_size 128
		.amdhsa_private_segment_fixed_size 0
		.amdhsa_kernarg_size 320
		.amdhsa_user_sgpr_count 14
		.amdhsa_user_sgpr_dispatch_ptr 0
		.amdhsa_user_sgpr_queue_ptr 0
		.amdhsa_user_sgpr_kernarg_segment_ptr 1
		.amdhsa_user_sgpr_dispatch_id 0
		.amdhsa_user_sgpr_private_segment_size 0
		.amdhsa_wavefront_size32 1
		.amdhsa_uses_dynamic_stack 0
		.amdhsa_enable_private_segment 0
		.amdhsa_system_sgpr_workgroup_id_x 1
		.amdhsa_system_sgpr_workgroup_id_y 0
		.amdhsa_system_sgpr_workgroup_id_z 1
		.amdhsa_system_sgpr_workgroup_info 0
		.amdhsa_system_vgpr_workitem_id 0
		.amdhsa_next_free_vgpr 9
		.amdhsa_next_free_sgpr 20
		.amdhsa_reserve_vcc 1
		.amdhsa_float_round_mode_32 0
		.amdhsa_float_round_mode_16_64 0
		.amdhsa_float_denorm_mode_32 3
		.amdhsa_float_denorm_mode_16_64 3
		.amdhsa_dx10_clamp 1
		.amdhsa_ieee_mode 1
		.amdhsa_fp16_overflow 0
		.amdhsa_workgroup_processor_mode 1
		.amdhsa_memory_ordered 1
		.amdhsa_forward_progress 0
		.amdhsa_shared_vgpr_count 0
		.amdhsa_exception_fp_ieee_invalid_op 0
		.amdhsa_exception_fp_denorm_src 0
		.amdhsa_exception_fp_ieee_div_zero 0
		.amdhsa_exception_fp_ieee_overflow 0
		.amdhsa_exception_fp_ieee_underflow 0
		.amdhsa_exception_fp_ieee_inexact 0
		.amdhsa_exception_int_div_zero 0
	.end_amdhsa_kernel
	.section	.text._ZL24rocblas_dot_kernel_magsqIlLb0ELi512ELi4ELb1EfPKPKffEviT5_lT_liPT6_PT4_,"axG",@progbits,_ZL24rocblas_dot_kernel_magsqIlLb0ELi512ELi4ELb1EfPKPKffEviT5_lT_liPT6_PT4_,comdat
.Lfunc_end621:
	.size	_ZL24rocblas_dot_kernel_magsqIlLb0ELi512ELi4ELb1EfPKPKffEviT5_lT_liPT6_PT4_, .Lfunc_end621-_ZL24rocblas_dot_kernel_magsqIlLb0ELi512ELi4ELb1EfPKPKffEviT5_lT_liPT6_PT4_
                                        ; -- End function
	.section	.AMDGPU.csdata,"",@progbits
; Kernel info:
; codeLenInByte = 904
; NumSgprs: 22
; NumVgprs: 9
; ScratchSize: 0
; MemoryBound: 0
; FloatMode: 240
; IeeeMode: 1
; LDSByteSize: 128 bytes/workgroup (compile time only)
; SGPRBlocks: 2
; VGPRBlocks: 1
; NumSGPRsForWavesPerEU: 22
; NumVGPRsForWavesPerEU: 9
; Occupancy: 16
; WaveLimiterHint : 0
; COMPUTE_PGM_RSRC2:SCRATCH_EN: 0
; COMPUTE_PGM_RSRC2:USER_SGPR: 14
; COMPUTE_PGM_RSRC2:TRAP_HANDLER: 0
; COMPUTE_PGM_RSRC2:TGID_X_EN: 1
; COMPUTE_PGM_RSRC2:TGID_Y_EN: 0
; COMPUTE_PGM_RSRC2:TGID_Z_EN: 1
; COMPUTE_PGM_RSRC2:TIDIG_COMP_CNT: 0
	.section	.text._ZL28rocblas_dot_batched_4_kernelIiLi32ELi4ELb1EddPKdEviT5_lT_lS2_lS3_liPT4_,"axG",@progbits,_ZL28rocblas_dot_batched_4_kernelIiLi32ELi4ELb1EddPKdEviT5_lT_lS2_lS3_liPT4_,comdat
	.globl	_ZL28rocblas_dot_batched_4_kernelIiLi32ELi4ELb1EddPKdEviT5_lT_lS2_lS3_liPT4_ ; -- Begin function _ZL28rocblas_dot_batched_4_kernelIiLi32ELi4ELb1EddPKdEviT5_lT_lS2_lS3_liPT4_
	.p2align	8
	.type	_ZL28rocblas_dot_batched_4_kernelIiLi32ELi4ELb1EddPKdEviT5_lT_lS2_lS3_liPT4_,@function
_ZL28rocblas_dot_batched_4_kernelIiLi32ELi4ELb1EddPKdEviT5_lT_lS2_lS3_liPT4_: ; @_ZL28rocblas_dot_batched_4_kernelIiLi32ELi4ELb1EddPKdEviT5_lT_lS2_lS3_liPT4_
; %bb.0:
	s_load_b32 s2, s[0:1], 0x48
	v_bfe_u32 v1, v0, 10, 10
	s_delay_alu instid0(VALU_DEP_1) | instskip(SKIP_1) | instid1(VALU_DEP_1)
	v_lshl_add_u32 v1, s15, 2, v1
	s_waitcnt lgkmcnt(0)
	v_cmp_gt_u32_e32 vcc_lo, s2, v1
	s_and_saveexec_b32 s2, vcc_lo
	s_cbranch_execz .LBB622_7
; %bb.1:
	s_clause 0x1
	s_load_b32 s12, s[0:1], 0x0
	s_load_b64 s[2:3], s[0:1], 0x50
	v_dual_mov_b32 v3, 0 :: v_dual_and_b32 v0, 0x3ff, v0
	v_mov_b32_e32 v2, 0
	v_mov_b32_e32 v4, 0
	s_mov_b32 s13, exec_lo
	s_waitcnt lgkmcnt(0)
	v_cmpx_gt_i32_e64 s12, v0
	s_cbranch_execz .LBB622_5
; %bb.2:
	s_clause 0x5
	s_load_b128 s[4:7], s[0:1], 0x20
	s_load_b64 s[14:15], s[0:1], 0x40
	s_load_b32 s16, s[0:1], 0x18
	s_load_b32 s18, s[0:1], 0x38
	s_load_b128 s[8:11], s[0:1], 0x8
	s_load_b64 s[0:1], s[0:1], 0x30
	s_waitcnt lgkmcnt(0)
	v_mad_u64_u32 v[5:6], null, s4, v1, 0
	v_mad_u64_u32 v[7:8], null, s14, v1, 0
	v_mad_i64_i32 v[9:10], null, s16, v0, 0
	s_ashr_i32 s17, s16, 31
	s_ashr_i32 s19, s18, 31
	s_delay_alu instid0(VALU_DEP_2) | instskip(NEXT) | instid1(VALU_DEP_2)
	v_mad_u64_u32 v[11:12], null, s5, v1, v[6:7]
	v_mad_u64_u32 v[12:13], null, s15, v1, v[8:9]
	v_mov_b32_e32 v3, 0
	v_mad_i64_i32 v[13:14], null, s18, v0, 0
	v_lshlrev_b64 v[9:10], 3, v[9:10]
	v_mov_b32_e32 v6, v11
	s_lshl_b64 s[4:5], s[10:11], 3
	v_mov_b32_e32 v8, v12
	s_add_u32 s8, s8, s4
	s_addc_u32 s9, s9, s5
	v_lshlrev_b64 v[5:6], 3, v[5:6]
	v_lshlrev_b64 v[11:12], 3, v[13:14]
	;; [unrolled: 1-line block ×3, first 2 shown]
	s_lshl_b64 s[0:1], s[0:1], 3
	s_lshl_b64 s[4:5], s[16:17], 8
	s_add_u32 s0, s6, s0
	v_add_co_u32 v5, vcc_lo, v9, v5
	v_add_co_ci_u32_e32 v6, vcc_lo, v10, v6, vcc_lo
	v_add_co_u32 v7, vcc_lo, v11, v7
	v_add_co_ci_u32_e32 v8, vcc_lo, v12, v8, vcc_lo
	s_delay_alu instid0(VALU_DEP_4) | instskip(NEXT) | instid1(VALU_DEP_4)
	v_add_co_u32 v5, vcc_lo, s8, v5
	v_add_co_ci_u32_e32 v6, vcc_lo, s9, v6, vcc_lo
	s_addc_u32 s1, s7, s1
	v_add_co_u32 v7, vcc_lo, s0, v7
	v_dual_mov_b32 v4, 0 :: v_dual_mov_b32 v9, v0
	v_add_co_ci_u32_e32 v8, vcc_lo, s1, v8, vcc_lo
	s_lshl_b64 s[6:7], s[18:19], 8
	s_mov_b32 s1, 0
	.p2align	6
.LBB622_3:                              ; =>This Inner Loop Header: Depth=1
	global_load_b64 v[10:11], v[5:6], off
	global_load_b64 v[12:13], v[7:8], off
	v_add_nc_u32_e32 v9, 32, v9
	v_add_co_u32 v5, vcc_lo, v5, s4
	v_add_co_ci_u32_e32 v6, vcc_lo, s5, v6, vcc_lo
	s_delay_alu instid0(VALU_DEP_3) | instskip(SKIP_1) | instid1(VALU_DEP_1)
	v_cmp_le_i32_e32 vcc_lo, s12, v9
	v_add_co_u32 v7, s0, v7, s6
	v_add_co_ci_u32_e64 v8, s0, s7, v8, s0
	s_or_b32 s1, vcc_lo, s1
	s_waitcnt vmcnt(0)
	v_fma_f64 v[3:4], v[10:11], v[12:13], v[3:4]
	s_and_not1_b32 exec_lo, exec_lo, s1
	s_cbranch_execnz .LBB622_3
; %bb.4:
	s_or_b32 exec_lo, exec_lo, s1
.LBB622_5:
	s_delay_alu instid0(SALU_CYCLE_1)
	s_or_b32 exec_lo, exec_lo, s13
	v_mbcnt_lo_u32_b32 v7, -1, 0
	s_barrier
	buffer_gl0_inv
	v_cmp_gt_u32_e32 vcc_lo, 16, v7
	v_cndmask_b32_e64 v5, 0, 1, vcc_lo
	v_cmp_gt_u32_e32 vcc_lo, 24, v7
	s_delay_alu instid0(VALU_DEP_2) | instskip(NEXT) | instid1(VALU_DEP_1)
	v_lshlrev_b32_e32 v5, 4, v5
	v_add_lshl_u32 v6, v5, v7, 2
	ds_bpermute_b32 v5, v6, v3
	ds_bpermute_b32 v6, v6, v4
	s_waitcnt lgkmcnt(0)
	v_add_f64 v[3:4], v[3:4], v[5:6]
	v_cndmask_b32_e64 v5, 0, 1, vcc_lo
	v_cmp_gt_u32_e32 vcc_lo, 28, v7
	s_delay_alu instid0(VALU_DEP_2) | instskip(NEXT) | instid1(VALU_DEP_1)
	v_lshlrev_b32_e32 v5, 3, v5
	v_add_lshl_u32 v6, v5, v7, 2
	ds_bpermute_b32 v5, v6, v3
	ds_bpermute_b32 v6, v6, v4
	s_waitcnt lgkmcnt(0)
	v_add_f64 v[3:4], v[3:4], v[5:6]
	;; [unrolled: 9-line block ×3, first 2 shown]
	v_cndmask_b32_e64 v5, 0, 1, vcc_lo
	v_cmp_ne_u32_e32 vcc_lo, 31, v7
	s_delay_alu instid0(VALU_DEP_2) | instskip(NEXT) | instid1(VALU_DEP_1)
	v_lshlrev_b32_e32 v5, 1, v5
	v_add_lshl_u32 v6, v5, v7, 2
	ds_bpermute_b32 v5, v6, v3
	ds_bpermute_b32 v6, v6, v4
	s_waitcnt lgkmcnt(0)
	v_add_f64 v[3:4], v[3:4], v[5:6]
	v_add_co_ci_u32_e32 v5, vcc_lo, 0, v7, vcc_lo
	v_cmp_eq_u32_e32 vcc_lo, 0, v0
	s_delay_alu instid0(VALU_DEP_2)
	v_lshlrev_b32_e32 v6, 2, v5
	ds_bpermute_b32 v5, v6, v3
	ds_bpermute_b32 v6, v6, v4
	s_and_b32 exec_lo, exec_lo, vcc_lo
	s_cbranch_execz .LBB622_7
; %bb.6:
	s_waitcnt lgkmcnt(0)
	v_add_f64 v[3:4], v[3:4], v[5:6]
	v_lshlrev_b64 v[0:1], 3, v[1:2]
	s_delay_alu instid0(VALU_DEP_1) | instskip(NEXT) | instid1(VALU_DEP_2)
	v_add_co_u32 v0, vcc_lo, s2, v0
	v_add_co_ci_u32_e32 v1, vcc_lo, s3, v1, vcc_lo
	global_store_b64 v[0:1], v[3:4], off
.LBB622_7:
	s_nop 0
	s_sendmsg sendmsg(MSG_DEALLOC_VGPRS)
	s_endpgm
	.section	.rodata,"a",@progbits
	.p2align	6, 0x0
	.amdhsa_kernel _ZL28rocblas_dot_batched_4_kernelIiLi32ELi4ELb1EddPKdEviT5_lT_lS2_lS3_liPT4_
		.amdhsa_group_segment_fixed_size 0
		.amdhsa_private_segment_fixed_size 0
		.amdhsa_kernarg_size 88
		.amdhsa_user_sgpr_count 15
		.amdhsa_user_sgpr_dispatch_ptr 0
		.amdhsa_user_sgpr_queue_ptr 0
		.amdhsa_user_sgpr_kernarg_segment_ptr 1
		.amdhsa_user_sgpr_dispatch_id 0
		.amdhsa_user_sgpr_private_segment_size 0
		.amdhsa_wavefront_size32 1
		.amdhsa_uses_dynamic_stack 0
		.amdhsa_enable_private_segment 0
		.amdhsa_system_sgpr_workgroup_id_x 1
		.amdhsa_system_sgpr_workgroup_id_y 0
		.amdhsa_system_sgpr_workgroup_id_z 0
		.amdhsa_system_sgpr_workgroup_info 0
		.amdhsa_system_vgpr_workitem_id 1
		.amdhsa_next_free_vgpr 15
		.amdhsa_next_free_sgpr 20
		.amdhsa_reserve_vcc 1
		.amdhsa_float_round_mode_32 0
		.amdhsa_float_round_mode_16_64 0
		.amdhsa_float_denorm_mode_32 3
		.amdhsa_float_denorm_mode_16_64 3
		.amdhsa_dx10_clamp 1
		.amdhsa_ieee_mode 1
		.amdhsa_fp16_overflow 0
		.amdhsa_workgroup_processor_mode 1
		.amdhsa_memory_ordered 1
		.amdhsa_forward_progress 0
		.amdhsa_shared_vgpr_count 0
		.amdhsa_exception_fp_ieee_invalid_op 0
		.amdhsa_exception_fp_denorm_src 0
		.amdhsa_exception_fp_ieee_div_zero 0
		.amdhsa_exception_fp_ieee_overflow 0
		.amdhsa_exception_fp_ieee_underflow 0
		.amdhsa_exception_fp_ieee_inexact 0
		.amdhsa_exception_int_div_zero 0
	.end_amdhsa_kernel
	.section	.text._ZL28rocblas_dot_batched_4_kernelIiLi32ELi4ELb1EddPKdEviT5_lT_lS2_lS3_liPT4_,"axG",@progbits,_ZL28rocblas_dot_batched_4_kernelIiLi32ELi4ELb1EddPKdEviT5_lT_lS2_lS3_liPT4_,comdat
.Lfunc_end622:
	.size	_ZL28rocblas_dot_batched_4_kernelIiLi32ELi4ELb1EddPKdEviT5_lT_lS2_lS3_liPT4_, .Lfunc_end622-_ZL28rocblas_dot_batched_4_kernelIiLi32ELi4ELb1EddPKdEviT5_lT_lS2_lS3_liPT4_
                                        ; -- End function
	.section	.AMDGPU.csdata,"",@progbits
; Kernel info:
; codeLenInByte = 796
; NumSgprs: 22
; NumVgprs: 15
; ScratchSize: 0
; MemoryBound: 0
; FloatMode: 240
; IeeeMode: 1
; LDSByteSize: 0 bytes/workgroup (compile time only)
; SGPRBlocks: 2
; VGPRBlocks: 1
; NumSGPRsForWavesPerEU: 22
; NumVGPRsForWavesPerEU: 15
; Occupancy: 16
; WaveLimiterHint : 0
; COMPUTE_PGM_RSRC2:SCRATCH_EN: 0
; COMPUTE_PGM_RSRC2:USER_SGPR: 15
; COMPUTE_PGM_RSRC2:TRAP_HANDLER: 0
; COMPUTE_PGM_RSRC2:TGID_X_EN: 1
; COMPUTE_PGM_RSRC2:TGID_Y_EN: 0
; COMPUTE_PGM_RSRC2:TGID_Z_EN: 0
; COMPUTE_PGM_RSRC2:TIDIG_COMP_CNT: 1
	.section	.text._ZL28rocblas_dot_batched_4_kernelIiLi64ELi4ELb1EddPKdEviT5_lT_lS2_lS3_liPT4_,"axG",@progbits,_ZL28rocblas_dot_batched_4_kernelIiLi64ELi4ELb1EddPKdEviT5_lT_lS2_lS3_liPT4_,comdat
	.globl	_ZL28rocblas_dot_batched_4_kernelIiLi64ELi4ELb1EddPKdEviT5_lT_lS2_lS3_liPT4_ ; -- Begin function _ZL28rocblas_dot_batched_4_kernelIiLi64ELi4ELb1EddPKdEviT5_lT_lS2_lS3_liPT4_
	.p2align	8
	.type	_ZL28rocblas_dot_batched_4_kernelIiLi64ELi4ELb1EddPKdEviT5_lT_lS2_lS3_liPT4_,@function
_ZL28rocblas_dot_batched_4_kernelIiLi64ELi4ELb1EddPKdEviT5_lT_lS2_lS3_liPT4_: ; @_ZL28rocblas_dot_batched_4_kernelIiLi64ELi4ELb1EddPKdEviT5_lT_lS2_lS3_liPT4_
; %bb.0:
	s_load_b32 s2, s[0:1], 0x48
	v_bfe_u32 v1, v0, 10, 10
	s_delay_alu instid0(VALU_DEP_1) | instskip(SKIP_1) | instid1(VALU_DEP_1)
	v_lshl_add_u32 v1, s15, 2, v1
	s_waitcnt lgkmcnt(0)
	v_cmp_gt_u32_e32 vcc_lo, s2, v1
	s_and_saveexec_b32 s2, vcc_lo
	s_cbranch_execz .LBB623_7
; %bb.1:
	s_clause 0x1
	s_load_b32 s12, s[0:1], 0x0
	s_load_b64 s[2:3], s[0:1], 0x50
	v_dual_mov_b32 v3, 0 :: v_dual_and_b32 v0, 0x3ff, v0
	v_mov_b32_e32 v2, 0
	v_mov_b32_e32 v4, 0
	s_mov_b32 s13, exec_lo
	s_waitcnt lgkmcnt(0)
	v_cmpx_gt_i32_e64 s12, v0
	s_cbranch_execz .LBB623_5
; %bb.2:
	s_clause 0x5
	s_load_b128 s[4:7], s[0:1], 0x20
	s_load_b64 s[14:15], s[0:1], 0x40
	s_load_b32 s16, s[0:1], 0x18
	s_load_b32 s18, s[0:1], 0x38
	s_load_b128 s[8:11], s[0:1], 0x8
	s_load_b64 s[0:1], s[0:1], 0x30
	s_waitcnt lgkmcnt(0)
	v_mad_u64_u32 v[5:6], null, s4, v1, 0
	v_mad_u64_u32 v[7:8], null, s14, v1, 0
	v_mad_i64_i32 v[9:10], null, s16, v0, 0
	s_ashr_i32 s17, s16, 31
	s_ashr_i32 s19, s18, 31
	s_delay_alu instid0(VALU_DEP_2) | instskip(NEXT) | instid1(VALU_DEP_2)
	v_mad_u64_u32 v[11:12], null, s5, v1, v[6:7]
	v_mad_u64_u32 v[12:13], null, s15, v1, v[8:9]
	v_mov_b32_e32 v3, 0
	v_mad_i64_i32 v[13:14], null, s18, v0, 0
	v_lshlrev_b64 v[9:10], 3, v[9:10]
	v_mov_b32_e32 v6, v11
	s_lshl_b64 s[4:5], s[10:11], 3
	v_mov_b32_e32 v8, v12
	s_add_u32 s8, s8, s4
	s_addc_u32 s9, s9, s5
	v_lshlrev_b64 v[5:6], 3, v[5:6]
	v_lshlrev_b64 v[11:12], 3, v[13:14]
	;; [unrolled: 1-line block ×3, first 2 shown]
	s_lshl_b64 s[0:1], s[0:1], 3
	s_lshl_b64 s[4:5], s[16:17], 9
	s_add_u32 s0, s6, s0
	v_add_co_u32 v5, vcc_lo, v9, v5
	v_add_co_ci_u32_e32 v6, vcc_lo, v10, v6, vcc_lo
	v_add_co_u32 v7, vcc_lo, v11, v7
	v_add_co_ci_u32_e32 v8, vcc_lo, v12, v8, vcc_lo
	s_delay_alu instid0(VALU_DEP_4) | instskip(NEXT) | instid1(VALU_DEP_4)
	v_add_co_u32 v5, vcc_lo, s8, v5
	v_add_co_ci_u32_e32 v6, vcc_lo, s9, v6, vcc_lo
	s_addc_u32 s1, s7, s1
	v_add_co_u32 v7, vcc_lo, s0, v7
	v_dual_mov_b32 v4, 0 :: v_dual_mov_b32 v9, v0
	v_add_co_ci_u32_e32 v8, vcc_lo, s1, v8, vcc_lo
	s_lshl_b64 s[6:7], s[18:19], 9
	s_mov_b32 s1, 0
	.p2align	6
.LBB623_3:                              ; =>This Inner Loop Header: Depth=1
	global_load_b64 v[10:11], v[5:6], off
	global_load_b64 v[12:13], v[7:8], off
	v_add_nc_u32_e32 v9, 64, v9
	v_add_co_u32 v5, vcc_lo, v5, s4
	v_add_co_ci_u32_e32 v6, vcc_lo, s5, v6, vcc_lo
	s_delay_alu instid0(VALU_DEP_3) | instskip(SKIP_1) | instid1(VALU_DEP_1)
	v_cmp_le_i32_e32 vcc_lo, s12, v9
	v_add_co_u32 v7, s0, v7, s6
	v_add_co_ci_u32_e64 v8, s0, s7, v8, s0
	s_or_b32 s1, vcc_lo, s1
	s_waitcnt vmcnt(0)
	v_fma_f64 v[3:4], v[10:11], v[12:13], v[3:4]
	s_and_not1_b32 exec_lo, exec_lo, s1
	s_cbranch_execnz .LBB623_3
; %bb.4:
	s_or_b32 exec_lo, exec_lo, s1
.LBB623_5:
	s_delay_alu instid0(SALU_CYCLE_1)
	s_or_b32 exec_lo, exec_lo, s13
	v_mbcnt_lo_u32_b32 v7, -1, 0
	s_barrier
	buffer_gl0_inv
	v_lshlrev_b32_e32 v6, 2, v7
	v_cmp_gt_u32_e32 vcc_lo, 16, v7
	ds_bpermute_b32 v5, v6, v3
	ds_bpermute_b32 v6, v6, v4
	s_waitcnt lgkmcnt(0)
	v_add_f64 v[3:4], v[3:4], v[5:6]
	v_cndmask_b32_e64 v5, 0, 1, vcc_lo
	v_cmp_gt_u32_e32 vcc_lo, 24, v7
	s_delay_alu instid0(VALU_DEP_2) | instskip(NEXT) | instid1(VALU_DEP_1)
	v_lshlrev_b32_e32 v5, 4, v5
	v_add_lshl_u32 v6, v5, v7, 2
	ds_bpermute_b32 v5, v6, v3
	ds_bpermute_b32 v6, v6, v4
	s_waitcnt lgkmcnt(0)
	v_add_f64 v[3:4], v[3:4], v[5:6]
	v_cndmask_b32_e64 v5, 0, 1, vcc_lo
	v_cmp_gt_u32_e32 vcc_lo, 28, v7
	s_delay_alu instid0(VALU_DEP_2) | instskip(NEXT) | instid1(VALU_DEP_1)
	v_lshlrev_b32_e32 v5, 3, v5
	v_add_lshl_u32 v6, v5, v7, 2
	;; [unrolled: 9-line block ×3, first 2 shown]
	ds_bpermute_b32 v5, v6, v3
	ds_bpermute_b32 v6, v6, v4
	s_waitcnt lgkmcnt(0)
	v_add_f64 v[3:4], v[3:4], v[5:6]
	v_cndmask_b32_e64 v5, 0, 1, vcc_lo
	v_cmp_ne_u32_e32 vcc_lo, 31, v7
	s_delay_alu instid0(VALU_DEP_2) | instskip(NEXT) | instid1(VALU_DEP_1)
	v_lshlrev_b32_e32 v5, 1, v5
	v_add_lshl_u32 v6, v5, v7, 2
	ds_bpermute_b32 v5, v6, v3
	ds_bpermute_b32 v6, v6, v4
	s_waitcnt lgkmcnt(0)
	v_add_f64 v[3:4], v[3:4], v[5:6]
	v_add_co_ci_u32_e32 v5, vcc_lo, 0, v7, vcc_lo
	v_cmp_eq_u32_e32 vcc_lo, 0, v0
	s_delay_alu instid0(VALU_DEP_2)
	v_lshlrev_b32_e32 v6, 2, v5
	ds_bpermute_b32 v5, v6, v3
	ds_bpermute_b32 v6, v6, v4
	s_and_b32 exec_lo, exec_lo, vcc_lo
	s_cbranch_execz .LBB623_7
; %bb.6:
	s_waitcnt lgkmcnt(0)
	v_add_f64 v[3:4], v[3:4], v[5:6]
	v_lshlrev_b64 v[0:1], 3, v[1:2]
	s_delay_alu instid0(VALU_DEP_1) | instskip(NEXT) | instid1(VALU_DEP_2)
	v_add_co_u32 v0, vcc_lo, s2, v0
	v_add_co_ci_u32_e32 v1, vcc_lo, s3, v1, vcc_lo
	global_store_b64 v[0:1], v[3:4], off
.LBB623_7:
	s_nop 0
	s_sendmsg sendmsg(MSG_DEALLOC_VGPRS)
	s_endpgm
	.section	.rodata,"a",@progbits
	.p2align	6, 0x0
	.amdhsa_kernel _ZL28rocblas_dot_batched_4_kernelIiLi64ELi4ELb1EddPKdEviT5_lT_lS2_lS3_liPT4_
		.amdhsa_group_segment_fixed_size 0
		.amdhsa_private_segment_fixed_size 0
		.amdhsa_kernarg_size 88
		.amdhsa_user_sgpr_count 15
		.amdhsa_user_sgpr_dispatch_ptr 0
		.amdhsa_user_sgpr_queue_ptr 0
		.amdhsa_user_sgpr_kernarg_segment_ptr 1
		.amdhsa_user_sgpr_dispatch_id 0
		.amdhsa_user_sgpr_private_segment_size 0
		.amdhsa_wavefront_size32 1
		.amdhsa_uses_dynamic_stack 0
		.amdhsa_enable_private_segment 0
		.amdhsa_system_sgpr_workgroup_id_x 1
		.amdhsa_system_sgpr_workgroup_id_y 0
		.amdhsa_system_sgpr_workgroup_id_z 0
		.amdhsa_system_sgpr_workgroup_info 0
		.amdhsa_system_vgpr_workitem_id 1
		.amdhsa_next_free_vgpr 15
		.amdhsa_next_free_sgpr 20
		.amdhsa_reserve_vcc 1
		.amdhsa_float_round_mode_32 0
		.amdhsa_float_round_mode_16_64 0
		.amdhsa_float_denorm_mode_32 3
		.amdhsa_float_denorm_mode_16_64 3
		.amdhsa_dx10_clamp 1
		.amdhsa_ieee_mode 1
		.amdhsa_fp16_overflow 0
		.amdhsa_workgroup_processor_mode 1
		.amdhsa_memory_ordered 1
		.amdhsa_forward_progress 0
		.amdhsa_shared_vgpr_count 0
		.amdhsa_exception_fp_ieee_invalid_op 0
		.amdhsa_exception_fp_denorm_src 0
		.amdhsa_exception_fp_ieee_div_zero 0
		.amdhsa_exception_fp_ieee_overflow 0
		.amdhsa_exception_fp_ieee_underflow 0
		.amdhsa_exception_fp_ieee_inexact 0
		.amdhsa_exception_int_div_zero 0
	.end_amdhsa_kernel
	.section	.text._ZL28rocblas_dot_batched_4_kernelIiLi64ELi4ELb1EddPKdEviT5_lT_lS2_lS3_liPT4_,"axG",@progbits,_ZL28rocblas_dot_batched_4_kernelIiLi64ELi4ELb1EddPKdEviT5_lT_lS2_lS3_liPT4_,comdat
.Lfunc_end623:
	.size	_ZL28rocblas_dot_batched_4_kernelIiLi64ELi4ELb1EddPKdEviT5_lT_lS2_lS3_liPT4_, .Lfunc_end623-_ZL28rocblas_dot_batched_4_kernelIiLi64ELi4ELb1EddPKdEviT5_lT_lS2_lS3_liPT4_
                                        ; -- End function
	.section	.AMDGPU.csdata,"",@progbits
; Kernel info:
; codeLenInByte = 828
; NumSgprs: 22
; NumVgprs: 15
; ScratchSize: 0
; MemoryBound: 0
; FloatMode: 240
; IeeeMode: 1
; LDSByteSize: 0 bytes/workgroup (compile time only)
; SGPRBlocks: 2
; VGPRBlocks: 1
; NumSGPRsForWavesPerEU: 22
; NumVGPRsForWavesPerEU: 15
; Occupancy: 16
; WaveLimiterHint : 0
; COMPUTE_PGM_RSRC2:SCRATCH_EN: 0
; COMPUTE_PGM_RSRC2:USER_SGPR: 15
; COMPUTE_PGM_RSRC2:TRAP_HANDLER: 0
; COMPUTE_PGM_RSRC2:TGID_X_EN: 1
; COMPUTE_PGM_RSRC2:TGID_Y_EN: 0
; COMPUTE_PGM_RSRC2:TGID_Z_EN: 0
; COMPUTE_PGM_RSRC2:TIDIG_COMP_CNT: 1
	.section	.text._ZL26rocblas_dot_kernel_inc1by2ILb1ELi1024ELi32ELb1EdPKddEviT4_llS2_lliPT5_PT3_,"axG",@progbits,_ZL26rocblas_dot_kernel_inc1by2ILb1ELi1024ELi32ELb1EdPKddEviT4_llS2_lliPT5_PT3_,comdat
	.globl	_ZL26rocblas_dot_kernel_inc1by2ILb1ELi1024ELi32ELb1EdPKddEviT4_llS2_lliPT5_PT3_ ; -- Begin function _ZL26rocblas_dot_kernel_inc1by2ILb1ELi1024ELi32ELb1EdPKddEviT4_llS2_lliPT5_PT3_
	.p2align	8
	.type	_ZL26rocblas_dot_kernel_inc1by2ILb1ELi1024ELi32ELb1EdPKddEviT4_llS2_lliPT5_PT3_,@function
_ZL26rocblas_dot_kernel_inc1by2ILb1ELi1024ELi32ELb1EdPKddEviT4_llS2_lliPT5_PT3_: ; @_ZL26rocblas_dot_kernel_inc1by2ILb1ELi1024ELi32ELb1EdPKddEviT4_llS2_lliPT5_PT3_
; %bb.0:
	s_clause 0x1
	s_load_b32 s10, s[0:1], 0x0
	s_load_b64 s[2:3], s[0:1], 0x48
	v_mov_b32_e32 v1, 0
	v_mov_b32_e32 v2, 0
	s_mov_b32 s8, s15
	s_mov_b32 s9, 0
	s_mov_b32 s11, exec_lo
	s_waitcnt lgkmcnt(0)
	v_cmpx_gt_i32_e64 s10, v0
	s_cbranch_execz .LBB624_4
; %bb.1:
	s_clause 0x3
	s_load_b128 s[12:15], s[0:1], 0x28
	s_load_b128 s[4:7], s[0:1], 0x10
	s_load_b64 s[16:17], s[0:1], 0x20
	s_load_b64 s[0:1], s[0:1], 0x8
	v_lshlrev_b32_e32 v5, 3, v0
	v_mov_b32_e32 v1, 0
	v_mov_b32_e32 v2, 0
	v_or_b32_e32 v7, 0x400, v0
	s_waitcnt lgkmcnt(0)
	s_mul_i32 s15, s15, s8
	s_mul_hi_u32 s18, s14, s8
	s_mul_i32 s14, s14, s8
	s_add_i32 s15, s18, s15
	s_lshl_b64 s[12:13], s[12:13], 3
	s_lshl_b64 s[14:15], s[14:15], 3
	s_mul_i32 s7, s7, s8
	s_add_u32 s12, s14, s12
	s_mul_hi_u32 s18, s6, s8
	s_addc_u32 s13, s15, s13
	s_add_u32 s12, s16, s12
	s_mul_i32 s6, s6, s8
	s_addc_u32 s13, s17, s13
	s_add_i32 s7, s18, s7
	s_lshl_b64 s[4:5], s[4:5], 3
	s_lshl_b64 s[6:7], s[6:7], 3
	v_add_co_u32 v3, s12, s12, v5
	s_add_u32 s4, s6, s4
	s_addc_u32 s5, s7, s5
	s_add_u32 s0, s0, s4
	s_addc_u32 s1, s1, s5
	v_add_co_u32 v5, s0, s0, v5
	v_add_co_ci_u32_e64 v4, null, s13, 0, s12
	v_add_co_ci_u32_e64 v6, null, s1, 0, s0
	s_mov_b32 s1, s9
	s_mov_b32 s4, s9
	.p2align	6
.LBB624_2:                              ; =>This Inner Loop Header: Depth=1
	global_load_b64 v[8:9], v[3:4], off
	global_load_b64 v[10:11], v[5:6], off
	s_add_i32 s5, s4, 1
	v_cmp_le_i32_e32 vcc_lo, s10, v7
	v_add_co_u32 v3, s0, 0x2000, v3
	s_cmp_gt_u32 s4, 30
	v_add_co_ci_u32_e64 v4, s0, 0, v4, s0
	s_cselect_b32 s4, -1, 0
	v_add_co_u32 v5, s0, 0x2000, v5
	s_or_b32 s4, s4, vcc_lo
	v_add_nc_u32_e32 v7, 0x400, v7
	v_add_co_ci_u32_e64 v6, vcc_lo, 0, v6, s0
	s_and_b32 s0, exec_lo, s4
	s_mov_b32 s4, s5
	s_or_b32 s1, s0, s1
	s_waitcnt vmcnt(0)
	v_fma_f64 v[1:2], v[8:9], v[10:11], v[1:2]
	s_and_not1_b32 exec_lo, exec_lo, s1
	s_cbranch_execnz .LBB624_2
; %bb.3:
	s_or_b32 exec_lo, exec_lo, s1
.LBB624_4:
	s_delay_alu instid0(SALU_CYCLE_1) | instskip(SKIP_2) | instid1(VALU_DEP_2)
	s_or_b32 exec_lo, exec_lo, s11
	v_and_b32_e32 v11, 31, v0
	v_cmp_gt_u32_e32 vcc_lo, 32, v0
	v_lshlrev_b32_e32 v5, 3, v11
	s_and_saveexec_b32 s0, vcc_lo
	s_cbranch_execz .LBB624_6
; %bb.5:
	v_mov_b32_e32 v3, 0
	s_delay_alu instid0(VALU_DEP_1)
	v_mov_b32_e32 v4, v3
	ds_store_b64 v5, v[3:4]
.LBB624_6:
	s_or_b32 exec_lo, exec_lo, s0
	v_mbcnt_lo_u32_b32 v10, -1, 0
	s_mov_b32 s1, exec_lo
	s_waitcnt lgkmcnt(0)
	s_barrier
	buffer_gl0_inv
	v_cmp_gt_u32_e64 s0, 16, v10
	s_delay_alu instid0(VALU_DEP_1) | instskip(SKIP_1) | instid1(VALU_DEP_2)
	v_cndmask_b32_e64 v3, 0, 1, s0
	v_cmp_gt_u32_e64 s0, 24, v10
	v_lshlrev_b32_e32 v3, 4, v3
	s_delay_alu instid0(VALU_DEP_1)
	v_add_lshl_u32 v6, v3, v10, 2
	ds_bpermute_b32 v3, v6, v1
	ds_bpermute_b32 v4, v6, v2
	s_waitcnt lgkmcnt(0)
	v_add_f64 v[1:2], v[1:2], v[3:4]
	v_cndmask_b32_e64 v3, 0, 1, s0
	v_cmp_gt_u32_e64 s0, 28, v10
	s_delay_alu instid0(VALU_DEP_2) | instskip(NEXT) | instid1(VALU_DEP_1)
	v_lshlrev_b32_e32 v3, 3, v3
	v_add_lshl_u32 v7, v3, v10, 2
	ds_bpermute_b32 v3, v7, v1
	ds_bpermute_b32 v4, v7, v2
	s_waitcnt lgkmcnt(0)
	v_add_f64 v[1:2], v[1:2], v[3:4]
	v_cndmask_b32_e64 v3, 0, 1, s0
	v_cmp_gt_u32_e64 s0, 30, v10
	s_delay_alu instid0(VALU_DEP_2) | instskip(NEXT) | instid1(VALU_DEP_1)
	v_lshlrev_b32_e32 v3, 2, v3
	v_add_lshl_u32 v8, v3, v10, 2
	ds_bpermute_b32 v3, v8, v1
	ds_bpermute_b32 v4, v8, v2
	s_waitcnt lgkmcnt(0)
	v_add_f64 v[1:2], v[1:2], v[3:4]
	v_cndmask_b32_e64 v3, 0, 1, s0
	v_cmp_ne_u32_e64 s0, 31, v10
	s_delay_alu instid0(VALU_DEP_2) | instskip(NEXT) | instid1(VALU_DEP_1)
	v_lshlrev_b32_e32 v3, 1, v3
	v_add_lshl_u32 v9, v3, v10, 2
	ds_bpermute_b32 v3, v9, v1
	ds_bpermute_b32 v4, v9, v2
	s_waitcnt lgkmcnt(0)
	v_add_f64 v[1:2], v[1:2], v[3:4]
	v_add_co_ci_u32_e64 v3, s0, 0, v10, s0
	s_delay_alu instid0(VALU_DEP_1)
	v_lshlrev_b32_e32 v10, 2, v3
	ds_bpermute_b32 v3, v10, v1
	ds_bpermute_b32 v4, v10, v2
	v_cmpx_eq_u32_e32 0, v11
	s_cbranch_execz .LBB624_8
; %bb.7:
	s_waitcnt lgkmcnt(0)
	v_add_f64 v[1:2], v[1:2], v[3:4]
	v_lshrrev_b32_e32 v3, 2, v0
	s_delay_alu instid0(VALU_DEP_1)
	v_and_b32_e32 v3, 0xf8, v3
	ds_store_b64 v3, v[1:2]
.LBB624_8:
	s_or_b32 exec_lo, exec_lo, s1
	v_mov_b32_e32 v1, 0
	v_mov_b32_e32 v2, 0
	s_waitcnt lgkmcnt(0)
	s_barrier
	buffer_gl0_inv
	s_and_saveexec_b32 s0, vcc_lo
	s_cbranch_execz .LBB624_10
; %bb.9:
	ds_load_b64 v[1:2], v5
.LBB624_10:
	s_or_b32 exec_lo, exec_lo, s0
	s_and_saveexec_b32 s0, vcc_lo
	s_cbranch_execz .LBB624_12
; %bb.11:
	s_waitcnt lgkmcnt(0)
	ds_bpermute_b32 v3, v6, v1
	ds_bpermute_b32 v4, v6, v2
	s_waitcnt lgkmcnt(0)
	v_add_f64 v[1:2], v[1:2], v[3:4]
	ds_bpermute_b32 v3, v7, v1
	ds_bpermute_b32 v4, v7, v2
	s_waitcnt lgkmcnt(0)
	v_add_f64 v[1:2], v[1:2], v[3:4]
	;; [unrolled: 4-line block ×5, first 2 shown]
.LBB624_12:
	s_or_b32 exec_lo, exec_lo, s0
	s_delay_alu instid0(SALU_CYCLE_1)
	s_mov_b32 s0, exec_lo
	v_cmpx_eq_u32_e32 0, v0
	s_cbranch_execz .LBB624_14
; %bb.13:
	s_lshl_b64 s[0:1], s[8:9], 3
	v_mov_b32_e32 v0, 0
	s_add_u32 s0, s2, s0
	s_addc_u32 s1, s3, s1
	s_waitcnt lgkmcnt(0)
	global_store_b64 v0, v[1:2], s[0:1]
.LBB624_14:
	s_nop 0
	s_sendmsg sendmsg(MSG_DEALLOC_VGPRS)
	s_endpgm
	.section	.rodata,"a",@progbits
	.p2align	6, 0x0
	.amdhsa_kernel _ZL26rocblas_dot_kernel_inc1by2ILb1ELi1024ELi32ELb1EdPKddEviT4_llS2_lliPT5_PT3_
		.amdhsa_group_segment_fixed_size 256
		.amdhsa_private_segment_fixed_size 0
		.amdhsa_kernarg_size 80
		.amdhsa_user_sgpr_count 14
		.amdhsa_user_sgpr_dispatch_ptr 0
		.amdhsa_user_sgpr_queue_ptr 0
		.amdhsa_user_sgpr_kernarg_segment_ptr 1
		.amdhsa_user_sgpr_dispatch_id 0
		.amdhsa_user_sgpr_private_segment_size 0
		.amdhsa_wavefront_size32 1
		.amdhsa_uses_dynamic_stack 0
		.amdhsa_enable_private_segment 0
		.amdhsa_system_sgpr_workgroup_id_x 1
		.amdhsa_system_sgpr_workgroup_id_y 0
		.amdhsa_system_sgpr_workgroup_id_z 1
		.amdhsa_system_sgpr_workgroup_info 0
		.amdhsa_system_vgpr_workitem_id 0
		.amdhsa_next_free_vgpr 12
		.amdhsa_next_free_sgpr 19
		.amdhsa_reserve_vcc 1
		.amdhsa_float_round_mode_32 0
		.amdhsa_float_round_mode_16_64 0
		.amdhsa_float_denorm_mode_32 3
		.amdhsa_float_denorm_mode_16_64 3
		.amdhsa_dx10_clamp 1
		.amdhsa_ieee_mode 1
		.amdhsa_fp16_overflow 0
		.amdhsa_workgroup_processor_mode 1
		.amdhsa_memory_ordered 1
		.amdhsa_forward_progress 0
		.amdhsa_shared_vgpr_count 0
		.amdhsa_exception_fp_ieee_invalid_op 0
		.amdhsa_exception_fp_denorm_src 0
		.amdhsa_exception_fp_ieee_div_zero 0
		.amdhsa_exception_fp_ieee_overflow 0
		.amdhsa_exception_fp_ieee_underflow 0
		.amdhsa_exception_fp_ieee_inexact 0
		.amdhsa_exception_int_div_zero 0
	.end_amdhsa_kernel
	.section	.text._ZL26rocblas_dot_kernel_inc1by2ILb1ELi1024ELi32ELb1EdPKddEviT4_llS2_lliPT5_PT3_,"axG",@progbits,_ZL26rocblas_dot_kernel_inc1by2ILb1ELi1024ELi32ELb1EdPKddEviT4_llS2_lliPT5_PT3_,comdat
.Lfunc_end624:
	.size	_ZL26rocblas_dot_kernel_inc1by2ILb1ELi1024ELi32ELb1EdPKddEviT4_llS2_lliPT5_PT3_, .Lfunc_end624-_ZL26rocblas_dot_kernel_inc1by2ILb1ELi1024ELi32ELb1EdPKddEviT4_llS2_lliPT5_PT3_
                                        ; -- End function
	.section	.AMDGPU.csdata,"",@progbits
; Kernel info:
; codeLenInByte = 1024
; NumSgprs: 21
; NumVgprs: 12
; ScratchSize: 0
; MemoryBound: 0
; FloatMode: 240
; IeeeMode: 1
; LDSByteSize: 256 bytes/workgroup (compile time only)
; SGPRBlocks: 2
; VGPRBlocks: 1
; NumSGPRsForWavesPerEU: 21
; NumVGPRsForWavesPerEU: 12
; Occupancy: 16
; WaveLimiterHint : 0
; COMPUTE_PGM_RSRC2:SCRATCH_EN: 0
; COMPUTE_PGM_RSRC2:USER_SGPR: 14
; COMPUTE_PGM_RSRC2:TRAP_HANDLER: 0
; COMPUTE_PGM_RSRC2:TGID_X_EN: 1
; COMPUTE_PGM_RSRC2:TGID_Y_EN: 0
; COMPUTE_PGM_RSRC2:TGID_Z_EN: 1
; COMPUTE_PGM_RSRC2:TIDIG_COMP_CNT: 0
	.section	.text._ZL18rocblas_dot_kernelIiLb1ELi1024ELi32ELb1EdPKddEviT5_lT_lS2_lS3_liPT6_PT4_,"axG",@progbits,_ZL18rocblas_dot_kernelIiLb1ELi1024ELi32ELb1EdPKddEviT5_lT_lS2_lS3_liPT6_PT4_,comdat
	.globl	_ZL18rocblas_dot_kernelIiLb1ELi1024ELi32ELb1EdPKddEviT5_lT_lS2_lS3_liPT6_PT4_ ; -- Begin function _ZL18rocblas_dot_kernelIiLb1ELi1024ELi32ELb1EdPKddEviT5_lT_lS2_lS3_liPT6_PT4_
	.p2align	8
	.type	_ZL18rocblas_dot_kernelIiLb1ELi1024ELi32ELb1EdPKddEviT5_lT_lS2_lS3_liPT6_PT4_,@function
_ZL18rocblas_dot_kernelIiLb1ELi1024ELi32ELb1EdPKddEviT5_lT_lS2_lS3_liPT6_PT4_: ; @_ZL18rocblas_dot_kernelIiLb1ELi1024ELi32ELb1EdPKddEviT5_lT_lS2_lS3_liPT6_PT4_
; %bb.0:
	s_clause 0x1
	s_load_b32 s10, s[0:1], 0x0
	s_load_b64 s[2:3], s[0:1], 0x58
	v_mov_b32_e32 v1, 0
	v_mov_b32_e32 v2, 0
	s_mov_b32 s8, s15
	s_mov_b32 s9, 0
	s_mov_b32 s11, exec_lo
	s_waitcnt lgkmcnt(0)
	v_cmpx_gt_i32_e64 s10, v0
	s_cbranch_execz .LBB625_4
; %bb.1:
	s_clause 0x6
	s_load_b32 s20, s[0:1], 0x60
	s_load_b128 s[4:7], s[0:1], 0x20
	s_load_b32 s22, s[0:1], 0x18
	s_load_b128 s[12:15], s[0:1], 0x8
	s_load_b64 s[16:17], s[0:1], 0x40
	s_load_b32 s23, s[0:1], 0x38
	s_load_b64 s[18:19], s[0:1], 0x30
	s_waitcnt lgkmcnt(0)
	s_lshl_b32 s1, s20, 10
	s_mul_i32 s0, s5, s8
	v_mad_i64_i32 v[1:2], null, s22, v0, 0
	s_mul_hi_u32 s5, s4, s8
	s_mul_i32 s4, s4, s8
	v_mad_i64_i32 v[5:6], null, s23, v0, 0
	s_add_i32 s5, s5, s0
	s_lshl_b64 s[14:15], s[14:15], 3
	s_delay_alu instid0(VALU_DEP_2)
	v_lshlrev_b64 v[1:2], 3, v[1:2]
	s_lshl_b64 s[4:5], s[4:5], 3
	s_add_u32 s0, s12, s14
	s_addc_u32 s12, s13, s15
	s_mul_i32 s17, s17, s8
	s_mul_hi_u32 s24, s16, s8
	s_add_u32 s0, s0, s4
	s_mul_i32 s16, s16, s8
	s_mul_hi_i32 s21, s22, s1
	s_mul_i32 s20, s22, s1
	s_addc_u32 s12, s12, s5
	s_add_i32 s17, s24, s17
	v_add_co_u32 v3, vcc_lo, s0, v1
	s_lshl_b64 s[14:15], s[18:19], 3
	v_lshlrev_b64 v[5:6], 3, v[5:6]
	s_lshl_b64 s[4:5], s[20:21], 3
	v_add_co_ci_u32_e32 v4, vcc_lo, s12, v2, vcc_lo
	s_lshl_b64 s[12:13], s[16:17], 3
	s_add_u32 s0, s6, s14
	s_addc_u32 s6, s7, s15
	s_add_u32 s0, s0, s12
	s_addc_u32 s12, s6, s13
	v_add_co_u32 v5, vcc_lo, s0, v5
	v_mov_b32_e32 v1, 0
	v_or_b32_e32 v7, s1, v0
	v_mov_b32_e32 v2, 0
	v_add_co_ci_u32_e32 v6, vcc_lo, s12, v6, vcc_lo
	s_mul_hi_i32 s7, s23, s1
	s_mul_i32 s6, s23, s1
	s_mov_b32 s12, s9
	s_lshl_b64 s[6:7], s[6:7], 3
	s_mov_b32 s13, s9
	.p2align	6
.LBB625_2:                              ; =>This Inner Loop Header: Depth=1
	global_load_b64 v[8:9], v[5:6], off
	global_load_b64 v[10:11], v[3:4], off
	s_add_i32 s14, s13, 1
	v_cmp_le_i32_e32 vcc_lo, s10, v7
	v_add_co_u32 v3, s0, v3, s4
	s_cmp_gt_u32 s13, 30
	v_add_co_ci_u32_e64 v4, s0, s5, v4, s0
	s_cselect_b32 s13, -1, 0
	v_add_co_u32 v5, s0, v5, s6
	s_or_b32 s13, s13, vcc_lo
	v_add_nc_u32_e32 v7, s1, v7
	v_add_co_ci_u32_e64 v6, vcc_lo, s7, v6, s0
	s_and_b32 s0, exec_lo, s13
	s_mov_b32 s13, s14
	s_or_b32 s12, s0, s12
	s_waitcnt vmcnt(0)
	v_fma_f64 v[1:2], v[8:9], v[10:11], v[1:2]
	s_and_not1_b32 exec_lo, exec_lo, s12
	s_cbranch_execnz .LBB625_2
; %bb.3:
	s_or_b32 exec_lo, exec_lo, s12
.LBB625_4:
	s_delay_alu instid0(SALU_CYCLE_1) | instskip(SKIP_2) | instid1(VALU_DEP_2)
	s_or_b32 exec_lo, exec_lo, s11
	v_and_b32_e32 v11, 31, v0
	v_cmp_gt_u32_e32 vcc_lo, 32, v0
	v_lshlrev_b32_e32 v5, 3, v11
	s_and_saveexec_b32 s0, vcc_lo
	s_cbranch_execz .LBB625_6
; %bb.5:
	v_mov_b32_e32 v3, 0
	s_delay_alu instid0(VALU_DEP_1)
	v_mov_b32_e32 v4, v3
	ds_store_b64 v5, v[3:4]
.LBB625_6:
	s_or_b32 exec_lo, exec_lo, s0
	v_mbcnt_lo_u32_b32 v10, -1, 0
	s_mov_b32 s1, exec_lo
	s_waitcnt lgkmcnt(0)
	s_barrier
	buffer_gl0_inv
	v_cmp_gt_u32_e64 s0, 16, v10
	s_delay_alu instid0(VALU_DEP_1) | instskip(SKIP_1) | instid1(VALU_DEP_2)
	v_cndmask_b32_e64 v3, 0, 1, s0
	v_cmp_gt_u32_e64 s0, 24, v10
	v_lshlrev_b32_e32 v3, 4, v3
	s_delay_alu instid0(VALU_DEP_1)
	v_add_lshl_u32 v6, v3, v10, 2
	ds_bpermute_b32 v3, v6, v1
	ds_bpermute_b32 v4, v6, v2
	s_waitcnt lgkmcnt(0)
	v_add_f64 v[1:2], v[1:2], v[3:4]
	v_cndmask_b32_e64 v3, 0, 1, s0
	v_cmp_gt_u32_e64 s0, 28, v10
	s_delay_alu instid0(VALU_DEP_2) | instskip(NEXT) | instid1(VALU_DEP_1)
	v_lshlrev_b32_e32 v3, 3, v3
	v_add_lshl_u32 v7, v3, v10, 2
	ds_bpermute_b32 v3, v7, v1
	ds_bpermute_b32 v4, v7, v2
	s_waitcnt lgkmcnt(0)
	v_add_f64 v[1:2], v[1:2], v[3:4]
	v_cndmask_b32_e64 v3, 0, 1, s0
	v_cmp_gt_u32_e64 s0, 30, v10
	s_delay_alu instid0(VALU_DEP_2) | instskip(NEXT) | instid1(VALU_DEP_1)
	v_lshlrev_b32_e32 v3, 2, v3
	v_add_lshl_u32 v8, v3, v10, 2
	ds_bpermute_b32 v3, v8, v1
	ds_bpermute_b32 v4, v8, v2
	s_waitcnt lgkmcnt(0)
	v_add_f64 v[1:2], v[1:2], v[3:4]
	v_cndmask_b32_e64 v3, 0, 1, s0
	v_cmp_ne_u32_e64 s0, 31, v10
	s_delay_alu instid0(VALU_DEP_2) | instskip(NEXT) | instid1(VALU_DEP_1)
	v_lshlrev_b32_e32 v3, 1, v3
	v_add_lshl_u32 v9, v3, v10, 2
	ds_bpermute_b32 v3, v9, v1
	ds_bpermute_b32 v4, v9, v2
	s_waitcnt lgkmcnt(0)
	v_add_f64 v[1:2], v[1:2], v[3:4]
	v_add_co_ci_u32_e64 v3, s0, 0, v10, s0
	s_delay_alu instid0(VALU_DEP_1)
	v_lshlrev_b32_e32 v10, 2, v3
	ds_bpermute_b32 v3, v10, v1
	ds_bpermute_b32 v4, v10, v2
	v_cmpx_eq_u32_e32 0, v11
	s_cbranch_execz .LBB625_8
; %bb.7:
	s_waitcnt lgkmcnt(0)
	v_add_f64 v[1:2], v[1:2], v[3:4]
	v_lshrrev_b32_e32 v3, 2, v0
	s_delay_alu instid0(VALU_DEP_1)
	v_and_b32_e32 v3, 0xf8, v3
	ds_store_b64 v3, v[1:2]
.LBB625_8:
	s_or_b32 exec_lo, exec_lo, s1
	v_mov_b32_e32 v1, 0
	v_mov_b32_e32 v2, 0
	s_waitcnt lgkmcnt(0)
	s_barrier
	buffer_gl0_inv
	s_and_saveexec_b32 s0, vcc_lo
	s_cbranch_execz .LBB625_10
; %bb.9:
	ds_load_b64 v[1:2], v5
.LBB625_10:
	s_or_b32 exec_lo, exec_lo, s0
	s_and_saveexec_b32 s0, vcc_lo
	s_cbranch_execz .LBB625_12
; %bb.11:
	s_waitcnt lgkmcnt(0)
	ds_bpermute_b32 v3, v6, v1
	ds_bpermute_b32 v4, v6, v2
	s_waitcnt lgkmcnt(0)
	v_add_f64 v[1:2], v[1:2], v[3:4]
	ds_bpermute_b32 v3, v7, v1
	ds_bpermute_b32 v4, v7, v2
	s_waitcnt lgkmcnt(0)
	v_add_f64 v[1:2], v[1:2], v[3:4]
	;; [unrolled: 4-line block ×5, first 2 shown]
.LBB625_12:
	s_or_b32 exec_lo, exec_lo, s0
	s_delay_alu instid0(SALU_CYCLE_1)
	s_mov_b32 s0, exec_lo
	v_cmpx_eq_u32_e32 0, v0
	s_cbranch_execz .LBB625_14
; %bb.13:
	s_lshl_b64 s[0:1], s[8:9], 3
	v_mov_b32_e32 v0, 0
	s_add_u32 s0, s2, s0
	s_addc_u32 s1, s3, s1
	s_waitcnt lgkmcnt(0)
	global_store_b64 v0, v[1:2], s[0:1]
.LBB625_14:
	s_nop 0
	s_sendmsg sendmsg(MSG_DEALLOC_VGPRS)
	s_endpgm
	.section	.rodata,"a",@progbits
	.p2align	6, 0x0
	.amdhsa_kernel _ZL18rocblas_dot_kernelIiLb1ELi1024ELi32ELb1EdPKddEviT5_lT_lS2_lS3_liPT6_PT4_
		.amdhsa_group_segment_fixed_size 256
		.amdhsa_private_segment_fixed_size 0
		.amdhsa_kernarg_size 352
		.amdhsa_user_sgpr_count 14
		.amdhsa_user_sgpr_dispatch_ptr 0
		.amdhsa_user_sgpr_queue_ptr 0
		.amdhsa_user_sgpr_kernarg_segment_ptr 1
		.amdhsa_user_sgpr_dispatch_id 0
		.amdhsa_user_sgpr_private_segment_size 0
		.amdhsa_wavefront_size32 1
		.amdhsa_uses_dynamic_stack 0
		.amdhsa_enable_private_segment 0
		.amdhsa_system_sgpr_workgroup_id_x 1
		.amdhsa_system_sgpr_workgroup_id_y 0
		.amdhsa_system_sgpr_workgroup_id_z 1
		.amdhsa_system_sgpr_workgroup_info 0
		.amdhsa_system_vgpr_workitem_id 0
		.amdhsa_next_free_vgpr 12
		.amdhsa_next_free_sgpr 25
		.amdhsa_reserve_vcc 1
		.amdhsa_float_round_mode_32 0
		.amdhsa_float_round_mode_16_64 0
		.amdhsa_float_denorm_mode_32 3
		.amdhsa_float_denorm_mode_16_64 3
		.amdhsa_dx10_clamp 1
		.amdhsa_ieee_mode 1
		.amdhsa_fp16_overflow 0
		.amdhsa_workgroup_processor_mode 1
		.amdhsa_memory_ordered 1
		.amdhsa_forward_progress 0
		.amdhsa_shared_vgpr_count 0
		.amdhsa_exception_fp_ieee_invalid_op 0
		.amdhsa_exception_fp_denorm_src 0
		.amdhsa_exception_fp_ieee_div_zero 0
		.amdhsa_exception_fp_ieee_overflow 0
		.amdhsa_exception_fp_ieee_underflow 0
		.amdhsa_exception_fp_ieee_inexact 0
		.amdhsa_exception_int_div_zero 0
	.end_amdhsa_kernel
	.section	.text._ZL18rocblas_dot_kernelIiLb1ELi1024ELi32ELb1EdPKddEviT5_lT_lS2_lS3_liPT6_PT4_,"axG",@progbits,_ZL18rocblas_dot_kernelIiLb1ELi1024ELi32ELb1EdPKddEviT5_lT_lS2_lS3_liPT6_PT4_,comdat
.Lfunc_end625:
	.size	_ZL18rocblas_dot_kernelIiLb1ELi1024ELi32ELb1EdPKddEviT5_lT_lS2_lS3_liPT6_PT4_, .Lfunc_end625-_ZL18rocblas_dot_kernelIiLb1ELi1024ELi32ELb1EdPKddEviT5_lT_lS2_lS3_liPT6_PT4_
                                        ; -- End function
	.section	.AMDGPU.csdata,"",@progbits
; Kernel info:
; codeLenInByte = 1084
; NumSgprs: 27
; NumVgprs: 12
; ScratchSize: 0
; MemoryBound: 0
; FloatMode: 240
; IeeeMode: 1
; LDSByteSize: 256 bytes/workgroup (compile time only)
; SGPRBlocks: 3
; VGPRBlocks: 1
; NumSGPRsForWavesPerEU: 27
; NumVGPRsForWavesPerEU: 12
; Occupancy: 16
; WaveLimiterHint : 0
; COMPUTE_PGM_RSRC2:SCRATCH_EN: 0
; COMPUTE_PGM_RSRC2:USER_SGPR: 14
; COMPUTE_PGM_RSRC2:TRAP_HANDLER: 0
; COMPUTE_PGM_RSRC2:TGID_X_EN: 1
; COMPUTE_PGM_RSRC2:TGID_Y_EN: 0
; COMPUTE_PGM_RSRC2:TGID_Z_EN: 1
; COMPUTE_PGM_RSRC2:TIDIG_COMP_CNT: 0
	.section	.text._ZL24rocblas_dot_kernel_magsqIiLb1ELi1024ELi32ELb1EdPKddEviT5_lT_liPT6_PT4_,"axG",@progbits,_ZL24rocblas_dot_kernel_magsqIiLb1ELi1024ELi32ELb1EdPKddEviT5_lT_liPT6_PT4_,comdat
	.globl	_ZL24rocblas_dot_kernel_magsqIiLb1ELi1024ELi32ELb1EdPKddEviT5_lT_liPT6_PT4_ ; -- Begin function _ZL24rocblas_dot_kernel_magsqIiLb1ELi1024ELi32ELb1EdPKddEviT5_lT_liPT6_PT4_
	.p2align	8
	.type	_ZL24rocblas_dot_kernel_magsqIiLb1ELi1024ELi32ELb1EdPKddEviT5_lT_liPT6_PT4_,@function
_ZL24rocblas_dot_kernel_magsqIiLb1ELi1024ELi32ELb1EdPKddEviT5_lT_liPT6_PT4_: ; @_ZL24rocblas_dot_kernel_magsqIiLb1ELi1024ELi32ELb1EdPKddEviT5_lT_liPT6_PT4_
; %bb.0:
	s_clause 0x1
	s_load_b32 s8, s[0:1], 0x0
	s_load_b64 s[2:3], s[0:1], 0x38
	v_mov_b32_e32 v1, 0
	v_mov_b32_e32 v2, 0
	s_mov_b32 s4, s15
	s_mov_b32 s5, 0
	s_mov_b32 s9, exec_lo
	s_waitcnt lgkmcnt(0)
	v_cmpx_gt_i32_e64 s8, v0
	s_cbranch_execz .LBB626_4
; %bb.1:
	s_clause 0x3
	s_load_b32 s10, s[0:1], 0x40
	s_load_b64 s[6:7], s[0:1], 0x20
	s_load_b32 s16, s[0:1], 0x18
	s_load_b128 s[12:15], s[0:1], 0x8
	v_mov_b32_e32 v1, 0
	v_mov_b32_e32 v2, 0
	s_waitcnt lgkmcnt(0)
	s_lshl_b32 s1, s10, 10
	s_mul_i32 s0, s7, s4
	v_mad_i64_i32 v[3:4], null, s16, v0, 0
	s_mul_hi_u32 s7, s6, s4
	s_mul_i32 s6, s6, s4
	s_add_i32 s7, s7, s0
	s_lshl_b64 s[10:11], s[14:15], 3
	s_lshl_b64 s[6:7], s[6:7], 3
	s_add_u32 s0, s12, s10
	s_delay_alu instid0(VALU_DEP_1)
	v_lshlrev_b64 v[3:4], 3, v[3:4]
	s_addc_u32 s10, s13, s11
	s_add_u32 s0, s0, s6
	s_addc_u32 s6, s10, s7
	v_or_b32_e32 v5, s1, v0
	s_mul_hi_i32 s15, s16, s1
	v_add_co_u32 v3, vcc_lo, s0, v3
	v_add_co_ci_u32_e32 v4, vcc_lo, s6, v4, vcc_lo
	s_mul_i32 s14, s16, s1
	s_mov_b32 s10, s5
	s_lshl_b64 s[6:7], s[14:15], 3
	s_mov_b32 s11, s5
	.p2align	6
.LBB626_2:                              ; =>This Inner Loop Header: Depth=1
	global_load_b64 v[6:7], v[3:4], off
	s_add_i32 s12, s11, 1
	v_cmp_le_i32_e32 vcc_lo, s8, v5
	s_cmp_gt_u32 s11, 30
	v_add_co_u32 v3, s0, v3, s6
	s_cselect_b32 s11, -1, 0
	v_add_nc_u32_e32 v5, s1, v5
	s_or_b32 s11, s11, vcc_lo
	v_add_co_ci_u32_e64 v4, vcc_lo, s7, v4, s0
	s_and_b32 s0, exec_lo, s11
	s_mov_b32 s11, s12
	s_or_b32 s10, s0, s10
	s_waitcnt vmcnt(0)
	v_fma_f64 v[1:2], v[6:7], v[6:7], v[1:2]
	s_and_not1_b32 exec_lo, exec_lo, s10
	s_cbranch_execnz .LBB626_2
; %bb.3:
	s_or_b32 exec_lo, exec_lo, s10
.LBB626_4:
	s_delay_alu instid0(SALU_CYCLE_1) | instskip(SKIP_2) | instid1(VALU_DEP_2)
	s_or_b32 exec_lo, exec_lo, s9
	v_and_b32_e32 v11, 31, v0
	v_cmp_gt_u32_e32 vcc_lo, 32, v0
	v_lshlrev_b32_e32 v5, 3, v11
	s_and_saveexec_b32 s0, vcc_lo
	s_cbranch_execz .LBB626_6
; %bb.5:
	v_mov_b32_e32 v3, 0
	s_delay_alu instid0(VALU_DEP_1)
	v_mov_b32_e32 v4, v3
	ds_store_b64 v5, v[3:4]
.LBB626_6:
	s_or_b32 exec_lo, exec_lo, s0
	v_mbcnt_lo_u32_b32 v10, -1, 0
	s_mov_b32 s1, exec_lo
	s_waitcnt lgkmcnt(0)
	s_barrier
	buffer_gl0_inv
	v_cmp_gt_u32_e64 s0, 16, v10
	s_delay_alu instid0(VALU_DEP_1) | instskip(SKIP_1) | instid1(VALU_DEP_2)
	v_cndmask_b32_e64 v3, 0, 1, s0
	v_cmp_gt_u32_e64 s0, 24, v10
	v_lshlrev_b32_e32 v3, 4, v3
	s_delay_alu instid0(VALU_DEP_1)
	v_add_lshl_u32 v6, v3, v10, 2
	ds_bpermute_b32 v3, v6, v1
	ds_bpermute_b32 v4, v6, v2
	s_waitcnt lgkmcnt(0)
	v_add_f64 v[1:2], v[1:2], v[3:4]
	v_cndmask_b32_e64 v3, 0, 1, s0
	v_cmp_gt_u32_e64 s0, 28, v10
	s_delay_alu instid0(VALU_DEP_2) | instskip(NEXT) | instid1(VALU_DEP_1)
	v_lshlrev_b32_e32 v3, 3, v3
	v_add_lshl_u32 v7, v3, v10, 2
	ds_bpermute_b32 v3, v7, v1
	ds_bpermute_b32 v4, v7, v2
	s_waitcnt lgkmcnt(0)
	v_add_f64 v[1:2], v[1:2], v[3:4]
	v_cndmask_b32_e64 v3, 0, 1, s0
	v_cmp_gt_u32_e64 s0, 30, v10
	s_delay_alu instid0(VALU_DEP_2) | instskip(NEXT) | instid1(VALU_DEP_1)
	v_lshlrev_b32_e32 v3, 2, v3
	v_add_lshl_u32 v8, v3, v10, 2
	ds_bpermute_b32 v3, v8, v1
	ds_bpermute_b32 v4, v8, v2
	s_waitcnt lgkmcnt(0)
	v_add_f64 v[1:2], v[1:2], v[3:4]
	v_cndmask_b32_e64 v3, 0, 1, s0
	v_cmp_ne_u32_e64 s0, 31, v10
	s_delay_alu instid0(VALU_DEP_2) | instskip(NEXT) | instid1(VALU_DEP_1)
	v_lshlrev_b32_e32 v3, 1, v3
	v_add_lshl_u32 v9, v3, v10, 2
	ds_bpermute_b32 v3, v9, v1
	ds_bpermute_b32 v4, v9, v2
	s_waitcnt lgkmcnt(0)
	v_add_f64 v[1:2], v[1:2], v[3:4]
	v_add_co_ci_u32_e64 v3, s0, 0, v10, s0
	s_delay_alu instid0(VALU_DEP_1)
	v_lshlrev_b32_e32 v10, 2, v3
	ds_bpermute_b32 v3, v10, v1
	ds_bpermute_b32 v4, v10, v2
	v_cmpx_eq_u32_e32 0, v11
	s_cbranch_execz .LBB626_8
; %bb.7:
	s_waitcnt lgkmcnt(0)
	v_add_f64 v[1:2], v[1:2], v[3:4]
	v_lshrrev_b32_e32 v3, 2, v0
	s_delay_alu instid0(VALU_DEP_1)
	v_and_b32_e32 v3, 0xf8, v3
	ds_store_b64 v3, v[1:2]
.LBB626_8:
	s_or_b32 exec_lo, exec_lo, s1
	v_mov_b32_e32 v1, 0
	v_mov_b32_e32 v2, 0
	s_waitcnt lgkmcnt(0)
	s_barrier
	buffer_gl0_inv
	s_and_saveexec_b32 s0, vcc_lo
	s_cbranch_execz .LBB626_10
; %bb.9:
	ds_load_b64 v[1:2], v5
.LBB626_10:
	s_or_b32 exec_lo, exec_lo, s0
	s_and_saveexec_b32 s0, vcc_lo
	s_cbranch_execz .LBB626_12
; %bb.11:
	s_waitcnt lgkmcnt(0)
	ds_bpermute_b32 v3, v6, v1
	ds_bpermute_b32 v4, v6, v2
	s_waitcnt lgkmcnt(0)
	v_add_f64 v[1:2], v[1:2], v[3:4]
	ds_bpermute_b32 v3, v7, v1
	ds_bpermute_b32 v4, v7, v2
	s_waitcnt lgkmcnt(0)
	v_add_f64 v[1:2], v[1:2], v[3:4]
	;; [unrolled: 4-line block ×5, first 2 shown]
.LBB626_12:
	s_or_b32 exec_lo, exec_lo, s0
	s_delay_alu instid0(SALU_CYCLE_1)
	s_mov_b32 s0, exec_lo
	v_cmpx_eq_u32_e32 0, v0
	s_cbranch_execz .LBB626_14
; %bb.13:
	s_lshl_b64 s[0:1], s[4:5], 3
	v_mov_b32_e32 v0, 0
	s_add_u32 s0, s2, s0
	s_addc_u32 s1, s3, s1
	s_waitcnt lgkmcnt(0)
	global_store_b64 v0, v[1:2], s[0:1]
.LBB626_14:
	s_nop 0
	s_sendmsg sendmsg(MSG_DEALLOC_VGPRS)
	s_endpgm
	.section	.rodata,"a",@progbits
	.p2align	6, 0x0
	.amdhsa_kernel _ZL24rocblas_dot_kernel_magsqIiLb1ELi1024ELi32ELb1EdPKddEviT5_lT_liPT6_PT4_
		.amdhsa_group_segment_fixed_size 256
		.amdhsa_private_segment_fixed_size 0
		.amdhsa_kernarg_size 320
		.amdhsa_user_sgpr_count 14
		.amdhsa_user_sgpr_dispatch_ptr 0
		.amdhsa_user_sgpr_queue_ptr 0
		.amdhsa_user_sgpr_kernarg_segment_ptr 1
		.amdhsa_user_sgpr_dispatch_id 0
		.amdhsa_user_sgpr_private_segment_size 0
		.amdhsa_wavefront_size32 1
		.amdhsa_uses_dynamic_stack 0
		.amdhsa_enable_private_segment 0
		.amdhsa_system_sgpr_workgroup_id_x 1
		.amdhsa_system_sgpr_workgroup_id_y 0
		.amdhsa_system_sgpr_workgroup_id_z 1
		.amdhsa_system_sgpr_workgroup_info 0
		.amdhsa_system_vgpr_workitem_id 0
		.amdhsa_next_free_vgpr 12
		.amdhsa_next_free_sgpr 17
		.amdhsa_reserve_vcc 1
		.amdhsa_float_round_mode_32 0
		.amdhsa_float_round_mode_16_64 0
		.amdhsa_float_denorm_mode_32 3
		.amdhsa_float_denorm_mode_16_64 3
		.amdhsa_dx10_clamp 1
		.amdhsa_ieee_mode 1
		.amdhsa_fp16_overflow 0
		.amdhsa_workgroup_processor_mode 1
		.amdhsa_memory_ordered 1
		.amdhsa_forward_progress 0
		.amdhsa_shared_vgpr_count 0
		.amdhsa_exception_fp_ieee_invalid_op 0
		.amdhsa_exception_fp_denorm_src 0
		.amdhsa_exception_fp_ieee_div_zero 0
		.amdhsa_exception_fp_ieee_overflow 0
		.amdhsa_exception_fp_ieee_underflow 0
		.amdhsa_exception_fp_ieee_inexact 0
		.amdhsa_exception_int_div_zero 0
	.end_amdhsa_kernel
	.section	.text._ZL24rocblas_dot_kernel_magsqIiLb1ELi1024ELi32ELb1EdPKddEviT5_lT_liPT6_PT4_,"axG",@progbits,_ZL24rocblas_dot_kernel_magsqIiLb1ELi1024ELi32ELb1EdPKddEviT5_lT_liPT6_PT4_,comdat
.Lfunc_end626:
	.size	_ZL24rocblas_dot_kernel_magsqIiLb1ELi1024ELi32ELb1EdPKddEviT5_lT_liPT6_PT4_, .Lfunc_end626-_ZL24rocblas_dot_kernel_magsqIiLb1ELi1024ELi32ELb1EdPKddEviT5_lT_liPT6_PT4_
                                        ; -- End function
	.section	.AMDGPU.csdata,"",@progbits
; Kernel info:
; codeLenInByte = 956
; NumSgprs: 19
; NumVgprs: 12
; ScratchSize: 0
; MemoryBound: 0
; FloatMode: 240
; IeeeMode: 1
; LDSByteSize: 256 bytes/workgroup (compile time only)
; SGPRBlocks: 2
; VGPRBlocks: 1
; NumSGPRsForWavesPerEU: 19
; NumVGPRsForWavesPerEU: 12
; Occupancy: 16
; WaveLimiterHint : 0
; COMPUTE_PGM_RSRC2:SCRATCH_EN: 0
; COMPUTE_PGM_RSRC2:USER_SGPR: 14
; COMPUTE_PGM_RSRC2:TRAP_HANDLER: 0
; COMPUTE_PGM_RSRC2:TGID_X_EN: 1
; COMPUTE_PGM_RSRC2:TGID_Y_EN: 0
; COMPUTE_PGM_RSRC2:TGID_Z_EN: 1
; COMPUTE_PGM_RSRC2:TIDIG_COMP_CNT: 0
	.section	.text._ZL23rocblas_dot_kernel_inc1ILb0ELi512ELi2ELb1EdPKddEviT4_llS2_lliPT5_PT3_,"axG",@progbits,_ZL23rocblas_dot_kernel_inc1ILb0ELi512ELi2ELb1EdPKddEviT4_llS2_lliPT5_PT3_,comdat
	.globl	_ZL23rocblas_dot_kernel_inc1ILb0ELi512ELi2ELb1EdPKddEviT4_llS2_lliPT5_PT3_ ; -- Begin function _ZL23rocblas_dot_kernel_inc1ILb0ELi512ELi2ELb1EdPKddEviT4_llS2_lliPT5_PT3_
	.p2align	8
	.type	_ZL23rocblas_dot_kernel_inc1ILb0ELi512ELi2ELb1EdPKddEviT4_llS2_lliPT5_PT3_,@function
_ZL23rocblas_dot_kernel_inc1ILb0ELi512ELi2ELb1EdPKddEviT4_llS2_lliPT5_PT3_: ; @_ZL23rocblas_dot_kernel_inc1ILb0ELi512ELi2ELb1EdPKddEviT4_llS2_lliPT5_PT3_
; %bb.0:
	s_clause 0x1
	s_load_b32 s10, s[0:1], 0x0
	s_load_b32 s3, s[0:1], 0x50
	v_mov_b32_e32 v1, 0
	v_lshl_or_b32 v3, s14, 9, v0
	v_mov_b32_e32 v2, 0
	s_mov_b32 s8, s15
	s_mov_b32 s9, 0
	s_mov_b32 s2, exec_lo
	s_waitcnt lgkmcnt(0)
	v_cmpx_gt_i32_e64 s10, v3
	s_cbranch_execz .LBB627_4
; %bb.1:
	s_clause 0x3
	s_load_b128 s[16:19], s[0:1], 0x10
	s_load_b128 s[4:7], s[0:1], 0x28
	s_load_b64 s[12:13], s[0:1], 0x8
	s_load_b64 s[20:21], s[0:1], 0x20
	v_ashrrev_i32_e32 v4, 31, v3
	s_delay_alu instid0(VALU_DEP_1)
	v_lshlrev_b64 v[1:2], 3, v[3:4]
	s_waitcnt lgkmcnt(0)
	s_mul_i32 s11, s8, s19
	s_mul_hi_u32 s15, s8, s18
	s_mul_i32 s18, s8, s18
	s_add_i32 s19, s15, s11
	s_mul_i32 s11, s8, s7
	s_lshl_b64 s[18:19], s[18:19], 3
	s_mul_hi_u32 s15, s8, s6
	s_add_u32 s7, s12, s18
	s_addc_u32 s18, s13, s19
	s_lshl_b64 s[12:13], s[16:17], 3
	s_mul_i32 s16, s8, s6
	s_add_u32 s6, s7, s12
	s_addc_u32 s7, s18, s13
	s_add_i32 s17, s15, s11
	s_delay_alu instid0(SALU_CYCLE_1) | instskip(NEXT) | instid1(SALU_CYCLE_1)
	s_lshl_b64 s[12:13], s[16:17], 3
	s_add_u32 s11, s20, s12
	s_addc_u32 s12, s21, s13
	s_lshl_b64 s[4:5], s[4:5], 3
	s_delay_alu instid0(SALU_CYCLE_1)
	s_add_u32 s4, s11, s4
	s_addc_u32 s5, s12, s5
	v_add_co_u32 v3, vcc_lo, s4, v1
	v_add_co_ci_u32_e32 v4, vcc_lo, s5, v2, vcc_lo
	v_add_co_u32 v1, vcc_lo, s6, v1
	v_add_co_ci_u32_e32 v2, vcc_lo, s7, v2, vcc_lo
	global_load_b64 v[3:4], v[3:4], off
	global_load_b64 v[1:2], v[1:2], off
	s_add_i32 s11, s14, s3
	s_waitcnt vmcnt(0)
	v_fma_f64 v[1:2], v[3:4], v[1:2], 0
	v_lshl_or_b32 v3, s11, 9, v0
	s_delay_alu instid0(VALU_DEP_1)
	v_cmp_gt_i32_e32 vcc_lo, s10, v3
	s_and_saveexec_b32 s10, vcc_lo
	s_cbranch_execz .LBB627_3
; %bb.2:
	v_ashrrev_i32_e32 v4, 31, v3
	s_delay_alu instid0(VALU_DEP_1) | instskip(NEXT) | instid1(VALU_DEP_1)
	v_lshlrev_b64 v[3:4], 3, v[3:4]
	v_add_co_u32 v5, vcc_lo, s4, v3
	s_delay_alu instid0(VALU_DEP_2)
	v_add_co_ci_u32_e32 v6, vcc_lo, s5, v4, vcc_lo
	v_add_co_u32 v3, vcc_lo, s6, v3
	v_add_co_ci_u32_e32 v4, vcc_lo, s7, v4, vcc_lo
	global_load_b64 v[5:6], v[5:6], off
	global_load_b64 v[3:4], v[3:4], off
	s_waitcnt vmcnt(0)
	v_fma_f64 v[1:2], v[5:6], v[3:4], v[1:2]
.LBB627_3:
	s_or_b32 exec_lo, exec_lo, s10
.LBB627_4:
	s_delay_alu instid0(SALU_CYCLE_1) | instskip(SKIP_2) | instid1(VALU_DEP_2)
	s_or_b32 exec_lo, exec_lo, s2
	v_and_b32_e32 v10, 31, v0
	v_cmp_gt_u32_e32 vcc_lo, 32, v0
	v_lshlrev_b32_e32 v5, 3, v10
	s_and_saveexec_b32 s2, vcc_lo
	s_cbranch_execz .LBB627_6
; %bb.5:
	v_mov_b32_e32 v3, 0
	s_delay_alu instid0(VALU_DEP_1)
	v_mov_b32_e32 v4, v3
	ds_store_b64 v5, v[3:4]
.LBB627_6:
	s_or_b32 exec_lo, exec_lo, s2
	v_mbcnt_lo_u32_b32 v9, -1, 0
	s_mov_b32 s4, exec_lo
	s_waitcnt lgkmcnt(0)
	s_barrier
	buffer_gl0_inv
	v_cmp_gt_u32_e64 s2, 16, v9
	s_delay_alu instid0(VALU_DEP_1) | instskip(SKIP_1) | instid1(VALU_DEP_2)
	v_cndmask_b32_e64 v3, 0, 1, s2
	v_cmp_gt_u32_e64 s2, 24, v9
	v_lshlrev_b32_e32 v3, 4, v3
	s_delay_alu instid0(VALU_DEP_1)
	v_add_lshl_u32 v4, v3, v9, 2
	ds_bpermute_b32 v3, v4, v1
	ds_bpermute_b32 v4, v4, v2
	s_waitcnt lgkmcnt(0)
	v_add_f64 v[1:2], v[1:2], v[3:4]
	v_cndmask_b32_e64 v3, 0, 1, s2
	v_cmp_gt_u32_e64 s2, 28, v9
	s_delay_alu instid0(VALU_DEP_2) | instskip(NEXT) | instid1(VALU_DEP_1)
	v_lshlrev_b32_e32 v3, 3, v3
	v_add_lshl_u32 v6, v3, v9, 2
	ds_bpermute_b32 v3, v6, v1
	ds_bpermute_b32 v4, v6, v2
	s_waitcnt lgkmcnt(0)
	v_add_f64 v[1:2], v[1:2], v[3:4]
	v_cndmask_b32_e64 v3, 0, 1, s2
	v_cmp_gt_u32_e64 s2, 30, v9
	s_delay_alu instid0(VALU_DEP_2) | instskip(NEXT) | instid1(VALU_DEP_1)
	v_lshlrev_b32_e32 v3, 2, v3
	v_add_lshl_u32 v7, v3, v9, 2
	ds_bpermute_b32 v3, v7, v1
	ds_bpermute_b32 v4, v7, v2
	s_waitcnt lgkmcnt(0)
	v_add_f64 v[1:2], v[1:2], v[3:4]
	v_cndmask_b32_e64 v3, 0, 1, s2
	v_cmp_ne_u32_e64 s2, 31, v9
	s_delay_alu instid0(VALU_DEP_2) | instskip(NEXT) | instid1(VALU_DEP_1)
	v_lshlrev_b32_e32 v3, 1, v3
	v_add_lshl_u32 v8, v3, v9, 2
	ds_bpermute_b32 v3, v8, v1
	ds_bpermute_b32 v4, v8, v2
	s_waitcnt lgkmcnt(0)
	v_add_f64 v[1:2], v[1:2], v[3:4]
	v_add_co_ci_u32_e64 v3, s2, 0, v9, s2
	s_delay_alu instid0(VALU_DEP_1)
	v_lshlrev_b32_e32 v9, 2, v3
	ds_bpermute_b32 v3, v9, v1
	ds_bpermute_b32 v4, v9, v2
	v_cmpx_eq_u32_e32 0, v10
	s_cbranch_execz .LBB627_8
; %bb.7:
	s_waitcnt lgkmcnt(0)
	v_add_f64 v[1:2], v[1:2], v[3:4]
	v_lshrrev_b32_e32 v3, 2, v0
	s_delay_alu instid0(VALU_DEP_1)
	v_and_b32_e32 v3, 0x78, v3
	ds_store_b64 v3, v[1:2]
.LBB627_8:
	s_or_b32 exec_lo, exec_lo, s4
	v_mov_b32_e32 v1, 0
	v_mov_b32_e32 v2, 0
	s_mov_b32 s4, exec_lo
	s_waitcnt lgkmcnt(0)
	s_barrier
	buffer_gl0_inv
	v_cmpx_gt_u32_e32 16, v0
	s_cbranch_execz .LBB627_10
; %bb.9:
	ds_load_b64 v[1:2], v5
.LBB627_10:
	s_or_b32 exec_lo, exec_lo, s4
	s_and_saveexec_b32 s2, vcc_lo
	s_cbranch_execz .LBB627_12
; %bb.11:
	s_waitcnt lgkmcnt(0)
	ds_bpermute_b32 v3, v6, v1
	ds_bpermute_b32 v4, v6, v2
	s_waitcnt lgkmcnt(0)
	v_add_f64 v[1:2], v[1:2], v[3:4]
	ds_bpermute_b32 v3, v7, v1
	ds_bpermute_b32 v4, v7, v2
	s_waitcnt lgkmcnt(0)
	v_add_f64 v[1:2], v[1:2], v[3:4]
	;; [unrolled: 4-line block ×4, first 2 shown]
.LBB627_12:
	s_or_b32 exec_lo, exec_lo, s2
	s_delay_alu instid0(SALU_CYCLE_1)
	s_mov_b32 s2, exec_lo
	v_cmpx_eq_u32_e32 0, v0
	s_cbranch_execz .LBB627_18
; %bb.13:
	s_cmp_lg_u32 s3, 1
	s_cbranch_scc0 .LBB627_15
; %bb.14:
	s_load_b64 s[4:5], s[0:1], 0x40
	s_mul_hi_u32 s7, s3, s8
	s_mul_i32 s6, s3, s8
	s_mov_b32 s15, 0
	s_lshl_b64 s[2:3], s[6:7], 3
	s_waitcnt lgkmcnt(0)
	s_add_u32 s4, s4, s2
	s_addc_u32 s5, s5, s3
	s_lshl_b64 s[2:3], s[14:15], 3
	s_delay_alu instid0(SALU_CYCLE_1)
	s_add_u32 s2, s4, s2
	s_addc_u32 s3, s5, s3
	s_cbranch_execz .LBB627_16
	s_branch .LBB627_17
.LBB627_15:
                                        ; implicit-def: $sgpr2_sgpr3
.LBB627_16:
	s_load_b64 s[0:1], s[0:1], 0x48
	s_lshl_b64 s[2:3], s[8:9], 3
	s_waitcnt lgkmcnt(0)
	s_add_u32 s2, s0, s2
	s_addc_u32 s3, s1, s3
.LBB627_17:
	v_mov_b32_e32 v0, 0
	s_waitcnt lgkmcnt(0)
	global_store_b64 v0, v[1:2], s[2:3]
.LBB627_18:
	s_nop 0
	s_sendmsg sendmsg(MSG_DEALLOC_VGPRS)
	s_endpgm
	.section	.rodata,"a",@progbits
	.p2align	6, 0x0
	.amdhsa_kernel _ZL23rocblas_dot_kernel_inc1ILb0ELi512ELi2ELb1EdPKddEviT4_llS2_lliPT5_PT3_
		.amdhsa_group_segment_fixed_size 256
		.amdhsa_private_segment_fixed_size 0
		.amdhsa_kernarg_size 336
		.amdhsa_user_sgpr_count 14
		.amdhsa_user_sgpr_dispatch_ptr 0
		.amdhsa_user_sgpr_queue_ptr 0
		.amdhsa_user_sgpr_kernarg_segment_ptr 1
		.amdhsa_user_sgpr_dispatch_id 0
		.amdhsa_user_sgpr_private_segment_size 0
		.amdhsa_wavefront_size32 1
		.amdhsa_uses_dynamic_stack 0
		.amdhsa_enable_private_segment 0
		.amdhsa_system_sgpr_workgroup_id_x 1
		.amdhsa_system_sgpr_workgroup_id_y 0
		.amdhsa_system_sgpr_workgroup_id_z 1
		.amdhsa_system_sgpr_workgroup_info 0
		.amdhsa_system_vgpr_workitem_id 0
		.amdhsa_next_free_vgpr 11
		.amdhsa_next_free_sgpr 22
		.amdhsa_reserve_vcc 1
		.amdhsa_float_round_mode_32 0
		.amdhsa_float_round_mode_16_64 0
		.amdhsa_float_denorm_mode_32 3
		.amdhsa_float_denorm_mode_16_64 3
		.amdhsa_dx10_clamp 1
		.amdhsa_ieee_mode 1
		.amdhsa_fp16_overflow 0
		.amdhsa_workgroup_processor_mode 1
		.amdhsa_memory_ordered 1
		.amdhsa_forward_progress 0
		.amdhsa_shared_vgpr_count 0
		.amdhsa_exception_fp_ieee_invalid_op 0
		.amdhsa_exception_fp_denorm_src 0
		.amdhsa_exception_fp_ieee_div_zero 0
		.amdhsa_exception_fp_ieee_overflow 0
		.amdhsa_exception_fp_ieee_underflow 0
		.amdhsa_exception_fp_ieee_inexact 0
		.amdhsa_exception_int_div_zero 0
	.end_amdhsa_kernel
	.section	.text._ZL23rocblas_dot_kernel_inc1ILb0ELi512ELi2ELb1EdPKddEviT4_llS2_lliPT5_PT3_,"axG",@progbits,_ZL23rocblas_dot_kernel_inc1ILb0ELi512ELi2ELb1EdPKddEviT4_llS2_lliPT5_PT3_,comdat
.Lfunc_end627:
	.size	_ZL23rocblas_dot_kernel_inc1ILb0ELi512ELi2ELb1EdPKddEviT4_llS2_lliPT5_PT3_, .Lfunc_end627-_ZL23rocblas_dot_kernel_inc1ILb0ELi512ELi2ELb1EdPKddEviT4_llS2_lliPT5_PT3_
                                        ; -- End function
	.section	.AMDGPU.csdata,"",@progbits
; Kernel info:
; codeLenInByte = 1088
; NumSgprs: 24
; NumVgprs: 11
; ScratchSize: 0
; MemoryBound: 0
; FloatMode: 240
; IeeeMode: 1
; LDSByteSize: 256 bytes/workgroup (compile time only)
; SGPRBlocks: 2
; VGPRBlocks: 1
; NumSGPRsForWavesPerEU: 24
; NumVGPRsForWavesPerEU: 11
; Occupancy: 16
; WaveLimiterHint : 0
; COMPUTE_PGM_RSRC2:SCRATCH_EN: 0
; COMPUTE_PGM_RSRC2:USER_SGPR: 14
; COMPUTE_PGM_RSRC2:TRAP_HANDLER: 0
; COMPUTE_PGM_RSRC2:TGID_X_EN: 1
; COMPUTE_PGM_RSRC2:TGID_Y_EN: 0
; COMPUTE_PGM_RSRC2:TGID_Z_EN: 1
; COMPUTE_PGM_RSRC2:TIDIG_COMP_CNT: 0
	.section	.text._ZL18rocblas_dot_kernelIiLb0ELi512ELi2ELb1EdPKddEviT5_lT_lS2_lS3_liPT6_PT4_,"axG",@progbits,_ZL18rocblas_dot_kernelIiLb0ELi512ELi2ELb1EdPKddEviT5_lT_lS2_lS3_liPT6_PT4_,comdat
	.globl	_ZL18rocblas_dot_kernelIiLb0ELi512ELi2ELb1EdPKddEviT5_lT_lS2_lS3_liPT6_PT4_ ; -- Begin function _ZL18rocblas_dot_kernelIiLb0ELi512ELi2ELb1EdPKddEviT5_lT_lS2_lS3_liPT6_PT4_
	.p2align	8
	.type	_ZL18rocblas_dot_kernelIiLb0ELi512ELi2ELb1EdPKddEviT5_lT_lS2_lS3_liPT6_PT4_,@function
_ZL18rocblas_dot_kernelIiLb0ELi512ELi2ELb1EdPKddEviT5_lT_lS2_lS3_liPT6_PT4_: ; @_ZL18rocblas_dot_kernelIiLb0ELi512ELi2ELb1EdPKddEviT5_lT_lS2_lS3_liPT6_PT4_
; %bb.0:
	s_clause 0x1
	s_load_b32 s10, s[0:1], 0x0
	s_load_b32 s3, s[0:1], 0x60
	v_mov_b32_e32 v1, 0
	v_lshl_or_b32 v3, s14, 9, v0
	v_mov_b32_e32 v2, 0
	s_mov_b32 s8, s15
	s_mov_b32 s9, 0
	s_mov_b32 s2, exec_lo
	s_waitcnt lgkmcnt(0)
	v_cmpx_gt_i32_e64 s10, v3
	s_cbranch_execz .LBB628_4
; %bb.1:
	s_clause 0x5
	s_load_b128 s[4:7], s[0:1], 0x20
	s_load_b64 s[20:21], s[0:1], 0x40
	s_load_b32 s12, s[0:1], 0x38
	s_load_b128 s[16:19], s[0:1], 0x8
	s_load_b32 s11, s[0:1], 0x18
	s_load_b64 s[22:23], s[0:1], 0x30
	s_waitcnt lgkmcnt(0)
	s_mul_i32 s5, s8, s5
	s_mul_hi_u32 s13, s8, s4
	s_mul_i32 s4, s8, s4
	s_add_i32 s5, s13, s5
	v_mad_i64_i32 v[1:2], null, v3, s12, 0
	s_lshl_b64 s[4:5], s[4:5], 3
	s_mul_i32 s15, s8, s21
	s_add_u32 s13, s16, s4
	s_addc_u32 s16, s17, s5
	s_lshl_b64 s[4:5], s[18:19], 3
	s_mul_hi_u32 s21, s8, s20
	v_mad_i64_i32 v[4:5], null, v3, s11, 0
	s_add_u32 s4, s13, s4
	s_mul_i32 s20, s8, s20
	s_addc_u32 s5, s16, s5
	s_add_i32 s21, s21, s15
	v_lshlrev_b64 v[1:2], 3, v[1:2]
	s_lshl_b64 s[16:17], s[20:21], 3
	s_delay_alu instid0(VALU_DEP_2) | instskip(SKIP_3) | instid1(SALU_CYCLE_1)
	v_lshlrev_b64 v[3:4], 3, v[4:5]
	s_add_u32 s13, s6, s16
	s_addc_u32 s15, s7, s17
	s_lshl_b64 s[6:7], s[22:23], 3
	s_add_u32 s6, s13, s6
	s_addc_u32 s7, s15, s7
	v_add_co_u32 v1, vcc_lo, s6, v1
	v_add_co_ci_u32_e32 v2, vcc_lo, s7, v2, vcc_lo
	v_add_co_u32 v3, vcc_lo, s4, v3
	v_add_co_ci_u32_e32 v4, vcc_lo, s5, v4, vcc_lo
	global_load_b64 v[1:2], v[1:2], off
	global_load_b64 v[3:4], v[3:4], off
	s_add_i32 s13, s14, s3
	s_waitcnt vmcnt(0)
	v_fma_f64 v[1:2], v[1:2], v[3:4], 0
	v_lshl_or_b32 v3, s13, 9, v0
	s_delay_alu instid0(VALU_DEP_1)
	v_cmp_gt_i32_e32 vcc_lo, s10, v3
	s_and_saveexec_b32 s10, vcc_lo
	s_cbranch_execz .LBB628_3
; %bb.2:
	v_mad_i64_i32 v[4:5], null, v3, s12, 0
	v_mad_i64_i32 v[6:7], null, v3, s11, 0
	s_delay_alu instid0(VALU_DEP_2) | instskip(NEXT) | instid1(VALU_DEP_2)
	v_lshlrev_b64 v[3:4], 3, v[4:5]
	v_lshlrev_b64 v[5:6], 3, v[6:7]
	s_delay_alu instid0(VALU_DEP_2) | instskip(NEXT) | instid1(VALU_DEP_3)
	v_add_co_u32 v3, vcc_lo, s6, v3
	v_add_co_ci_u32_e32 v4, vcc_lo, s7, v4, vcc_lo
	s_delay_alu instid0(VALU_DEP_3) | instskip(NEXT) | instid1(VALU_DEP_4)
	v_add_co_u32 v5, vcc_lo, s4, v5
	v_add_co_ci_u32_e32 v6, vcc_lo, s5, v6, vcc_lo
	global_load_b64 v[3:4], v[3:4], off
	global_load_b64 v[5:6], v[5:6], off
	s_waitcnt vmcnt(0)
	v_fma_f64 v[1:2], v[3:4], v[5:6], v[1:2]
.LBB628_3:
	s_or_b32 exec_lo, exec_lo, s10
.LBB628_4:
	s_delay_alu instid0(SALU_CYCLE_1) | instskip(SKIP_2) | instid1(VALU_DEP_2)
	s_or_b32 exec_lo, exec_lo, s2
	v_and_b32_e32 v10, 31, v0
	v_cmp_gt_u32_e32 vcc_lo, 32, v0
	v_lshlrev_b32_e32 v5, 3, v10
	s_and_saveexec_b32 s2, vcc_lo
	s_cbranch_execz .LBB628_6
; %bb.5:
	v_mov_b32_e32 v3, 0
	s_delay_alu instid0(VALU_DEP_1)
	v_mov_b32_e32 v4, v3
	ds_store_b64 v5, v[3:4]
.LBB628_6:
	s_or_b32 exec_lo, exec_lo, s2
	v_mbcnt_lo_u32_b32 v9, -1, 0
	s_mov_b32 s4, exec_lo
	s_waitcnt lgkmcnt(0)
	s_barrier
	buffer_gl0_inv
	v_cmp_gt_u32_e64 s2, 16, v9
	s_delay_alu instid0(VALU_DEP_1) | instskip(SKIP_1) | instid1(VALU_DEP_2)
	v_cndmask_b32_e64 v3, 0, 1, s2
	v_cmp_gt_u32_e64 s2, 24, v9
	v_lshlrev_b32_e32 v3, 4, v3
	s_delay_alu instid0(VALU_DEP_1)
	v_add_lshl_u32 v4, v3, v9, 2
	ds_bpermute_b32 v3, v4, v1
	ds_bpermute_b32 v4, v4, v2
	s_waitcnt lgkmcnt(0)
	v_add_f64 v[1:2], v[1:2], v[3:4]
	v_cndmask_b32_e64 v3, 0, 1, s2
	v_cmp_gt_u32_e64 s2, 28, v9
	s_delay_alu instid0(VALU_DEP_2) | instskip(NEXT) | instid1(VALU_DEP_1)
	v_lshlrev_b32_e32 v3, 3, v3
	v_add_lshl_u32 v6, v3, v9, 2
	ds_bpermute_b32 v3, v6, v1
	ds_bpermute_b32 v4, v6, v2
	s_waitcnt lgkmcnt(0)
	v_add_f64 v[1:2], v[1:2], v[3:4]
	v_cndmask_b32_e64 v3, 0, 1, s2
	v_cmp_gt_u32_e64 s2, 30, v9
	s_delay_alu instid0(VALU_DEP_2) | instskip(NEXT) | instid1(VALU_DEP_1)
	v_lshlrev_b32_e32 v3, 2, v3
	v_add_lshl_u32 v7, v3, v9, 2
	ds_bpermute_b32 v3, v7, v1
	ds_bpermute_b32 v4, v7, v2
	s_waitcnt lgkmcnt(0)
	v_add_f64 v[1:2], v[1:2], v[3:4]
	v_cndmask_b32_e64 v3, 0, 1, s2
	v_cmp_ne_u32_e64 s2, 31, v9
	s_delay_alu instid0(VALU_DEP_2) | instskip(NEXT) | instid1(VALU_DEP_1)
	v_lshlrev_b32_e32 v3, 1, v3
	v_add_lshl_u32 v8, v3, v9, 2
	ds_bpermute_b32 v3, v8, v1
	ds_bpermute_b32 v4, v8, v2
	s_waitcnt lgkmcnt(0)
	v_add_f64 v[1:2], v[1:2], v[3:4]
	v_add_co_ci_u32_e64 v3, s2, 0, v9, s2
	s_delay_alu instid0(VALU_DEP_1)
	v_lshlrev_b32_e32 v9, 2, v3
	ds_bpermute_b32 v3, v9, v1
	ds_bpermute_b32 v4, v9, v2
	v_cmpx_eq_u32_e32 0, v10
	s_cbranch_execz .LBB628_8
; %bb.7:
	s_waitcnt lgkmcnt(0)
	v_add_f64 v[1:2], v[1:2], v[3:4]
	v_lshrrev_b32_e32 v3, 2, v0
	s_delay_alu instid0(VALU_DEP_1)
	v_and_b32_e32 v3, 0x78, v3
	ds_store_b64 v3, v[1:2]
.LBB628_8:
	s_or_b32 exec_lo, exec_lo, s4
	v_mov_b32_e32 v1, 0
	v_mov_b32_e32 v2, 0
	s_mov_b32 s4, exec_lo
	s_waitcnt lgkmcnt(0)
	s_barrier
	buffer_gl0_inv
	v_cmpx_gt_u32_e32 16, v0
	s_cbranch_execz .LBB628_10
; %bb.9:
	ds_load_b64 v[1:2], v5
.LBB628_10:
	s_or_b32 exec_lo, exec_lo, s4
	s_and_saveexec_b32 s2, vcc_lo
	s_cbranch_execz .LBB628_12
; %bb.11:
	s_waitcnt lgkmcnt(0)
	ds_bpermute_b32 v3, v6, v1
	ds_bpermute_b32 v4, v6, v2
	s_waitcnt lgkmcnt(0)
	v_add_f64 v[1:2], v[1:2], v[3:4]
	ds_bpermute_b32 v3, v7, v1
	ds_bpermute_b32 v4, v7, v2
	s_waitcnt lgkmcnt(0)
	v_add_f64 v[1:2], v[1:2], v[3:4]
	;; [unrolled: 4-line block ×4, first 2 shown]
.LBB628_12:
	s_or_b32 exec_lo, exec_lo, s2
	s_delay_alu instid0(SALU_CYCLE_1)
	s_mov_b32 s2, exec_lo
	v_cmpx_eq_u32_e32 0, v0
	s_cbranch_execz .LBB628_18
; %bb.13:
	s_cmp_lg_u32 s3, 1
	s_cbranch_scc0 .LBB628_15
; %bb.14:
	s_load_b64 s[4:5], s[0:1], 0x50
	s_mul_hi_u32 s7, s3, s8
	s_mul_i32 s6, s3, s8
	s_mov_b32 s15, 0
	s_lshl_b64 s[2:3], s[6:7], 3
	s_waitcnt lgkmcnt(0)
	s_add_u32 s4, s4, s2
	s_addc_u32 s5, s5, s3
	s_lshl_b64 s[2:3], s[14:15], 3
	s_delay_alu instid0(SALU_CYCLE_1)
	s_add_u32 s2, s4, s2
	s_addc_u32 s3, s5, s3
	s_cbranch_execz .LBB628_16
	s_branch .LBB628_17
.LBB628_15:
                                        ; implicit-def: $sgpr2_sgpr3
.LBB628_16:
	s_load_b64 s[0:1], s[0:1], 0x58
	s_lshl_b64 s[2:3], s[8:9], 3
	s_waitcnt lgkmcnt(0)
	s_add_u32 s2, s0, s2
	s_addc_u32 s3, s1, s3
.LBB628_17:
	v_mov_b32_e32 v0, 0
	s_waitcnt lgkmcnt(0)
	global_store_b64 v0, v[1:2], s[2:3]
.LBB628_18:
	s_nop 0
	s_sendmsg sendmsg(MSG_DEALLOC_VGPRS)
	s_endpgm
	.section	.rodata,"a",@progbits
	.p2align	6, 0x0
	.amdhsa_kernel _ZL18rocblas_dot_kernelIiLb0ELi512ELi2ELb1EdPKddEviT5_lT_lS2_lS3_liPT6_PT4_
		.amdhsa_group_segment_fixed_size 256
		.amdhsa_private_segment_fixed_size 0
		.amdhsa_kernarg_size 352
		.amdhsa_user_sgpr_count 14
		.amdhsa_user_sgpr_dispatch_ptr 0
		.amdhsa_user_sgpr_queue_ptr 0
		.amdhsa_user_sgpr_kernarg_segment_ptr 1
		.amdhsa_user_sgpr_dispatch_id 0
		.amdhsa_user_sgpr_private_segment_size 0
		.amdhsa_wavefront_size32 1
		.amdhsa_uses_dynamic_stack 0
		.amdhsa_enable_private_segment 0
		.amdhsa_system_sgpr_workgroup_id_x 1
		.amdhsa_system_sgpr_workgroup_id_y 0
		.amdhsa_system_sgpr_workgroup_id_z 1
		.amdhsa_system_sgpr_workgroup_info 0
		.amdhsa_system_vgpr_workitem_id 0
		.amdhsa_next_free_vgpr 11
		.amdhsa_next_free_sgpr 24
		.amdhsa_reserve_vcc 1
		.amdhsa_float_round_mode_32 0
		.amdhsa_float_round_mode_16_64 0
		.amdhsa_float_denorm_mode_32 3
		.amdhsa_float_denorm_mode_16_64 3
		.amdhsa_dx10_clamp 1
		.amdhsa_ieee_mode 1
		.amdhsa_fp16_overflow 0
		.amdhsa_workgroup_processor_mode 1
		.amdhsa_memory_ordered 1
		.amdhsa_forward_progress 0
		.amdhsa_shared_vgpr_count 0
		.amdhsa_exception_fp_ieee_invalid_op 0
		.amdhsa_exception_fp_denorm_src 0
		.amdhsa_exception_fp_ieee_div_zero 0
		.amdhsa_exception_fp_ieee_overflow 0
		.amdhsa_exception_fp_ieee_underflow 0
		.amdhsa_exception_fp_ieee_inexact 0
		.amdhsa_exception_int_div_zero 0
	.end_amdhsa_kernel
	.section	.text._ZL18rocblas_dot_kernelIiLb0ELi512ELi2ELb1EdPKddEviT5_lT_lS2_lS3_liPT6_PT4_,"axG",@progbits,_ZL18rocblas_dot_kernelIiLb0ELi512ELi2ELb1EdPKddEviT5_lT_lS2_lS3_liPT6_PT4_,comdat
.Lfunc_end628:
	.size	_ZL18rocblas_dot_kernelIiLb0ELi512ELi2ELb1EdPKddEviT5_lT_lS2_lS3_liPT6_PT4_, .Lfunc_end628-_ZL18rocblas_dot_kernelIiLb0ELi512ELi2ELb1EdPKddEviT5_lT_lS2_lS3_liPT6_PT4_
                                        ; -- End function
	.section	.AMDGPU.csdata,"",@progbits
; Kernel info:
; codeLenInByte = 1140
; NumSgprs: 26
; NumVgprs: 11
; ScratchSize: 0
; MemoryBound: 0
; FloatMode: 240
; IeeeMode: 1
; LDSByteSize: 256 bytes/workgroup (compile time only)
; SGPRBlocks: 3
; VGPRBlocks: 1
; NumSGPRsForWavesPerEU: 26
; NumVGPRsForWavesPerEU: 11
; Occupancy: 16
; WaveLimiterHint : 0
; COMPUTE_PGM_RSRC2:SCRATCH_EN: 0
; COMPUTE_PGM_RSRC2:USER_SGPR: 14
; COMPUTE_PGM_RSRC2:TRAP_HANDLER: 0
; COMPUTE_PGM_RSRC2:TGID_X_EN: 1
; COMPUTE_PGM_RSRC2:TGID_Y_EN: 0
; COMPUTE_PGM_RSRC2:TGID_Z_EN: 1
; COMPUTE_PGM_RSRC2:TIDIG_COMP_CNT: 0
	.section	.text._ZL24rocblas_dot_kernel_magsqIiLb0ELi512ELi2ELb1EdPKddEviT5_lT_liPT6_PT4_,"axG",@progbits,_ZL24rocblas_dot_kernel_magsqIiLb0ELi512ELi2ELb1EdPKddEviT5_lT_liPT6_PT4_,comdat
	.globl	_ZL24rocblas_dot_kernel_magsqIiLb0ELi512ELi2ELb1EdPKddEviT5_lT_liPT6_PT4_ ; -- Begin function _ZL24rocblas_dot_kernel_magsqIiLb0ELi512ELi2ELb1EdPKddEviT5_lT_liPT6_PT4_
	.p2align	8
	.type	_ZL24rocblas_dot_kernel_magsqIiLb0ELi512ELi2ELb1EdPKddEviT5_lT_liPT6_PT4_,@function
_ZL24rocblas_dot_kernel_magsqIiLb0ELi512ELi2ELb1EdPKddEviT5_lT_liPT6_PT4_: ; @_ZL24rocblas_dot_kernel_magsqIiLb0ELi512ELi2ELb1EdPKddEviT5_lT_liPT6_PT4_
; %bb.0:
	s_clause 0x1
	s_load_b32 s6, s[0:1], 0x0
	s_load_b32 s3, s[0:1], 0x40
	v_mov_b32_e32 v1, 0
	v_lshl_or_b32 v3, s14, 9, v0
	v_mov_b32_e32 v2, 0
	s_mov_b32 s4, s15
	s_mov_b32 s5, 0
	s_mov_b32 s2, exec_lo
	s_waitcnt lgkmcnt(0)
	v_cmpx_gt_i32_e64 s6, v3
	s_cbranch_execz .LBB629_4
; %bb.1:
	s_clause 0x2
	s_load_b64 s[12:13], s[0:1], 0x20
	s_load_b32 s7, s[0:1], 0x18
	s_load_b128 s[8:11], s[0:1], 0x8
	s_waitcnt lgkmcnt(0)
	s_mul_i32 s13, s4, s13
	v_mad_i64_i32 v[1:2], null, v3, s7, 0
	s_mul_hi_u32 s15, s4, s12
	s_mul_i32 s12, s4, s12
	s_add_i32 s13, s15, s13
	s_delay_alu instid0(SALU_CYCLE_1) | instskip(NEXT) | instid1(SALU_CYCLE_1)
	s_lshl_b64 s[12:13], s[12:13], 3
	s_add_u32 s12, s8, s12
	s_delay_alu instid0(VALU_DEP_1) | instskip(SKIP_2) | instid1(SALU_CYCLE_1)
	v_lshlrev_b64 v[1:2], 3, v[1:2]
	s_addc_u32 s13, s9, s13
	s_lshl_b64 s[8:9], s[10:11], 3
	s_add_u32 s8, s12, s8
	s_addc_u32 s9, s13, s9
	s_delay_alu instid0(VALU_DEP_1) | instskip(SKIP_2) | instid1(SALU_CYCLE_1)
	v_add_co_u32 v1, vcc_lo, s8, v1
	v_add_co_ci_u32_e32 v2, vcc_lo, s9, v2, vcc_lo
	s_add_i32 s10, s14, s3
	v_lshl_or_b32 v3, s10, 9, v0
	global_load_b64 v[1:2], v[1:2], off
	v_cmp_gt_i32_e32 vcc_lo, s6, v3
	s_waitcnt vmcnt(0)
	v_mul_f64 v[1:2], v[1:2], v[1:2]
	s_and_saveexec_b32 s6, vcc_lo
	s_cbranch_execz .LBB629_3
; %bb.2:
	v_mad_i64_i32 v[4:5], null, v3, s7, 0
	s_delay_alu instid0(VALU_DEP_1) | instskip(NEXT) | instid1(VALU_DEP_1)
	v_lshlrev_b64 v[3:4], 3, v[4:5]
	v_add_co_u32 v3, vcc_lo, s8, v3
	s_delay_alu instid0(VALU_DEP_2)
	v_add_co_ci_u32_e32 v4, vcc_lo, s9, v4, vcc_lo
	global_load_b64 v[3:4], v[3:4], off
	s_waitcnt vmcnt(0)
	v_fma_f64 v[1:2], v[3:4], v[3:4], v[1:2]
.LBB629_3:
	s_or_b32 exec_lo, exec_lo, s6
.LBB629_4:
	s_delay_alu instid0(SALU_CYCLE_1) | instskip(SKIP_2) | instid1(VALU_DEP_2)
	s_or_b32 exec_lo, exec_lo, s2
	v_and_b32_e32 v10, 31, v0
	v_cmp_gt_u32_e32 vcc_lo, 32, v0
	v_lshlrev_b32_e32 v5, 3, v10
	s_and_saveexec_b32 s2, vcc_lo
	s_cbranch_execz .LBB629_6
; %bb.5:
	v_mov_b32_e32 v3, 0
	s_delay_alu instid0(VALU_DEP_1)
	v_mov_b32_e32 v4, v3
	ds_store_b64 v5, v[3:4]
.LBB629_6:
	s_or_b32 exec_lo, exec_lo, s2
	v_mbcnt_lo_u32_b32 v9, -1, 0
	s_mov_b32 s6, exec_lo
	s_waitcnt lgkmcnt(0)
	s_barrier
	buffer_gl0_inv
	v_cmp_gt_u32_e64 s2, 16, v9
	s_delay_alu instid0(VALU_DEP_1) | instskip(SKIP_1) | instid1(VALU_DEP_2)
	v_cndmask_b32_e64 v3, 0, 1, s2
	v_cmp_gt_u32_e64 s2, 24, v9
	v_lshlrev_b32_e32 v3, 4, v3
	s_delay_alu instid0(VALU_DEP_1)
	v_add_lshl_u32 v4, v3, v9, 2
	ds_bpermute_b32 v3, v4, v1
	ds_bpermute_b32 v4, v4, v2
	s_waitcnt lgkmcnt(0)
	v_add_f64 v[1:2], v[1:2], v[3:4]
	v_cndmask_b32_e64 v3, 0, 1, s2
	v_cmp_gt_u32_e64 s2, 28, v9
	s_delay_alu instid0(VALU_DEP_2) | instskip(NEXT) | instid1(VALU_DEP_1)
	v_lshlrev_b32_e32 v3, 3, v3
	v_add_lshl_u32 v6, v3, v9, 2
	ds_bpermute_b32 v3, v6, v1
	ds_bpermute_b32 v4, v6, v2
	s_waitcnt lgkmcnt(0)
	v_add_f64 v[1:2], v[1:2], v[3:4]
	v_cndmask_b32_e64 v3, 0, 1, s2
	v_cmp_gt_u32_e64 s2, 30, v9
	s_delay_alu instid0(VALU_DEP_2) | instskip(NEXT) | instid1(VALU_DEP_1)
	v_lshlrev_b32_e32 v3, 2, v3
	v_add_lshl_u32 v7, v3, v9, 2
	ds_bpermute_b32 v3, v7, v1
	ds_bpermute_b32 v4, v7, v2
	s_waitcnt lgkmcnt(0)
	v_add_f64 v[1:2], v[1:2], v[3:4]
	v_cndmask_b32_e64 v3, 0, 1, s2
	v_cmp_ne_u32_e64 s2, 31, v9
	s_delay_alu instid0(VALU_DEP_2) | instskip(NEXT) | instid1(VALU_DEP_1)
	v_lshlrev_b32_e32 v3, 1, v3
	v_add_lshl_u32 v8, v3, v9, 2
	ds_bpermute_b32 v3, v8, v1
	ds_bpermute_b32 v4, v8, v2
	s_waitcnt lgkmcnt(0)
	v_add_f64 v[1:2], v[1:2], v[3:4]
	v_add_co_ci_u32_e64 v3, s2, 0, v9, s2
	s_delay_alu instid0(VALU_DEP_1)
	v_lshlrev_b32_e32 v9, 2, v3
	ds_bpermute_b32 v3, v9, v1
	ds_bpermute_b32 v4, v9, v2
	v_cmpx_eq_u32_e32 0, v10
	s_cbranch_execz .LBB629_8
; %bb.7:
	s_waitcnt lgkmcnt(0)
	v_add_f64 v[1:2], v[1:2], v[3:4]
	v_lshrrev_b32_e32 v3, 2, v0
	s_delay_alu instid0(VALU_DEP_1)
	v_and_b32_e32 v3, 0x78, v3
	ds_store_b64 v3, v[1:2]
.LBB629_8:
	s_or_b32 exec_lo, exec_lo, s6
	v_mov_b32_e32 v1, 0
	v_mov_b32_e32 v2, 0
	s_mov_b32 s6, exec_lo
	s_waitcnt lgkmcnt(0)
	s_barrier
	buffer_gl0_inv
	v_cmpx_gt_u32_e32 16, v0
	s_cbranch_execz .LBB629_10
; %bb.9:
	ds_load_b64 v[1:2], v5
.LBB629_10:
	s_or_b32 exec_lo, exec_lo, s6
	s_and_saveexec_b32 s2, vcc_lo
	s_cbranch_execz .LBB629_12
; %bb.11:
	s_waitcnt lgkmcnt(0)
	ds_bpermute_b32 v3, v6, v1
	ds_bpermute_b32 v4, v6, v2
	s_waitcnt lgkmcnt(0)
	v_add_f64 v[1:2], v[1:2], v[3:4]
	ds_bpermute_b32 v3, v7, v1
	ds_bpermute_b32 v4, v7, v2
	s_waitcnt lgkmcnt(0)
	v_add_f64 v[1:2], v[1:2], v[3:4]
	;; [unrolled: 4-line block ×4, first 2 shown]
.LBB629_12:
	s_or_b32 exec_lo, exec_lo, s2
	s_delay_alu instid0(SALU_CYCLE_1)
	s_mov_b32 s2, exec_lo
	v_cmpx_eq_u32_e32 0, v0
	s_cbranch_execz .LBB629_18
; %bb.13:
	s_cmp_lg_u32 s3, 1
	s_cbranch_scc0 .LBB629_15
; %bb.14:
	s_load_b64 s[6:7], s[0:1], 0x30
	s_mul_hi_u32 s9, s3, s4
	s_mul_i32 s8, s3, s4
	s_mov_b32 s15, 0
	s_lshl_b64 s[2:3], s[8:9], 3
	s_waitcnt lgkmcnt(0)
	s_add_u32 s6, s6, s2
	s_addc_u32 s7, s7, s3
	s_lshl_b64 s[2:3], s[14:15], 3
	s_delay_alu instid0(SALU_CYCLE_1)
	s_add_u32 s2, s6, s2
	s_addc_u32 s3, s7, s3
	s_cbranch_execz .LBB629_16
	s_branch .LBB629_17
.LBB629_15:
                                        ; implicit-def: $sgpr2_sgpr3
.LBB629_16:
	s_load_b64 s[0:1], s[0:1], 0x38
	s_lshl_b64 s[2:3], s[4:5], 3
	s_waitcnt lgkmcnt(0)
	s_add_u32 s2, s0, s2
	s_addc_u32 s3, s1, s3
.LBB629_17:
	v_mov_b32_e32 v0, 0
	s_waitcnt lgkmcnt(0)
	global_store_b64 v0, v[1:2], s[2:3]
.LBB629_18:
	s_nop 0
	s_sendmsg sendmsg(MSG_DEALLOC_VGPRS)
	s_endpgm
	.section	.rodata,"a",@progbits
	.p2align	6, 0x0
	.amdhsa_kernel _ZL24rocblas_dot_kernel_magsqIiLb0ELi512ELi2ELb1EdPKddEviT5_lT_liPT6_PT4_
		.amdhsa_group_segment_fixed_size 256
		.amdhsa_private_segment_fixed_size 0
		.amdhsa_kernarg_size 320
		.amdhsa_user_sgpr_count 14
		.amdhsa_user_sgpr_dispatch_ptr 0
		.amdhsa_user_sgpr_queue_ptr 0
		.amdhsa_user_sgpr_kernarg_segment_ptr 1
		.amdhsa_user_sgpr_dispatch_id 0
		.amdhsa_user_sgpr_private_segment_size 0
		.amdhsa_wavefront_size32 1
		.amdhsa_uses_dynamic_stack 0
		.amdhsa_enable_private_segment 0
		.amdhsa_system_sgpr_workgroup_id_x 1
		.amdhsa_system_sgpr_workgroup_id_y 0
		.amdhsa_system_sgpr_workgroup_id_z 1
		.amdhsa_system_sgpr_workgroup_info 0
		.amdhsa_system_vgpr_workitem_id 0
		.amdhsa_next_free_vgpr 11
		.amdhsa_next_free_sgpr 16
		.amdhsa_reserve_vcc 1
		.amdhsa_float_round_mode_32 0
		.amdhsa_float_round_mode_16_64 0
		.amdhsa_float_denorm_mode_32 3
		.amdhsa_float_denorm_mode_16_64 3
		.amdhsa_dx10_clamp 1
		.amdhsa_ieee_mode 1
		.amdhsa_fp16_overflow 0
		.amdhsa_workgroup_processor_mode 1
		.amdhsa_memory_ordered 1
		.amdhsa_forward_progress 0
		.amdhsa_shared_vgpr_count 0
		.amdhsa_exception_fp_ieee_invalid_op 0
		.amdhsa_exception_fp_denorm_src 0
		.amdhsa_exception_fp_ieee_div_zero 0
		.amdhsa_exception_fp_ieee_overflow 0
		.amdhsa_exception_fp_ieee_underflow 0
		.amdhsa_exception_fp_ieee_inexact 0
		.amdhsa_exception_int_div_zero 0
	.end_amdhsa_kernel
	.section	.text._ZL24rocblas_dot_kernel_magsqIiLb0ELi512ELi2ELb1EdPKddEviT5_lT_liPT6_PT4_,"axG",@progbits,_ZL24rocblas_dot_kernel_magsqIiLb0ELi512ELi2ELb1EdPKddEviT5_lT_liPT6_PT4_,comdat
.Lfunc_end629:
	.size	_ZL24rocblas_dot_kernel_magsqIiLb0ELi512ELi2ELb1EdPKddEviT5_lT_liPT6_PT4_, .Lfunc_end629-_ZL24rocblas_dot_kernel_magsqIiLb0ELi512ELi2ELb1EdPKddEviT5_lT_liPT6_PT4_
                                        ; -- End function
	.section	.AMDGPU.csdata,"",@progbits
; Kernel info:
; codeLenInByte = 1004
; NumSgprs: 18
; NumVgprs: 11
; ScratchSize: 0
; MemoryBound: 0
; FloatMode: 240
; IeeeMode: 1
; LDSByteSize: 256 bytes/workgroup (compile time only)
; SGPRBlocks: 2
; VGPRBlocks: 1
; NumSGPRsForWavesPerEU: 18
; NumVGPRsForWavesPerEU: 11
; Occupancy: 16
; WaveLimiterHint : 0
; COMPUTE_PGM_RSRC2:SCRATCH_EN: 0
; COMPUTE_PGM_RSRC2:USER_SGPR: 14
; COMPUTE_PGM_RSRC2:TRAP_HANDLER: 0
; COMPUTE_PGM_RSRC2:TGID_X_EN: 1
; COMPUTE_PGM_RSRC2:TGID_Y_EN: 0
; COMPUTE_PGM_RSRC2:TGID_Z_EN: 1
; COMPUTE_PGM_RSRC2:TIDIG_COMP_CNT: 0
	.section	.text._ZL28rocblas_dot_batched_4_kernelIlLi32ELi4ELb1EddPKdEviT5_lT_lS2_lS3_liPT4_,"axG",@progbits,_ZL28rocblas_dot_batched_4_kernelIlLi32ELi4ELb1EddPKdEviT5_lT_lS2_lS3_liPT4_,comdat
	.globl	_ZL28rocblas_dot_batched_4_kernelIlLi32ELi4ELb1EddPKdEviT5_lT_lS2_lS3_liPT4_ ; -- Begin function _ZL28rocblas_dot_batched_4_kernelIlLi32ELi4ELb1EddPKdEviT5_lT_lS2_lS3_liPT4_
	.p2align	8
	.type	_ZL28rocblas_dot_batched_4_kernelIlLi32ELi4ELb1EddPKdEviT5_lT_lS2_lS3_liPT4_,@function
_ZL28rocblas_dot_batched_4_kernelIlLi32ELi4ELb1EddPKdEviT5_lT_lS2_lS3_liPT4_: ; @_ZL28rocblas_dot_batched_4_kernelIlLi32ELi4ELb1EddPKdEviT5_lT_lS2_lS3_liPT4_
; %bb.0:
	s_load_b32 s2, s[0:1], 0x48
	v_bfe_u32 v1, v0, 10, 10
	s_delay_alu instid0(VALU_DEP_1) | instskip(SKIP_1) | instid1(VALU_DEP_1)
	v_lshl_add_u32 v1, s15, 2, v1
	s_waitcnt lgkmcnt(0)
	v_cmp_gt_u32_e32 vcc_lo, s2, v1
	s_and_saveexec_b32 s2, vcc_lo
	s_cbranch_execz .LBB630_7
; %bb.1:
	s_clause 0x1
	s_load_b32 s16, s[0:1], 0x0
	s_load_b64 s[2:3], s[0:1], 0x50
	v_dual_mov_b32 v3, 0 :: v_dual_and_b32 v0, 0x3ff, v0
	v_mov_b32_e32 v2, 0
	v_mov_b32_e32 v4, 0
	s_mov_b32 s17, exec_lo
	s_waitcnt lgkmcnt(0)
	v_cmpx_gt_i32_e64 s16, v0
	s_cbranch_execz .LBB630_5
; %bb.2:
	s_clause 0x3
	s_load_b128 s[12:15], s[0:1], 0x10
	s_load_b256 s[4:11], s[0:1], 0x20
	s_load_b64 s[18:19], s[0:1], 0x40
	s_load_b64 s[0:1], s[0:1], 0x8
	s_waitcnt lgkmcnt(0)
	v_mad_u64_u32 v[5:6], null, s14, v0, 0
	v_mad_u64_u32 v[7:8], null, s4, v1, 0
	;; [unrolled: 1-line block ×4, first 2 shown]
	s_lshl_b64 s[12:13], s[12:13], 3
	s_delay_alu instid0(VALU_DEP_3) | instskip(NEXT) | instid1(VALU_DEP_3)
	v_mad_u64_u32 v[13:14], null, s15, v0, v[6:7]
	v_mad_u64_u32 v[14:15], null, s5, v1, v[8:9]
	s_delay_alu instid0(VALU_DEP_3) | instskip(SKIP_2) | instid1(VALU_DEP_4)
	v_mad_u64_u32 v[15:16], null, s11, v0, v[10:11]
	v_mov_b32_e32 v3, 0
	s_add_u32 s12, s0, s12
	v_mov_b32_e32 v6, v13
	v_mad_u64_u32 v[16:17], null, s19, v1, v[12:13]
	v_mov_b32_e32 v8, v14
	v_mov_b32_e32 v10, v15
	s_delay_alu instid0(VALU_DEP_4)
	v_lshlrev_b64 v[5:6], 3, v[5:6]
	s_addc_u32 s13, s1, s13
	s_lshl_b64 s[0:1], s[8:9], 3
	v_lshlrev_b64 v[7:8], 3, v[7:8]
	v_mov_b32_e32 v12, v16
	v_lshlrev_b64 v[9:10], 3, v[9:10]
	s_lshl_b64 s[4:5], s[14:15], 8
	s_add_u32 s0, s6, s0
	s_addc_u32 s1, s7, s1
	v_lshlrev_b64 v[11:12], 3, v[11:12]
	v_add_co_u32 v5, vcc_lo, v5, v7
	v_add_co_ci_u32_e32 v6, vcc_lo, v6, v8, vcc_lo
	v_mov_b32_e32 v4, 0
	s_delay_alu instid0(VALU_DEP_4)
	v_add_co_u32 v7, vcc_lo, v9, v11
	v_mov_b32_e32 v9, v0
	v_add_co_ci_u32_e32 v8, vcc_lo, v10, v12, vcc_lo
	v_add_co_u32 v5, vcc_lo, s12, v5
	v_add_co_ci_u32_e32 v6, vcc_lo, s13, v6, vcc_lo
	v_add_co_u32 v7, vcc_lo, s0, v7
	s_delay_alu instid0(VALU_DEP_4)
	v_add_co_ci_u32_e32 v8, vcc_lo, s1, v8, vcc_lo
	s_lshl_b64 s[6:7], s[10:11], 8
	s_mov_b32 s1, 0
	.p2align	6
.LBB630_3:                              ; =>This Inner Loop Header: Depth=1
	global_load_b64 v[10:11], v[5:6], off
	global_load_b64 v[12:13], v[7:8], off
	v_add_nc_u32_e32 v9, 32, v9
	v_add_co_u32 v5, vcc_lo, v5, s4
	v_add_co_ci_u32_e32 v6, vcc_lo, s5, v6, vcc_lo
	s_delay_alu instid0(VALU_DEP_3) | instskip(SKIP_1) | instid1(VALU_DEP_1)
	v_cmp_le_i32_e32 vcc_lo, s16, v9
	v_add_co_u32 v7, s0, v7, s6
	v_add_co_ci_u32_e64 v8, s0, s7, v8, s0
	s_or_b32 s1, vcc_lo, s1
	s_waitcnt vmcnt(0)
	v_fma_f64 v[3:4], v[10:11], v[12:13], v[3:4]
	s_and_not1_b32 exec_lo, exec_lo, s1
	s_cbranch_execnz .LBB630_3
; %bb.4:
	s_or_b32 exec_lo, exec_lo, s1
.LBB630_5:
	s_delay_alu instid0(SALU_CYCLE_1)
	s_or_b32 exec_lo, exec_lo, s17
	v_mbcnt_lo_u32_b32 v7, -1, 0
	s_barrier
	buffer_gl0_inv
	v_cmp_gt_u32_e32 vcc_lo, 16, v7
	v_cndmask_b32_e64 v5, 0, 1, vcc_lo
	v_cmp_gt_u32_e32 vcc_lo, 24, v7
	s_delay_alu instid0(VALU_DEP_2) | instskip(NEXT) | instid1(VALU_DEP_1)
	v_lshlrev_b32_e32 v5, 4, v5
	v_add_lshl_u32 v6, v5, v7, 2
	ds_bpermute_b32 v5, v6, v3
	ds_bpermute_b32 v6, v6, v4
	s_waitcnt lgkmcnt(0)
	v_add_f64 v[3:4], v[3:4], v[5:6]
	v_cndmask_b32_e64 v5, 0, 1, vcc_lo
	v_cmp_gt_u32_e32 vcc_lo, 28, v7
	s_delay_alu instid0(VALU_DEP_2) | instskip(NEXT) | instid1(VALU_DEP_1)
	v_lshlrev_b32_e32 v5, 3, v5
	v_add_lshl_u32 v6, v5, v7, 2
	ds_bpermute_b32 v5, v6, v3
	ds_bpermute_b32 v6, v6, v4
	s_waitcnt lgkmcnt(0)
	v_add_f64 v[3:4], v[3:4], v[5:6]
	;; [unrolled: 9-line block ×3, first 2 shown]
	v_cndmask_b32_e64 v5, 0, 1, vcc_lo
	v_cmp_ne_u32_e32 vcc_lo, 31, v7
	s_delay_alu instid0(VALU_DEP_2) | instskip(NEXT) | instid1(VALU_DEP_1)
	v_lshlrev_b32_e32 v5, 1, v5
	v_add_lshl_u32 v6, v5, v7, 2
	ds_bpermute_b32 v5, v6, v3
	ds_bpermute_b32 v6, v6, v4
	s_waitcnt lgkmcnt(0)
	v_add_f64 v[3:4], v[3:4], v[5:6]
	v_add_co_ci_u32_e32 v5, vcc_lo, 0, v7, vcc_lo
	v_cmp_eq_u32_e32 vcc_lo, 0, v0
	s_delay_alu instid0(VALU_DEP_2)
	v_lshlrev_b32_e32 v6, 2, v5
	ds_bpermute_b32 v5, v6, v3
	ds_bpermute_b32 v6, v6, v4
	s_and_b32 exec_lo, exec_lo, vcc_lo
	s_cbranch_execz .LBB630_7
; %bb.6:
	s_waitcnt lgkmcnt(0)
	v_add_f64 v[3:4], v[3:4], v[5:6]
	v_lshlrev_b64 v[0:1], 3, v[1:2]
	s_delay_alu instid0(VALU_DEP_1) | instskip(NEXT) | instid1(VALU_DEP_2)
	v_add_co_u32 v0, vcc_lo, s2, v0
	v_add_co_ci_u32_e32 v1, vcc_lo, s3, v1, vcc_lo
	global_store_b64 v[0:1], v[3:4], off
.LBB630_7:
	s_nop 0
	s_sendmsg sendmsg(MSG_DEALLOC_VGPRS)
	s_endpgm
	.section	.rodata,"a",@progbits
	.p2align	6, 0x0
	.amdhsa_kernel _ZL28rocblas_dot_batched_4_kernelIlLi32ELi4ELb1EddPKdEviT5_lT_lS2_lS3_liPT4_
		.amdhsa_group_segment_fixed_size 0
		.amdhsa_private_segment_fixed_size 0
		.amdhsa_kernarg_size 88
		.amdhsa_user_sgpr_count 15
		.amdhsa_user_sgpr_dispatch_ptr 0
		.amdhsa_user_sgpr_queue_ptr 0
		.amdhsa_user_sgpr_kernarg_segment_ptr 1
		.amdhsa_user_sgpr_dispatch_id 0
		.amdhsa_user_sgpr_private_segment_size 0
		.amdhsa_wavefront_size32 1
		.amdhsa_uses_dynamic_stack 0
		.amdhsa_enable_private_segment 0
		.amdhsa_system_sgpr_workgroup_id_x 1
		.amdhsa_system_sgpr_workgroup_id_y 0
		.amdhsa_system_sgpr_workgroup_id_z 0
		.amdhsa_system_sgpr_workgroup_info 0
		.amdhsa_system_vgpr_workitem_id 1
		.amdhsa_next_free_vgpr 18
		.amdhsa_next_free_sgpr 20
		.amdhsa_reserve_vcc 1
		.amdhsa_float_round_mode_32 0
		.amdhsa_float_round_mode_16_64 0
		.amdhsa_float_denorm_mode_32 3
		.amdhsa_float_denorm_mode_16_64 3
		.amdhsa_dx10_clamp 1
		.amdhsa_ieee_mode 1
		.amdhsa_fp16_overflow 0
		.amdhsa_workgroup_processor_mode 1
		.amdhsa_memory_ordered 1
		.amdhsa_forward_progress 0
		.amdhsa_shared_vgpr_count 0
		.amdhsa_exception_fp_ieee_invalid_op 0
		.amdhsa_exception_fp_denorm_src 0
		.amdhsa_exception_fp_ieee_div_zero 0
		.amdhsa_exception_fp_ieee_overflow 0
		.amdhsa_exception_fp_ieee_underflow 0
		.amdhsa_exception_fp_ieee_inexact 0
		.amdhsa_exception_int_div_zero 0
	.end_amdhsa_kernel
	.section	.text._ZL28rocblas_dot_batched_4_kernelIlLi32ELi4ELb1EddPKdEviT5_lT_lS2_lS3_liPT4_,"axG",@progbits,_ZL28rocblas_dot_batched_4_kernelIlLi32ELi4ELb1EddPKdEviT5_lT_lS2_lS3_liPT4_,comdat
.Lfunc_end630:
	.size	_ZL28rocblas_dot_batched_4_kernelIlLi32ELi4ELb1EddPKdEviT5_lT_lS2_lS3_liPT4_, .Lfunc_end630-_ZL28rocblas_dot_batched_4_kernelIlLi32ELi4ELb1EddPKdEviT5_lT_lS2_lS3_liPT4_
                                        ; -- End function
	.section	.AMDGPU.csdata,"",@progbits
; Kernel info:
; codeLenInByte = 808
; NumSgprs: 22
; NumVgprs: 18
; ScratchSize: 0
; MemoryBound: 0
; FloatMode: 240
; IeeeMode: 1
; LDSByteSize: 0 bytes/workgroup (compile time only)
; SGPRBlocks: 2
; VGPRBlocks: 2
; NumSGPRsForWavesPerEU: 22
; NumVGPRsForWavesPerEU: 18
; Occupancy: 16
; WaveLimiterHint : 0
; COMPUTE_PGM_RSRC2:SCRATCH_EN: 0
; COMPUTE_PGM_RSRC2:USER_SGPR: 15
; COMPUTE_PGM_RSRC2:TRAP_HANDLER: 0
; COMPUTE_PGM_RSRC2:TGID_X_EN: 1
; COMPUTE_PGM_RSRC2:TGID_Y_EN: 0
; COMPUTE_PGM_RSRC2:TGID_Z_EN: 0
; COMPUTE_PGM_RSRC2:TIDIG_COMP_CNT: 1
	.section	.text._ZL28rocblas_dot_batched_4_kernelIlLi64ELi4ELb1EddPKdEviT5_lT_lS2_lS3_liPT4_,"axG",@progbits,_ZL28rocblas_dot_batched_4_kernelIlLi64ELi4ELb1EddPKdEviT5_lT_lS2_lS3_liPT4_,comdat
	.globl	_ZL28rocblas_dot_batched_4_kernelIlLi64ELi4ELb1EddPKdEviT5_lT_lS2_lS3_liPT4_ ; -- Begin function _ZL28rocblas_dot_batched_4_kernelIlLi64ELi4ELb1EddPKdEviT5_lT_lS2_lS3_liPT4_
	.p2align	8
	.type	_ZL28rocblas_dot_batched_4_kernelIlLi64ELi4ELb1EddPKdEviT5_lT_lS2_lS3_liPT4_,@function
_ZL28rocblas_dot_batched_4_kernelIlLi64ELi4ELb1EddPKdEviT5_lT_lS2_lS3_liPT4_: ; @_ZL28rocblas_dot_batched_4_kernelIlLi64ELi4ELb1EddPKdEviT5_lT_lS2_lS3_liPT4_
; %bb.0:
	s_load_b32 s2, s[0:1], 0x48
	v_bfe_u32 v1, v0, 10, 10
	s_delay_alu instid0(VALU_DEP_1) | instskip(SKIP_1) | instid1(VALU_DEP_1)
	v_lshl_add_u32 v1, s15, 2, v1
	s_waitcnt lgkmcnt(0)
	v_cmp_gt_u32_e32 vcc_lo, s2, v1
	s_and_saveexec_b32 s2, vcc_lo
	s_cbranch_execz .LBB631_7
; %bb.1:
	s_clause 0x1
	s_load_b32 s16, s[0:1], 0x0
	s_load_b64 s[2:3], s[0:1], 0x50
	v_dual_mov_b32 v3, 0 :: v_dual_and_b32 v0, 0x3ff, v0
	v_mov_b32_e32 v2, 0
	v_mov_b32_e32 v4, 0
	s_mov_b32 s17, exec_lo
	s_waitcnt lgkmcnt(0)
	v_cmpx_gt_i32_e64 s16, v0
	s_cbranch_execz .LBB631_5
; %bb.2:
	s_clause 0x3
	s_load_b128 s[12:15], s[0:1], 0x10
	s_load_b256 s[4:11], s[0:1], 0x20
	s_load_b64 s[18:19], s[0:1], 0x40
	s_load_b64 s[0:1], s[0:1], 0x8
	s_waitcnt lgkmcnt(0)
	v_mad_u64_u32 v[5:6], null, s14, v0, 0
	v_mad_u64_u32 v[7:8], null, s4, v1, 0
	;; [unrolled: 1-line block ×4, first 2 shown]
	s_lshl_b64 s[12:13], s[12:13], 3
	s_delay_alu instid0(VALU_DEP_3) | instskip(NEXT) | instid1(VALU_DEP_3)
	v_mad_u64_u32 v[13:14], null, s15, v0, v[6:7]
	v_mad_u64_u32 v[14:15], null, s5, v1, v[8:9]
	s_delay_alu instid0(VALU_DEP_3) | instskip(SKIP_2) | instid1(VALU_DEP_4)
	v_mad_u64_u32 v[15:16], null, s11, v0, v[10:11]
	v_mov_b32_e32 v3, 0
	s_add_u32 s12, s0, s12
	v_mov_b32_e32 v6, v13
	v_mad_u64_u32 v[16:17], null, s19, v1, v[12:13]
	v_mov_b32_e32 v8, v14
	v_mov_b32_e32 v10, v15
	s_delay_alu instid0(VALU_DEP_4)
	v_lshlrev_b64 v[5:6], 3, v[5:6]
	s_addc_u32 s13, s1, s13
	s_lshl_b64 s[0:1], s[8:9], 3
	v_lshlrev_b64 v[7:8], 3, v[7:8]
	v_mov_b32_e32 v12, v16
	v_lshlrev_b64 v[9:10], 3, v[9:10]
	s_lshl_b64 s[4:5], s[14:15], 9
	s_add_u32 s0, s6, s0
	s_addc_u32 s1, s7, s1
	v_lshlrev_b64 v[11:12], 3, v[11:12]
	v_add_co_u32 v5, vcc_lo, v5, v7
	v_add_co_ci_u32_e32 v6, vcc_lo, v6, v8, vcc_lo
	v_mov_b32_e32 v4, 0
	s_delay_alu instid0(VALU_DEP_4)
	v_add_co_u32 v7, vcc_lo, v9, v11
	v_mov_b32_e32 v9, v0
	v_add_co_ci_u32_e32 v8, vcc_lo, v10, v12, vcc_lo
	v_add_co_u32 v5, vcc_lo, s12, v5
	v_add_co_ci_u32_e32 v6, vcc_lo, s13, v6, vcc_lo
	v_add_co_u32 v7, vcc_lo, s0, v7
	s_delay_alu instid0(VALU_DEP_4)
	v_add_co_ci_u32_e32 v8, vcc_lo, s1, v8, vcc_lo
	s_lshl_b64 s[6:7], s[10:11], 9
	s_mov_b32 s1, 0
	.p2align	6
.LBB631_3:                              ; =>This Inner Loop Header: Depth=1
	global_load_b64 v[10:11], v[5:6], off
	global_load_b64 v[12:13], v[7:8], off
	v_add_nc_u32_e32 v9, 64, v9
	v_add_co_u32 v5, vcc_lo, v5, s4
	v_add_co_ci_u32_e32 v6, vcc_lo, s5, v6, vcc_lo
	s_delay_alu instid0(VALU_DEP_3) | instskip(SKIP_1) | instid1(VALU_DEP_1)
	v_cmp_le_i32_e32 vcc_lo, s16, v9
	v_add_co_u32 v7, s0, v7, s6
	v_add_co_ci_u32_e64 v8, s0, s7, v8, s0
	s_or_b32 s1, vcc_lo, s1
	s_waitcnt vmcnt(0)
	v_fma_f64 v[3:4], v[10:11], v[12:13], v[3:4]
	s_and_not1_b32 exec_lo, exec_lo, s1
	s_cbranch_execnz .LBB631_3
; %bb.4:
	s_or_b32 exec_lo, exec_lo, s1
.LBB631_5:
	s_delay_alu instid0(SALU_CYCLE_1)
	s_or_b32 exec_lo, exec_lo, s17
	v_mbcnt_lo_u32_b32 v7, -1, 0
	s_barrier
	buffer_gl0_inv
	v_lshlrev_b32_e32 v6, 2, v7
	v_cmp_gt_u32_e32 vcc_lo, 16, v7
	ds_bpermute_b32 v5, v6, v3
	ds_bpermute_b32 v6, v6, v4
	s_waitcnt lgkmcnt(0)
	v_add_f64 v[3:4], v[3:4], v[5:6]
	v_cndmask_b32_e64 v5, 0, 1, vcc_lo
	v_cmp_gt_u32_e32 vcc_lo, 24, v7
	s_delay_alu instid0(VALU_DEP_2) | instskip(NEXT) | instid1(VALU_DEP_1)
	v_lshlrev_b32_e32 v5, 4, v5
	v_add_lshl_u32 v6, v5, v7, 2
	ds_bpermute_b32 v5, v6, v3
	ds_bpermute_b32 v6, v6, v4
	s_waitcnt lgkmcnt(0)
	v_add_f64 v[3:4], v[3:4], v[5:6]
	v_cndmask_b32_e64 v5, 0, 1, vcc_lo
	v_cmp_gt_u32_e32 vcc_lo, 28, v7
	s_delay_alu instid0(VALU_DEP_2) | instskip(NEXT) | instid1(VALU_DEP_1)
	v_lshlrev_b32_e32 v5, 3, v5
	v_add_lshl_u32 v6, v5, v7, 2
	;; [unrolled: 9-line block ×3, first 2 shown]
	ds_bpermute_b32 v5, v6, v3
	ds_bpermute_b32 v6, v6, v4
	s_waitcnt lgkmcnt(0)
	v_add_f64 v[3:4], v[3:4], v[5:6]
	v_cndmask_b32_e64 v5, 0, 1, vcc_lo
	v_cmp_ne_u32_e32 vcc_lo, 31, v7
	s_delay_alu instid0(VALU_DEP_2) | instskip(NEXT) | instid1(VALU_DEP_1)
	v_lshlrev_b32_e32 v5, 1, v5
	v_add_lshl_u32 v6, v5, v7, 2
	ds_bpermute_b32 v5, v6, v3
	ds_bpermute_b32 v6, v6, v4
	s_waitcnt lgkmcnt(0)
	v_add_f64 v[3:4], v[3:4], v[5:6]
	v_add_co_ci_u32_e32 v5, vcc_lo, 0, v7, vcc_lo
	v_cmp_eq_u32_e32 vcc_lo, 0, v0
	s_delay_alu instid0(VALU_DEP_2)
	v_lshlrev_b32_e32 v6, 2, v5
	ds_bpermute_b32 v5, v6, v3
	ds_bpermute_b32 v6, v6, v4
	s_and_b32 exec_lo, exec_lo, vcc_lo
	s_cbranch_execz .LBB631_7
; %bb.6:
	s_waitcnt lgkmcnt(0)
	v_add_f64 v[3:4], v[3:4], v[5:6]
	v_lshlrev_b64 v[0:1], 3, v[1:2]
	s_delay_alu instid0(VALU_DEP_1) | instskip(NEXT) | instid1(VALU_DEP_2)
	v_add_co_u32 v0, vcc_lo, s2, v0
	v_add_co_ci_u32_e32 v1, vcc_lo, s3, v1, vcc_lo
	global_store_b64 v[0:1], v[3:4], off
.LBB631_7:
	s_nop 0
	s_sendmsg sendmsg(MSG_DEALLOC_VGPRS)
	s_endpgm
	.section	.rodata,"a",@progbits
	.p2align	6, 0x0
	.amdhsa_kernel _ZL28rocblas_dot_batched_4_kernelIlLi64ELi4ELb1EddPKdEviT5_lT_lS2_lS3_liPT4_
		.amdhsa_group_segment_fixed_size 0
		.amdhsa_private_segment_fixed_size 0
		.amdhsa_kernarg_size 88
		.amdhsa_user_sgpr_count 15
		.amdhsa_user_sgpr_dispatch_ptr 0
		.amdhsa_user_sgpr_queue_ptr 0
		.amdhsa_user_sgpr_kernarg_segment_ptr 1
		.amdhsa_user_sgpr_dispatch_id 0
		.amdhsa_user_sgpr_private_segment_size 0
		.amdhsa_wavefront_size32 1
		.amdhsa_uses_dynamic_stack 0
		.amdhsa_enable_private_segment 0
		.amdhsa_system_sgpr_workgroup_id_x 1
		.amdhsa_system_sgpr_workgroup_id_y 0
		.amdhsa_system_sgpr_workgroup_id_z 0
		.amdhsa_system_sgpr_workgroup_info 0
		.amdhsa_system_vgpr_workitem_id 1
		.amdhsa_next_free_vgpr 18
		.amdhsa_next_free_sgpr 20
		.amdhsa_reserve_vcc 1
		.amdhsa_float_round_mode_32 0
		.amdhsa_float_round_mode_16_64 0
		.amdhsa_float_denorm_mode_32 3
		.amdhsa_float_denorm_mode_16_64 3
		.amdhsa_dx10_clamp 1
		.amdhsa_ieee_mode 1
		.amdhsa_fp16_overflow 0
		.amdhsa_workgroup_processor_mode 1
		.amdhsa_memory_ordered 1
		.amdhsa_forward_progress 0
		.amdhsa_shared_vgpr_count 0
		.amdhsa_exception_fp_ieee_invalid_op 0
		.amdhsa_exception_fp_denorm_src 0
		.amdhsa_exception_fp_ieee_div_zero 0
		.amdhsa_exception_fp_ieee_overflow 0
		.amdhsa_exception_fp_ieee_underflow 0
		.amdhsa_exception_fp_ieee_inexact 0
		.amdhsa_exception_int_div_zero 0
	.end_amdhsa_kernel
	.section	.text._ZL28rocblas_dot_batched_4_kernelIlLi64ELi4ELb1EddPKdEviT5_lT_lS2_lS3_liPT4_,"axG",@progbits,_ZL28rocblas_dot_batched_4_kernelIlLi64ELi4ELb1EddPKdEviT5_lT_lS2_lS3_liPT4_,comdat
.Lfunc_end631:
	.size	_ZL28rocblas_dot_batched_4_kernelIlLi64ELi4ELb1EddPKdEviT5_lT_lS2_lS3_liPT4_, .Lfunc_end631-_ZL28rocblas_dot_batched_4_kernelIlLi64ELi4ELb1EddPKdEviT5_lT_lS2_lS3_liPT4_
                                        ; -- End function
	.section	.AMDGPU.csdata,"",@progbits
; Kernel info:
; codeLenInByte = 840
; NumSgprs: 22
; NumVgprs: 18
; ScratchSize: 0
; MemoryBound: 0
; FloatMode: 240
; IeeeMode: 1
; LDSByteSize: 0 bytes/workgroup (compile time only)
; SGPRBlocks: 2
; VGPRBlocks: 2
; NumSGPRsForWavesPerEU: 22
; NumVGPRsForWavesPerEU: 18
; Occupancy: 16
; WaveLimiterHint : 0
; COMPUTE_PGM_RSRC2:SCRATCH_EN: 0
; COMPUTE_PGM_RSRC2:USER_SGPR: 15
; COMPUTE_PGM_RSRC2:TRAP_HANDLER: 0
; COMPUTE_PGM_RSRC2:TGID_X_EN: 1
; COMPUTE_PGM_RSRC2:TGID_Y_EN: 0
; COMPUTE_PGM_RSRC2:TGID_Z_EN: 0
; COMPUTE_PGM_RSRC2:TIDIG_COMP_CNT: 1
	.section	.text._ZL18rocblas_dot_kernelIlLb1ELi1024ELi32ELb1EdPKddEviT5_lT_lS2_lS3_liPT6_PT4_,"axG",@progbits,_ZL18rocblas_dot_kernelIlLb1ELi1024ELi32ELb1EdPKddEviT5_lT_lS2_lS3_liPT6_PT4_,comdat
	.globl	_ZL18rocblas_dot_kernelIlLb1ELi1024ELi32ELb1EdPKddEviT5_lT_lS2_lS3_liPT6_PT4_ ; -- Begin function _ZL18rocblas_dot_kernelIlLb1ELi1024ELi32ELb1EdPKddEviT5_lT_lS2_lS3_liPT6_PT4_
	.p2align	8
	.type	_ZL18rocblas_dot_kernelIlLb1ELi1024ELi32ELb1EdPKddEviT5_lT_lS2_lS3_liPT6_PT4_,@function
_ZL18rocblas_dot_kernelIlLb1ELi1024ELi32ELb1EdPKddEviT5_lT_lS2_lS3_liPT6_PT4_: ; @_ZL18rocblas_dot_kernelIlLb1ELi1024ELi32ELb1EdPKddEviT5_lT_lS2_lS3_liPT6_PT4_
; %bb.0:
	s_clause 0x1
	s_load_b32 s18, s[0:1], 0x0
	s_load_b64 s[2:3], s[0:1], 0x58
	v_mov_b32_e32 v1, 0
	v_mov_b32_e32 v2, 0
	s_mov_b32 s16, s15
	s_mov_b32 s17, 0
	s_mov_b32 s19, exec_lo
	s_waitcnt lgkmcnt(0)
	v_cmpx_gt_i32_e64 s18, v0
	s_cbranch_execz .LBB632_4
; %bb.1:
	s_clause 0x4
	s_load_b32 s24, s[0:1], 0x60
	s_load_b256 s[4:11], s[0:1], 0x20
	s_load_b128 s[12:15], s[0:1], 0x10
	s_load_b64 s[20:21], s[0:1], 0x40
	s_load_b64 s[22:23], s[0:1], 0x8
	s_waitcnt lgkmcnt(0)
	s_lshl_b32 s1, s24, 10
	v_mad_u64_u32 v[3:4], null, s10, v0, 0
	v_mad_u64_u32 v[1:2], null, s14, v0, 0
	s_mul_i32 s0, s5, s16
	s_mul_hi_u32 s5, s4, s16
	s_mul_i32 s4, s4, s16
	s_add_i32 s5, s5, s0
	s_lshl_b64 s[12:13], s[12:13], 3
	s_lshl_b64 s[4:5], s[4:5], 3
	s_delay_alu instid0(VALU_DEP_1)
	v_mad_u64_u32 v[5:6], null, s15, v0, v[2:3]
	s_add_u32 s12, s22, s12
	s_addc_u32 s13, s23, s13
	s_add_u32 s22, s12, s4
	s_addc_u32 s23, s13, s5
	s_ashr_i32 s27, s1, 31
	s_mul_hi_u32 s0, s14, s1
	s_delay_alu instid0(VALU_DEP_1)
	v_mad_u64_u32 v[8:9], null, s11, v0, v[4:5]
	v_mov_b32_e32 v2, v5
	s_mul_i32 s4, s14, s27
	s_mul_i32 s21, s21, s16
	s_mul_hi_u32 s25, s20, s16
	s_mul_i32 s26, s15, s1
	s_add_i32 s0, s0, s4
	s_delay_alu instid0(VALU_DEP_2)
	v_mov_b32_e32 v4, v8
	v_lshlrev_b64 v[1:2], 3, v[1:2]
	s_mul_i32 s20, s20, s16
	s_mul_i32 s24, s14, s1
	s_add_i32 s21, s25, s21
	s_add_i32 s25, s0, s26
	s_lshl_b64 s[8:9], s[8:9], 3
	v_lshlrev_b64 v[5:6], 3, v[3:4]
	s_lshl_b64 s[12:13], s[20:21], 3
	s_lshl_b64 s[4:5], s[24:25], 3
	s_add_u32 s0, s6, s8
	s_addc_u32 s6, s7, s9
	v_add_co_u32 v3, vcc_lo, s22, v1
	s_add_u32 s0, s0, s12
	s_mul_i32 s7, s10, s27
	s_mul_hi_u32 s8, s10, s1
	v_add_co_ci_u32_e32 v4, vcc_lo, s23, v2, vcc_lo
	v_mov_b32_e32 v1, 0
	s_addc_u32 s9, s6, s13
	v_add_co_u32 v5, vcc_lo, s0, v5
	s_add_i32 s6, s8, s7
	s_mul_i32 s7, s11, s1
	v_or_b32_e32 v7, s1, v0
	v_mov_b32_e32 v2, 0
	v_add_co_ci_u32_e32 v6, vcc_lo, s9, v6, vcc_lo
	s_add_i32 s7, s6, s7
	s_mul_i32 s6, s10, s1
	s_mov_b32 s8, s17
	s_lshl_b64 s[6:7], s[6:7], 3
	s_mov_b32 s9, s17
	.p2align	6
.LBB632_2:                              ; =>This Inner Loop Header: Depth=1
	global_load_b64 v[8:9], v[5:6], off
	global_load_b64 v[10:11], v[3:4], off
	s_add_i32 s10, s9, 1
	v_cmp_le_i32_e32 vcc_lo, s18, v7
	v_add_co_u32 v3, s0, v3, s4
	s_cmp_gt_u32 s9, 30
	v_add_co_ci_u32_e64 v4, s0, s5, v4, s0
	s_cselect_b32 s9, -1, 0
	v_add_co_u32 v5, s0, v5, s6
	s_or_b32 s9, s9, vcc_lo
	v_add_nc_u32_e32 v7, s1, v7
	v_add_co_ci_u32_e64 v6, vcc_lo, s7, v6, s0
	s_and_b32 s0, exec_lo, s9
	s_mov_b32 s9, s10
	s_or_b32 s8, s0, s8
	s_waitcnt vmcnt(0)
	v_fma_f64 v[1:2], v[8:9], v[10:11], v[1:2]
	s_and_not1_b32 exec_lo, exec_lo, s8
	s_cbranch_execnz .LBB632_2
; %bb.3:
	s_or_b32 exec_lo, exec_lo, s8
.LBB632_4:
	s_delay_alu instid0(SALU_CYCLE_1) | instskip(SKIP_2) | instid1(VALU_DEP_2)
	s_or_b32 exec_lo, exec_lo, s19
	v_and_b32_e32 v11, 31, v0
	v_cmp_gt_u32_e32 vcc_lo, 32, v0
	v_lshlrev_b32_e32 v5, 3, v11
	s_and_saveexec_b32 s0, vcc_lo
	s_cbranch_execz .LBB632_6
; %bb.5:
	v_mov_b32_e32 v3, 0
	s_delay_alu instid0(VALU_DEP_1)
	v_mov_b32_e32 v4, v3
	ds_store_b64 v5, v[3:4]
.LBB632_6:
	s_or_b32 exec_lo, exec_lo, s0
	v_mbcnt_lo_u32_b32 v10, -1, 0
	s_mov_b32 s1, exec_lo
	s_waitcnt lgkmcnt(0)
	s_barrier
	buffer_gl0_inv
	v_cmp_gt_u32_e64 s0, 16, v10
	s_delay_alu instid0(VALU_DEP_1) | instskip(SKIP_1) | instid1(VALU_DEP_2)
	v_cndmask_b32_e64 v3, 0, 1, s0
	v_cmp_gt_u32_e64 s0, 24, v10
	v_lshlrev_b32_e32 v3, 4, v3
	s_delay_alu instid0(VALU_DEP_1)
	v_add_lshl_u32 v6, v3, v10, 2
	ds_bpermute_b32 v3, v6, v1
	ds_bpermute_b32 v4, v6, v2
	s_waitcnt lgkmcnt(0)
	v_add_f64 v[1:2], v[1:2], v[3:4]
	v_cndmask_b32_e64 v3, 0, 1, s0
	v_cmp_gt_u32_e64 s0, 28, v10
	s_delay_alu instid0(VALU_DEP_2) | instskip(NEXT) | instid1(VALU_DEP_1)
	v_lshlrev_b32_e32 v3, 3, v3
	v_add_lshl_u32 v7, v3, v10, 2
	ds_bpermute_b32 v3, v7, v1
	ds_bpermute_b32 v4, v7, v2
	s_waitcnt lgkmcnt(0)
	v_add_f64 v[1:2], v[1:2], v[3:4]
	v_cndmask_b32_e64 v3, 0, 1, s0
	v_cmp_gt_u32_e64 s0, 30, v10
	s_delay_alu instid0(VALU_DEP_2) | instskip(NEXT) | instid1(VALU_DEP_1)
	v_lshlrev_b32_e32 v3, 2, v3
	v_add_lshl_u32 v8, v3, v10, 2
	ds_bpermute_b32 v3, v8, v1
	ds_bpermute_b32 v4, v8, v2
	s_waitcnt lgkmcnt(0)
	v_add_f64 v[1:2], v[1:2], v[3:4]
	v_cndmask_b32_e64 v3, 0, 1, s0
	v_cmp_ne_u32_e64 s0, 31, v10
	s_delay_alu instid0(VALU_DEP_2) | instskip(NEXT) | instid1(VALU_DEP_1)
	v_lshlrev_b32_e32 v3, 1, v3
	v_add_lshl_u32 v9, v3, v10, 2
	ds_bpermute_b32 v3, v9, v1
	ds_bpermute_b32 v4, v9, v2
	s_waitcnt lgkmcnt(0)
	v_add_f64 v[1:2], v[1:2], v[3:4]
	v_add_co_ci_u32_e64 v3, s0, 0, v10, s0
	s_delay_alu instid0(VALU_DEP_1)
	v_lshlrev_b32_e32 v10, 2, v3
	ds_bpermute_b32 v3, v10, v1
	ds_bpermute_b32 v4, v10, v2
	v_cmpx_eq_u32_e32 0, v11
	s_cbranch_execz .LBB632_8
; %bb.7:
	s_waitcnt lgkmcnt(0)
	v_add_f64 v[1:2], v[1:2], v[3:4]
	v_lshrrev_b32_e32 v3, 2, v0
	s_delay_alu instid0(VALU_DEP_1)
	v_and_b32_e32 v3, 0xf8, v3
	ds_store_b64 v3, v[1:2]
.LBB632_8:
	s_or_b32 exec_lo, exec_lo, s1
	v_mov_b32_e32 v1, 0
	v_mov_b32_e32 v2, 0
	s_waitcnt lgkmcnt(0)
	s_barrier
	buffer_gl0_inv
	s_and_saveexec_b32 s0, vcc_lo
	s_cbranch_execz .LBB632_10
; %bb.9:
	ds_load_b64 v[1:2], v5
.LBB632_10:
	s_or_b32 exec_lo, exec_lo, s0
	s_and_saveexec_b32 s0, vcc_lo
	s_cbranch_execz .LBB632_12
; %bb.11:
	s_waitcnt lgkmcnt(0)
	ds_bpermute_b32 v3, v6, v1
	ds_bpermute_b32 v4, v6, v2
	s_waitcnt lgkmcnt(0)
	v_add_f64 v[1:2], v[1:2], v[3:4]
	ds_bpermute_b32 v3, v7, v1
	ds_bpermute_b32 v4, v7, v2
	s_waitcnt lgkmcnt(0)
	v_add_f64 v[1:2], v[1:2], v[3:4]
	;; [unrolled: 4-line block ×5, first 2 shown]
.LBB632_12:
	s_or_b32 exec_lo, exec_lo, s0
	s_delay_alu instid0(SALU_CYCLE_1)
	s_mov_b32 s0, exec_lo
	v_cmpx_eq_u32_e32 0, v0
	s_cbranch_execz .LBB632_14
; %bb.13:
	s_lshl_b64 s[0:1], s[16:17], 3
	v_mov_b32_e32 v0, 0
	s_add_u32 s0, s2, s0
	s_addc_u32 s1, s3, s1
	s_waitcnt lgkmcnt(0)
	global_store_b64 v0, v[1:2], s[0:1]
.LBB632_14:
	s_nop 0
	s_sendmsg sendmsg(MSG_DEALLOC_VGPRS)
	s_endpgm
	.section	.rodata,"a",@progbits
	.p2align	6, 0x0
	.amdhsa_kernel _ZL18rocblas_dot_kernelIlLb1ELi1024ELi32ELb1EdPKddEviT5_lT_lS2_lS3_liPT6_PT4_
		.amdhsa_group_segment_fixed_size 256
		.amdhsa_private_segment_fixed_size 0
		.amdhsa_kernarg_size 352
		.amdhsa_user_sgpr_count 14
		.amdhsa_user_sgpr_dispatch_ptr 0
		.amdhsa_user_sgpr_queue_ptr 0
		.amdhsa_user_sgpr_kernarg_segment_ptr 1
		.amdhsa_user_sgpr_dispatch_id 0
		.amdhsa_user_sgpr_private_segment_size 0
		.amdhsa_wavefront_size32 1
		.amdhsa_uses_dynamic_stack 0
		.amdhsa_enable_private_segment 0
		.amdhsa_system_sgpr_workgroup_id_x 1
		.amdhsa_system_sgpr_workgroup_id_y 0
		.amdhsa_system_sgpr_workgroup_id_z 1
		.amdhsa_system_sgpr_workgroup_info 0
		.amdhsa_system_vgpr_workitem_id 0
		.amdhsa_next_free_vgpr 12
		.amdhsa_next_free_sgpr 28
		.amdhsa_reserve_vcc 1
		.amdhsa_float_round_mode_32 0
		.amdhsa_float_round_mode_16_64 0
		.amdhsa_float_denorm_mode_32 3
		.amdhsa_float_denorm_mode_16_64 3
		.amdhsa_dx10_clamp 1
		.amdhsa_ieee_mode 1
		.amdhsa_fp16_overflow 0
		.amdhsa_workgroup_processor_mode 1
		.amdhsa_memory_ordered 1
		.amdhsa_forward_progress 0
		.amdhsa_shared_vgpr_count 0
		.amdhsa_exception_fp_ieee_invalid_op 0
		.amdhsa_exception_fp_denorm_src 0
		.amdhsa_exception_fp_ieee_div_zero 0
		.amdhsa_exception_fp_ieee_overflow 0
		.amdhsa_exception_fp_ieee_underflow 0
		.amdhsa_exception_fp_ieee_inexact 0
		.amdhsa_exception_int_div_zero 0
	.end_amdhsa_kernel
	.section	.text._ZL18rocblas_dot_kernelIlLb1ELi1024ELi32ELb1EdPKddEviT5_lT_lS2_lS3_liPT6_PT4_,"axG",@progbits,_ZL18rocblas_dot_kernelIlLb1ELi1024ELi32ELb1EdPKddEviT5_lT_lS2_lS3_liPT6_PT4_,comdat
.Lfunc_end632:
	.size	_ZL18rocblas_dot_kernelIlLb1ELi1024ELi32ELb1EdPKddEviT5_lT_lS2_lS3_liPT6_PT4_, .Lfunc_end632-_ZL18rocblas_dot_kernelIlLb1ELi1024ELi32ELb1EdPKddEviT5_lT_lS2_lS3_liPT6_PT4_
                                        ; -- End function
	.section	.AMDGPU.csdata,"",@progbits
; Kernel info:
; codeLenInByte = 1136
; NumSgprs: 30
; NumVgprs: 12
; ScratchSize: 0
; MemoryBound: 0
; FloatMode: 240
; IeeeMode: 1
; LDSByteSize: 256 bytes/workgroup (compile time only)
; SGPRBlocks: 3
; VGPRBlocks: 1
; NumSGPRsForWavesPerEU: 30
; NumVGPRsForWavesPerEU: 12
; Occupancy: 16
; WaveLimiterHint : 0
; COMPUTE_PGM_RSRC2:SCRATCH_EN: 0
; COMPUTE_PGM_RSRC2:USER_SGPR: 14
; COMPUTE_PGM_RSRC2:TRAP_HANDLER: 0
; COMPUTE_PGM_RSRC2:TGID_X_EN: 1
; COMPUTE_PGM_RSRC2:TGID_Y_EN: 0
; COMPUTE_PGM_RSRC2:TGID_Z_EN: 1
; COMPUTE_PGM_RSRC2:TIDIG_COMP_CNT: 0
	.section	.text._ZL24rocblas_dot_kernel_magsqIlLb1ELi1024ELi32ELb1EdPKddEviT5_lT_liPT6_PT4_,"axG",@progbits,_ZL24rocblas_dot_kernel_magsqIlLb1ELi1024ELi32ELb1EdPKddEviT5_lT_liPT6_PT4_,comdat
	.globl	_ZL24rocblas_dot_kernel_magsqIlLb1ELi1024ELi32ELb1EdPKddEviT5_lT_liPT6_PT4_ ; -- Begin function _ZL24rocblas_dot_kernel_magsqIlLb1ELi1024ELi32ELb1EdPKddEviT5_lT_liPT6_PT4_
	.p2align	8
	.type	_ZL24rocblas_dot_kernel_magsqIlLb1ELi1024ELi32ELb1EdPKddEviT5_lT_liPT6_PT4_,@function
_ZL24rocblas_dot_kernel_magsqIlLb1ELi1024ELi32ELb1EdPKddEviT5_lT_liPT6_PT4_: ; @_ZL24rocblas_dot_kernel_magsqIlLb1ELi1024ELi32ELb1EdPKddEviT5_lT_liPT6_PT4_
; %bb.0:
	s_clause 0x1
	s_load_b32 s10, s[0:1], 0x0
	s_load_b64 s[2:3], s[0:1], 0x38
	v_mov_b32_e32 v1, 0
	v_mov_b32_e32 v2, 0
	s_mov_b32 s8, s15
	s_mov_b32 s9, 0
	s_mov_b32 s11, exec_lo
	s_waitcnt lgkmcnt(0)
	v_cmpx_gt_i32_e64 s10, v0
	s_cbranch_execz .LBB633_4
; %bb.1:
	s_clause 0x3
	s_load_b128 s[4:7], s[0:1], 0x10
	s_load_b32 s16, s[0:1], 0x40
	s_load_b64 s[12:13], s[0:1], 0x20
	s_load_b64 s[14:15], s[0:1], 0x8
	s_waitcnt lgkmcnt(0)
	v_mad_u64_u32 v[3:4], null, s6, v0, 0
	s_mul_i32 s0, s13, s8
	s_mul_hi_u32 s13, s12, s8
	s_mul_i32 s12, s12, s8
	s_add_i32 s13, s13, s0
	s_lshl_b64 s[4:5], s[4:5], 3
	s_lshl_b32 s1, s16, 10
	s_delay_alu instid0(VALU_DEP_1)
	v_mad_u64_u32 v[6:7], null, s7, v0, v[4:5]
	v_mov_b32_e32 v1, 0
	s_lshl_b64 s[12:13], s[12:13], 3
	s_add_u32 s0, s14, s4
	s_addc_u32 s4, s15, s5
	s_add_u32 s0, s0, s12
	s_addc_u32 s12, s4, s13
	s_delay_alu instid0(VALU_DEP_2)
	v_mov_b32_e32 v4, v6
	s_ashr_i32 s4, s1, 31
	s_mul_hi_u32 s5, s6, s1
	s_mul_i32 s4, s6, s4
	s_mul_i32 s7, s7, s1
	v_lshlrev_b64 v[3:4], 3, v[3:4]
	s_add_i32 s5, s5, s4
	v_mov_b32_e32 v2, 0
	v_or_b32_e32 v5, s1, v0
	s_mul_i32 s4, s6, s1
	s_add_i32 s5, s5, s7
	v_add_co_u32 v3, vcc_lo, s0, v3
	v_add_co_ci_u32_e32 v4, vcc_lo, s12, v4, vcc_lo
	s_lshl_b64 s[4:5], s[4:5], 3
	s_mov_b32 s6, s9
	s_mov_b32 s7, s9
	.p2align	6
.LBB633_2:                              ; =>This Inner Loop Header: Depth=1
	global_load_b64 v[6:7], v[3:4], off
	s_add_i32 s12, s7, 1
	v_cmp_le_i32_e32 vcc_lo, s10, v5
	s_cmp_gt_u32 s7, 30
	v_add_co_u32 v3, s0, v3, s4
	s_cselect_b32 s7, -1, 0
	v_add_nc_u32_e32 v5, s1, v5
	s_or_b32 s7, s7, vcc_lo
	v_add_co_ci_u32_e64 v4, vcc_lo, s5, v4, s0
	s_and_b32 s0, exec_lo, s7
	s_mov_b32 s7, s12
	s_or_b32 s6, s0, s6
	s_waitcnt vmcnt(0)
	v_fma_f64 v[1:2], v[6:7], v[6:7], v[1:2]
	s_and_not1_b32 exec_lo, exec_lo, s6
	s_cbranch_execnz .LBB633_2
; %bb.3:
	s_or_b32 exec_lo, exec_lo, s6
.LBB633_4:
	s_delay_alu instid0(SALU_CYCLE_1) | instskip(SKIP_2) | instid1(VALU_DEP_2)
	s_or_b32 exec_lo, exec_lo, s11
	v_and_b32_e32 v11, 31, v0
	v_cmp_gt_u32_e32 vcc_lo, 32, v0
	v_lshlrev_b32_e32 v5, 3, v11
	s_and_saveexec_b32 s0, vcc_lo
	s_cbranch_execz .LBB633_6
; %bb.5:
	v_mov_b32_e32 v3, 0
	s_delay_alu instid0(VALU_DEP_1)
	v_mov_b32_e32 v4, v3
	ds_store_b64 v5, v[3:4]
.LBB633_6:
	s_or_b32 exec_lo, exec_lo, s0
	v_mbcnt_lo_u32_b32 v10, -1, 0
	s_mov_b32 s1, exec_lo
	s_waitcnt lgkmcnt(0)
	s_barrier
	buffer_gl0_inv
	v_cmp_gt_u32_e64 s0, 16, v10
	s_delay_alu instid0(VALU_DEP_1) | instskip(SKIP_1) | instid1(VALU_DEP_2)
	v_cndmask_b32_e64 v3, 0, 1, s0
	v_cmp_gt_u32_e64 s0, 24, v10
	v_lshlrev_b32_e32 v3, 4, v3
	s_delay_alu instid0(VALU_DEP_1)
	v_add_lshl_u32 v6, v3, v10, 2
	ds_bpermute_b32 v3, v6, v1
	ds_bpermute_b32 v4, v6, v2
	s_waitcnt lgkmcnt(0)
	v_add_f64 v[1:2], v[1:2], v[3:4]
	v_cndmask_b32_e64 v3, 0, 1, s0
	v_cmp_gt_u32_e64 s0, 28, v10
	s_delay_alu instid0(VALU_DEP_2) | instskip(NEXT) | instid1(VALU_DEP_1)
	v_lshlrev_b32_e32 v3, 3, v3
	v_add_lshl_u32 v7, v3, v10, 2
	ds_bpermute_b32 v3, v7, v1
	ds_bpermute_b32 v4, v7, v2
	s_waitcnt lgkmcnt(0)
	v_add_f64 v[1:2], v[1:2], v[3:4]
	v_cndmask_b32_e64 v3, 0, 1, s0
	v_cmp_gt_u32_e64 s0, 30, v10
	s_delay_alu instid0(VALU_DEP_2) | instskip(NEXT) | instid1(VALU_DEP_1)
	v_lshlrev_b32_e32 v3, 2, v3
	v_add_lshl_u32 v8, v3, v10, 2
	ds_bpermute_b32 v3, v8, v1
	ds_bpermute_b32 v4, v8, v2
	s_waitcnt lgkmcnt(0)
	v_add_f64 v[1:2], v[1:2], v[3:4]
	v_cndmask_b32_e64 v3, 0, 1, s0
	v_cmp_ne_u32_e64 s0, 31, v10
	s_delay_alu instid0(VALU_DEP_2) | instskip(NEXT) | instid1(VALU_DEP_1)
	v_lshlrev_b32_e32 v3, 1, v3
	v_add_lshl_u32 v9, v3, v10, 2
	ds_bpermute_b32 v3, v9, v1
	ds_bpermute_b32 v4, v9, v2
	s_waitcnt lgkmcnt(0)
	v_add_f64 v[1:2], v[1:2], v[3:4]
	v_add_co_ci_u32_e64 v3, s0, 0, v10, s0
	s_delay_alu instid0(VALU_DEP_1)
	v_lshlrev_b32_e32 v10, 2, v3
	ds_bpermute_b32 v3, v10, v1
	ds_bpermute_b32 v4, v10, v2
	v_cmpx_eq_u32_e32 0, v11
	s_cbranch_execz .LBB633_8
; %bb.7:
	s_waitcnt lgkmcnt(0)
	v_add_f64 v[1:2], v[1:2], v[3:4]
	v_lshrrev_b32_e32 v3, 2, v0
	s_delay_alu instid0(VALU_DEP_1)
	v_and_b32_e32 v3, 0xf8, v3
	ds_store_b64 v3, v[1:2]
.LBB633_8:
	s_or_b32 exec_lo, exec_lo, s1
	v_mov_b32_e32 v1, 0
	v_mov_b32_e32 v2, 0
	s_waitcnt lgkmcnt(0)
	s_barrier
	buffer_gl0_inv
	s_and_saveexec_b32 s0, vcc_lo
	s_cbranch_execz .LBB633_10
; %bb.9:
	ds_load_b64 v[1:2], v5
.LBB633_10:
	s_or_b32 exec_lo, exec_lo, s0
	s_and_saveexec_b32 s0, vcc_lo
	s_cbranch_execz .LBB633_12
; %bb.11:
	s_waitcnt lgkmcnt(0)
	ds_bpermute_b32 v3, v6, v1
	ds_bpermute_b32 v4, v6, v2
	s_waitcnt lgkmcnt(0)
	v_add_f64 v[1:2], v[1:2], v[3:4]
	ds_bpermute_b32 v3, v7, v1
	ds_bpermute_b32 v4, v7, v2
	s_waitcnt lgkmcnt(0)
	v_add_f64 v[1:2], v[1:2], v[3:4]
	ds_bpermute_b32 v3, v8, v1
	ds_bpermute_b32 v4, v8, v2
	s_waitcnt lgkmcnt(0)
	v_add_f64 v[1:2], v[1:2], v[3:4]
	ds_bpermute_b32 v3, v9, v1
	ds_bpermute_b32 v4, v9, v2
	s_waitcnt lgkmcnt(0)
	v_add_f64 v[1:2], v[1:2], v[3:4]
	ds_bpermute_b32 v3, v10, v1
	ds_bpermute_b32 v4, v10, v2
	s_waitcnt lgkmcnt(0)
	v_add_f64 v[1:2], v[1:2], v[3:4]
.LBB633_12:
	s_or_b32 exec_lo, exec_lo, s0
	s_delay_alu instid0(SALU_CYCLE_1)
	s_mov_b32 s0, exec_lo
	v_cmpx_eq_u32_e32 0, v0
	s_cbranch_execz .LBB633_14
; %bb.13:
	s_lshl_b64 s[0:1], s[8:9], 3
	v_mov_b32_e32 v0, 0
	s_add_u32 s0, s2, s0
	s_addc_u32 s1, s3, s1
	s_waitcnt lgkmcnt(0)
	global_store_b64 v0, v[1:2], s[0:1]
.LBB633_14:
	s_nop 0
	s_sendmsg sendmsg(MSG_DEALLOC_VGPRS)
	s_endpgm
	.section	.rodata,"a",@progbits
	.p2align	6, 0x0
	.amdhsa_kernel _ZL24rocblas_dot_kernel_magsqIlLb1ELi1024ELi32ELb1EdPKddEviT5_lT_liPT6_PT4_
		.amdhsa_group_segment_fixed_size 256
		.amdhsa_private_segment_fixed_size 0
		.amdhsa_kernarg_size 320
		.amdhsa_user_sgpr_count 14
		.amdhsa_user_sgpr_dispatch_ptr 0
		.amdhsa_user_sgpr_queue_ptr 0
		.amdhsa_user_sgpr_kernarg_segment_ptr 1
		.amdhsa_user_sgpr_dispatch_id 0
		.amdhsa_user_sgpr_private_segment_size 0
		.amdhsa_wavefront_size32 1
		.amdhsa_uses_dynamic_stack 0
		.amdhsa_enable_private_segment 0
		.amdhsa_system_sgpr_workgroup_id_x 1
		.amdhsa_system_sgpr_workgroup_id_y 0
		.amdhsa_system_sgpr_workgroup_id_z 1
		.amdhsa_system_sgpr_workgroup_info 0
		.amdhsa_system_vgpr_workitem_id 0
		.amdhsa_next_free_vgpr 12
		.amdhsa_next_free_sgpr 17
		.amdhsa_reserve_vcc 1
		.amdhsa_float_round_mode_32 0
		.amdhsa_float_round_mode_16_64 0
		.amdhsa_float_denorm_mode_32 3
		.amdhsa_float_denorm_mode_16_64 3
		.amdhsa_dx10_clamp 1
		.amdhsa_ieee_mode 1
		.amdhsa_fp16_overflow 0
		.amdhsa_workgroup_processor_mode 1
		.amdhsa_memory_ordered 1
		.amdhsa_forward_progress 0
		.amdhsa_shared_vgpr_count 0
		.amdhsa_exception_fp_ieee_invalid_op 0
		.amdhsa_exception_fp_denorm_src 0
		.amdhsa_exception_fp_ieee_div_zero 0
		.amdhsa_exception_fp_ieee_overflow 0
		.amdhsa_exception_fp_ieee_underflow 0
		.amdhsa_exception_fp_ieee_inexact 0
		.amdhsa_exception_int_div_zero 0
	.end_amdhsa_kernel
	.section	.text._ZL24rocblas_dot_kernel_magsqIlLb1ELi1024ELi32ELb1EdPKddEviT5_lT_liPT6_PT4_,"axG",@progbits,_ZL24rocblas_dot_kernel_magsqIlLb1ELi1024ELi32ELb1EdPKddEviT5_lT_liPT6_PT4_,comdat
.Lfunc_end633:
	.size	_ZL24rocblas_dot_kernel_magsqIlLb1ELi1024ELi32ELb1EdPKddEviT5_lT_liPT6_PT4_, .Lfunc_end633-_ZL24rocblas_dot_kernel_magsqIlLb1ELi1024ELi32ELb1EdPKddEviT5_lT_liPT6_PT4_
                                        ; -- End function
	.section	.AMDGPU.csdata,"",@progbits
; Kernel info:
; codeLenInByte = 992
; NumSgprs: 19
; NumVgprs: 12
; ScratchSize: 0
; MemoryBound: 0
; FloatMode: 240
; IeeeMode: 1
; LDSByteSize: 256 bytes/workgroup (compile time only)
; SGPRBlocks: 2
; VGPRBlocks: 1
; NumSGPRsForWavesPerEU: 19
; NumVGPRsForWavesPerEU: 12
; Occupancy: 16
; WaveLimiterHint : 0
; COMPUTE_PGM_RSRC2:SCRATCH_EN: 0
; COMPUTE_PGM_RSRC2:USER_SGPR: 14
; COMPUTE_PGM_RSRC2:TRAP_HANDLER: 0
; COMPUTE_PGM_RSRC2:TGID_X_EN: 1
; COMPUTE_PGM_RSRC2:TGID_Y_EN: 0
; COMPUTE_PGM_RSRC2:TGID_Z_EN: 1
; COMPUTE_PGM_RSRC2:TIDIG_COMP_CNT: 0
	.section	.text._ZL18rocblas_dot_kernelIlLb0ELi512ELi2ELb1EdPKddEviT5_lT_lS2_lS3_liPT6_PT4_,"axG",@progbits,_ZL18rocblas_dot_kernelIlLb0ELi512ELi2ELb1EdPKddEviT5_lT_lS2_lS3_liPT6_PT4_,comdat
	.globl	_ZL18rocblas_dot_kernelIlLb0ELi512ELi2ELb1EdPKddEviT5_lT_lS2_lS3_liPT6_PT4_ ; -- Begin function _ZL18rocblas_dot_kernelIlLb0ELi512ELi2ELb1EdPKddEviT5_lT_lS2_lS3_liPT6_PT4_
	.p2align	8
	.type	_ZL18rocblas_dot_kernelIlLb0ELi512ELi2ELb1EdPKddEviT5_lT_lS2_lS3_liPT6_PT4_,@function
_ZL18rocblas_dot_kernelIlLb0ELi512ELi2ELb1EdPKddEviT5_lT_lS2_lS3_liPT6_PT4_: ; @_ZL18rocblas_dot_kernelIlLb0ELi512ELi2ELb1EdPKddEviT5_lT_lS2_lS3_liPT6_PT4_
; %bb.0:
	s_mov_b32 s12, s15
	s_clause 0x1
	s_load_b32 s15, s[0:1], 0x0
	s_load_b32 s3, s[0:1], 0x60
	v_mov_b32_e32 v1, 0
	v_lshl_or_b32 v3, s14, 9, v0
	v_mov_b32_e32 v2, 0
	s_mov_b32 s13, 0
	s_mov_b32 s2, exec_lo
	s_waitcnt lgkmcnt(0)
	v_cmpx_gt_i32_e64 s15, v3
	s_cbranch_execz .LBB634_4
; %bb.1:
	s_clause 0x3
	s_load_b256 s[4:11], s[0:1], 0x20
	s_load_b64 s[20:21], s[0:1], 0x40
	s_load_b128 s[16:19], s[0:1], 0x10
	s_load_b64 s[22:23], s[0:1], 0x8
	v_ashrrev_i32_e32 v4, 31, v3
	s_waitcnt lgkmcnt(0)
	s_mul_i32 s5, s12, s5
	s_mul_hi_u32 s24, s12, s4
	v_mul_lo_u32 v6, v3, s11
	v_mul_lo_u32 v7, v4, s10
	v_mad_u64_u32 v[1:2], null, v3, s10, 0
	s_mul_i32 s4, s12, s4
	s_add_i32 s5, s24, s5
	v_mul_lo_u32 v8, v3, s19
	v_mul_lo_u32 v9, v4, s18
	v_mad_u64_u32 v[4:5], null, v3, s18, 0
	s_lshl_b64 s[4:5], s[4:5], 3
	s_mul_i32 s21, s12, s21
	s_add_u32 s22, s22, s4
	s_addc_u32 s23, s23, s5
	s_lshl_b64 s[4:5], s[16:17], 3
	s_mul_hi_u32 s25, s12, s20
	v_add3_u32 v2, v2, v6, v7
	s_add_u32 s4, s22, s4
	s_mul_i32 s20, s12, s20
	s_addc_u32 s5, s23, s5
	s_add_i32 s21, s25, s21
	v_add3_u32 v5, v5, v8, v9
	s_lshl_b64 s[16:17], s[20:21], 3
	v_lshlrev_b64 v[1:2], 3, v[1:2]
	s_add_u32 s16, s6, s16
	s_addc_u32 s17, s7, s17
	s_lshl_b64 s[6:7], s[8:9], 3
	v_lshlrev_b64 v[3:4], 3, v[4:5]
	s_add_u32 s6, s16, s6
	s_addc_u32 s7, s17, s7
	v_add_co_u32 v1, vcc_lo, s6, v1
	v_add_co_ci_u32_e32 v2, vcc_lo, s7, v2, vcc_lo
	s_delay_alu instid0(VALU_DEP_3)
	v_add_co_u32 v3, vcc_lo, s4, v3
	v_add_co_ci_u32_e32 v4, vcc_lo, s5, v4, vcc_lo
	global_load_b64 v[1:2], v[1:2], off
	global_load_b64 v[3:4], v[3:4], off
	s_add_i32 s8, s14, s3
	s_waitcnt vmcnt(0)
	v_fma_f64 v[1:2], v[1:2], v[3:4], 0
	v_lshl_or_b32 v3, s8, 9, v0
	s_mov_b32 s8, exec_lo
	s_delay_alu instid0(VALU_DEP_1)
	v_cmpx_gt_i32_e64 s15, v3
	s_cbranch_execz .LBB634_3
; %bb.2:
	v_ashrrev_i32_e32 v8, 31, v3
	v_mul_lo_u32 v9, v3, s11
	v_mad_u64_u32 v[4:5], null, v3, s10, 0
	v_mul_lo_u32 v11, v3, s19
	s_delay_alu instid0(VALU_DEP_4) | instskip(SKIP_2) | instid1(VALU_DEP_3)
	v_mul_lo_u32 v10, v8, s10
	v_mad_u64_u32 v[6:7], null, v3, s18, 0
	v_mul_lo_u32 v3, v8, s18
	v_add3_u32 v5, v5, v9, v10
	s_delay_alu instid0(VALU_DEP_2) | instskip(NEXT) | instid1(VALU_DEP_2)
	v_add3_u32 v7, v7, v11, v3
	v_lshlrev_b64 v[3:4], 3, v[4:5]
	s_delay_alu instid0(VALU_DEP_2) | instskip(NEXT) | instid1(VALU_DEP_2)
	v_lshlrev_b64 v[5:6], 3, v[6:7]
	v_add_co_u32 v3, vcc_lo, s6, v3
	s_delay_alu instid0(VALU_DEP_3) | instskip(NEXT) | instid1(VALU_DEP_3)
	v_add_co_ci_u32_e32 v4, vcc_lo, s7, v4, vcc_lo
	v_add_co_u32 v5, vcc_lo, s4, v5
	s_delay_alu instid0(VALU_DEP_4)
	v_add_co_ci_u32_e32 v6, vcc_lo, s5, v6, vcc_lo
	global_load_b64 v[3:4], v[3:4], off
	global_load_b64 v[5:6], v[5:6], off
	s_waitcnt vmcnt(0)
	v_fma_f64 v[1:2], v[3:4], v[5:6], v[1:2]
.LBB634_3:
	s_or_b32 exec_lo, exec_lo, s8
.LBB634_4:
	s_delay_alu instid0(SALU_CYCLE_1) | instskip(SKIP_2) | instid1(VALU_DEP_2)
	s_or_b32 exec_lo, exec_lo, s2
	v_and_b32_e32 v10, 31, v0
	v_cmp_gt_u32_e32 vcc_lo, 32, v0
	v_lshlrev_b32_e32 v5, 3, v10
	s_and_saveexec_b32 s2, vcc_lo
	s_cbranch_execz .LBB634_6
; %bb.5:
	v_mov_b32_e32 v3, 0
	s_delay_alu instid0(VALU_DEP_1)
	v_mov_b32_e32 v4, v3
	ds_store_b64 v5, v[3:4]
.LBB634_6:
	s_or_b32 exec_lo, exec_lo, s2
	v_mbcnt_lo_u32_b32 v9, -1, 0
	s_mov_b32 s4, exec_lo
	s_waitcnt lgkmcnt(0)
	s_barrier
	buffer_gl0_inv
	v_cmp_gt_u32_e64 s2, 16, v9
	s_delay_alu instid0(VALU_DEP_1) | instskip(SKIP_1) | instid1(VALU_DEP_2)
	v_cndmask_b32_e64 v3, 0, 1, s2
	v_cmp_gt_u32_e64 s2, 24, v9
	v_lshlrev_b32_e32 v3, 4, v3
	s_delay_alu instid0(VALU_DEP_1)
	v_add_lshl_u32 v4, v3, v9, 2
	ds_bpermute_b32 v3, v4, v1
	ds_bpermute_b32 v4, v4, v2
	s_waitcnt lgkmcnt(0)
	v_add_f64 v[1:2], v[1:2], v[3:4]
	v_cndmask_b32_e64 v3, 0, 1, s2
	v_cmp_gt_u32_e64 s2, 28, v9
	s_delay_alu instid0(VALU_DEP_2) | instskip(NEXT) | instid1(VALU_DEP_1)
	v_lshlrev_b32_e32 v3, 3, v3
	v_add_lshl_u32 v6, v3, v9, 2
	ds_bpermute_b32 v3, v6, v1
	ds_bpermute_b32 v4, v6, v2
	s_waitcnt lgkmcnt(0)
	v_add_f64 v[1:2], v[1:2], v[3:4]
	v_cndmask_b32_e64 v3, 0, 1, s2
	v_cmp_gt_u32_e64 s2, 30, v9
	s_delay_alu instid0(VALU_DEP_2) | instskip(NEXT) | instid1(VALU_DEP_1)
	v_lshlrev_b32_e32 v3, 2, v3
	v_add_lshl_u32 v7, v3, v9, 2
	ds_bpermute_b32 v3, v7, v1
	ds_bpermute_b32 v4, v7, v2
	s_waitcnt lgkmcnt(0)
	v_add_f64 v[1:2], v[1:2], v[3:4]
	v_cndmask_b32_e64 v3, 0, 1, s2
	v_cmp_ne_u32_e64 s2, 31, v9
	s_delay_alu instid0(VALU_DEP_2) | instskip(NEXT) | instid1(VALU_DEP_1)
	v_lshlrev_b32_e32 v3, 1, v3
	v_add_lshl_u32 v8, v3, v9, 2
	ds_bpermute_b32 v3, v8, v1
	ds_bpermute_b32 v4, v8, v2
	s_waitcnt lgkmcnt(0)
	v_add_f64 v[1:2], v[1:2], v[3:4]
	v_add_co_ci_u32_e64 v3, s2, 0, v9, s2
	s_delay_alu instid0(VALU_DEP_1)
	v_lshlrev_b32_e32 v9, 2, v3
	ds_bpermute_b32 v3, v9, v1
	ds_bpermute_b32 v4, v9, v2
	v_cmpx_eq_u32_e32 0, v10
	s_cbranch_execz .LBB634_8
; %bb.7:
	s_waitcnt lgkmcnt(0)
	v_add_f64 v[1:2], v[1:2], v[3:4]
	v_lshrrev_b32_e32 v3, 2, v0
	s_delay_alu instid0(VALU_DEP_1)
	v_and_b32_e32 v3, 0x78, v3
	ds_store_b64 v3, v[1:2]
.LBB634_8:
	s_or_b32 exec_lo, exec_lo, s4
	v_mov_b32_e32 v1, 0
	v_mov_b32_e32 v2, 0
	s_mov_b32 s4, exec_lo
	s_waitcnt lgkmcnt(0)
	s_barrier
	buffer_gl0_inv
	v_cmpx_gt_u32_e32 16, v0
	s_cbranch_execz .LBB634_10
; %bb.9:
	ds_load_b64 v[1:2], v5
.LBB634_10:
	s_or_b32 exec_lo, exec_lo, s4
	s_and_saveexec_b32 s2, vcc_lo
	s_cbranch_execz .LBB634_12
; %bb.11:
	s_waitcnt lgkmcnt(0)
	ds_bpermute_b32 v3, v6, v1
	ds_bpermute_b32 v4, v6, v2
	s_waitcnt lgkmcnt(0)
	v_add_f64 v[1:2], v[1:2], v[3:4]
	ds_bpermute_b32 v3, v7, v1
	ds_bpermute_b32 v4, v7, v2
	s_waitcnt lgkmcnt(0)
	v_add_f64 v[1:2], v[1:2], v[3:4]
	;; [unrolled: 4-line block ×4, first 2 shown]
.LBB634_12:
	s_or_b32 exec_lo, exec_lo, s2
	s_delay_alu instid0(SALU_CYCLE_1)
	s_mov_b32 s2, exec_lo
	v_cmpx_eq_u32_e32 0, v0
	s_cbranch_execz .LBB634_18
; %bb.13:
	s_cmp_lg_u32 s3, 1
	s_cbranch_scc0 .LBB634_15
; %bb.14:
	s_load_b64 s[4:5], s[0:1], 0x50
	s_mul_hi_u32 s7, s3, s12
	s_mul_i32 s6, s3, s12
	s_mov_b32 s15, 0
	s_lshl_b64 s[2:3], s[6:7], 3
	s_waitcnt lgkmcnt(0)
	s_add_u32 s4, s4, s2
	s_addc_u32 s5, s5, s3
	s_lshl_b64 s[2:3], s[14:15], 3
	s_delay_alu instid0(SALU_CYCLE_1)
	s_add_u32 s2, s4, s2
	s_addc_u32 s3, s5, s3
	s_cbranch_execz .LBB634_16
	s_branch .LBB634_17
.LBB634_15:
                                        ; implicit-def: $sgpr2_sgpr3
.LBB634_16:
	s_load_b64 s[0:1], s[0:1], 0x58
	s_lshl_b64 s[2:3], s[12:13], 3
	s_waitcnt lgkmcnt(0)
	s_add_u32 s2, s0, s2
	s_addc_u32 s3, s1, s3
.LBB634_17:
	v_mov_b32_e32 v0, 0
	s_waitcnt lgkmcnt(0)
	global_store_b64 v0, v[1:2], s[2:3]
.LBB634_18:
	s_nop 0
	s_sendmsg sendmsg(MSG_DEALLOC_VGPRS)
	s_endpgm
	.section	.rodata,"a",@progbits
	.p2align	6, 0x0
	.amdhsa_kernel _ZL18rocblas_dot_kernelIlLb0ELi512ELi2ELb1EdPKddEviT5_lT_lS2_lS3_liPT6_PT4_
		.amdhsa_group_segment_fixed_size 256
		.amdhsa_private_segment_fixed_size 0
		.amdhsa_kernarg_size 352
		.amdhsa_user_sgpr_count 14
		.amdhsa_user_sgpr_dispatch_ptr 0
		.amdhsa_user_sgpr_queue_ptr 0
		.amdhsa_user_sgpr_kernarg_segment_ptr 1
		.amdhsa_user_sgpr_dispatch_id 0
		.amdhsa_user_sgpr_private_segment_size 0
		.amdhsa_wavefront_size32 1
		.amdhsa_uses_dynamic_stack 0
		.amdhsa_enable_private_segment 0
		.amdhsa_system_sgpr_workgroup_id_x 1
		.amdhsa_system_sgpr_workgroup_id_y 0
		.amdhsa_system_sgpr_workgroup_id_z 1
		.amdhsa_system_sgpr_workgroup_info 0
		.amdhsa_system_vgpr_workitem_id 0
		.amdhsa_next_free_vgpr 12
		.amdhsa_next_free_sgpr 26
		.amdhsa_reserve_vcc 1
		.amdhsa_float_round_mode_32 0
		.amdhsa_float_round_mode_16_64 0
		.amdhsa_float_denorm_mode_32 3
		.amdhsa_float_denorm_mode_16_64 3
		.amdhsa_dx10_clamp 1
		.amdhsa_ieee_mode 1
		.amdhsa_fp16_overflow 0
		.amdhsa_workgroup_processor_mode 1
		.amdhsa_memory_ordered 1
		.amdhsa_forward_progress 0
		.amdhsa_shared_vgpr_count 0
		.amdhsa_exception_fp_ieee_invalid_op 0
		.amdhsa_exception_fp_denorm_src 0
		.amdhsa_exception_fp_ieee_div_zero 0
		.amdhsa_exception_fp_ieee_overflow 0
		.amdhsa_exception_fp_ieee_underflow 0
		.amdhsa_exception_fp_ieee_inexact 0
		.amdhsa_exception_int_div_zero 0
	.end_amdhsa_kernel
	.section	.text._ZL18rocblas_dot_kernelIlLb0ELi512ELi2ELb1EdPKddEviT5_lT_lS2_lS3_liPT6_PT4_,"axG",@progbits,_ZL18rocblas_dot_kernelIlLb0ELi512ELi2ELb1EdPKddEviT5_lT_lS2_lS3_liPT6_PT4_,comdat
.Lfunc_end634:
	.size	_ZL18rocblas_dot_kernelIlLb0ELi512ELi2ELb1EdPKddEviT5_lT_lS2_lS3_liPT6_PT4_, .Lfunc_end634-_ZL18rocblas_dot_kernelIlLb0ELi512ELi2ELb1EdPKddEviT5_lT_lS2_lS3_liPT6_PT4_
                                        ; -- End function
	.section	.AMDGPU.csdata,"",@progbits
; Kernel info:
; codeLenInByte = 1240
; NumSgprs: 28
; NumVgprs: 12
; ScratchSize: 0
; MemoryBound: 0
; FloatMode: 240
; IeeeMode: 1
; LDSByteSize: 256 bytes/workgroup (compile time only)
; SGPRBlocks: 3
; VGPRBlocks: 1
; NumSGPRsForWavesPerEU: 28
; NumVGPRsForWavesPerEU: 12
; Occupancy: 16
; WaveLimiterHint : 0
; COMPUTE_PGM_RSRC2:SCRATCH_EN: 0
; COMPUTE_PGM_RSRC2:USER_SGPR: 14
; COMPUTE_PGM_RSRC2:TRAP_HANDLER: 0
; COMPUTE_PGM_RSRC2:TGID_X_EN: 1
; COMPUTE_PGM_RSRC2:TGID_Y_EN: 0
; COMPUTE_PGM_RSRC2:TGID_Z_EN: 1
; COMPUTE_PGM_RSRC2:TIDIG_COMP_CNT: 0
	.section	.text._ZL24rocblas_dot_kernel_magsqIlLb0ELi512ELi2ELb1EdPKddEviT5_lT_liPT6_PT4_,"axG",@progbits,_ZL24rocblas_dot_kernel_magsqIlLb0ELi512ELi2ELb1EdPKddEviT5_lT_liPT6_PT4_,comdat
	.globl	_ZL24rocblas_dot_kernel_magsqIlLb0ELi512ELi2ELb1EdPKddEviT5_lT_liPT6_PT4_ ; -- Begin function _ZL24rocblas_dot_kernel_magsqIlLb0ELi512ELi2ELb1EdPKddEviT5_lT_liPT6_PT4_
	.p2align	8
	.type	_ZL24rocblas_dot_kernel_magsqIlLb0ELi512ELi2ELb1EdPKddEviT5_lT_liPT6_PT4_,@function
_ZL24rocblas_dot_kernel_magsqIlLb0ELi512ELi2ELb1EdPKddEviT5_lT_liPT6_PT4_: ; @_ZL24rocblas_dot_kernel_magsqIlLb0ELi512ELi2ELb1EdPKddEviT5_lT_liPT6_PT4_
; %bb.0:
	s_clause 0x1
	s_load_b32 s10, s[0:1], 0x0
	s_load_b32 s3, s[0:1], 0x40
	v_mov_b32_e32 v1, 0
	v_lshl_or_b32 v3, s14, 9, v0
	v_mov_b32_e32 v2, 0
	s_mov_b32 s8, s15
	s_mov_b32 s9, 0
	s_mov_b32 s2, exec_lo
	s_waitcnt lgkmcnt(0)
	v_cmpx_gt_i32_e64 s10, v3
	s_cbranch_execz .LBB635_4
; %bb.1:
	s_clause 0x2
	s_load_b128 s[4:7], s[0:1], 0x10
	s_load_b64 s[12:13], s[0:1], 0x20
	s_load_b64 s[16:17], s[0:1], 0x8
	v_ashrrev_i32_e32 v1, 31, v3
	s_waitcnt lgkmcnt(0)
	v_mul_lo_u32 v4, v3, s7
	s_delay_alu instid0(VALU_DEP_2)
	v_mul_lo_u32 v5, v1, s6
	v_mad_u64_u32 v[1:2], null, v3, s6, 0
	s_mul_i32 s11, s8, s13
	s_mul_hi_u32 s13, s8, s12
	s_mul_i32 s12, s8, s12
	s_add_i32 s13, s13, s11
	s_delay_alu instid0(SALU_CYCLE_1) | instskip(NEXT) | instid1(VALU_DEP_1)
	s_lshl_b64 s[12:13], s[12:13], 3
	v_add3_u32 v2, v2, v4, v5
	s_add_u32 s11, s16, s12
	s_addc_u32 s12, s17, s13
	s_lshl_b64 s[4:5], s[4:5], 3
	s_delay_alu instid0(VALU_DEP_1) | instskip(SKIP_3) | instid1(SALU_CYCLE_1)
	v_lshlrev_b64 v[1:2], 3, v[1:2]
	s_add_u32 s4, s11, s4
	s_addc_u32 s5, s12, s5
	s_add_i32 s11, s14, s3
	v_lshl_or_b32 v3, s11, 9, v0
	s_delay_alu instid0(VALU_DEP_2) | instskip(SKIP_1) | instid1(VALU_DEP_3)
	v_add_co_u32 v1, vcc_lo, s4, v1
	v_add_co_ci_u32_e32 v2, vcc_lo, s5, v2, vcc_lo
	v_cmp_gt_i32_e32 vcc_lo, s10, v3
	global_load_b64 v[1:2], v[1:2], off
	s_waitcnt vmcnt(0)
	v_mul_f64 v[1:2], v[1:2], v[1:2]
	s_and_saveexec_b32 s10, vcc_lo
	s_cbranch_execz .LBB635_3
; %bb.2:
	v_ashrrev_i32_e32 v6, 31, v3
	v_mul_lo_u32 v7, v3, s7
	v_mad_u64_u32 v[4:5], null, v3, s6, 0
	s_delay_alu instid0(VALU_DEP_3) | instskip(NEXT) | instid1(VALU_DEP_1)
	v_mul_lo_u32 v3, v6, s6
	v_add3_u32 v5, v5, v7, v3
	s_delay_alu instid0(VALU_DEP_1) | instskip(NEXT) | instid1(VALU_DEP_1)
	v_lshlrev_b64 v[3:4], 3, v[4:5]
	v_add_co_u32 v3, vcc_lo, s4, v3
	s_delay_alu instid0(VALU_DEP_2)
	v_add_co_ci_u32_e32 v4, vcc_lo, s5, v4, vcc_lo
	global_load_b64 v[3:4], v[3:4], off
	s_waitcnt vmcnt(0)
	v_fma_f64 v[1:2], v[3:4], v[3:4], v[1:2]
.LBB635_3:
	s_or_b32 exec_lo, exec_lo, s10
.LBB635_4:
	s_delay_alu instid0(SALU_CYCLE_1) | instskip(SKIP_2) | instid1(VALU_DEP_2)
	s_or_b32 exec_lo, exec_lo, s2
	v_and_b32_e32 v10, 31, v0
	v_cmp_gt_u32_e32 vcc_lo, 32, v0
	v_lshlrev_b32_e32 v5, 3, v10
	s_and_saveexec_b32 s2, vcc_lo
	s_cbranch_execz .LBB635_6
; %bb.5:
	v_mov_b32_e32 v3, 0
	s_delay_alu instid0(VALU_DEP_1)
	v_mov_b32_e32 v4, v3
	ds_store_b64 v5, v[3:4]
.LBB635_6:
	s_or_b32 exec_lo, exec_lo, s2
	v_mbcnt_lo_u32_b32 v9, -1, 0
	s_mov_b32 s4, exec_lo
	s_waitcnt lgkmcnt(0)
	s_barrier
	buffer_gl0_inv
	v_cmp_gt_u32_e64 s2, 16, v9
	s_delay_alu instid0(VALU_DEP_1) | instskip(SKIP_1) | instid1(VALU_DEP_2)
	v_cndmask_b32_e64 v3, 0, 1, s2
	v_cmp_gt_u32_e64 s2, 24, v9
	v_lshlrev_b32_e32 v3, 4, v3
	s_delay_alu instid0(VALU_DEP_1)
	v_add_lshl_u32 v4, v3, v9, 2
	ds_bpermute_b32 v3, v4, v1
	ds_bpermute_b32 v4, v4, v2
	s_waitcnt lgkmcnt(0)
	v_add_f64 v[1:2], v[1:2], v[3:4]
	v_cndmask_b32_e64 v3, 0, 1, s2
	v_cmp_gt_u32_e64 s2, 28, v9
	s_delay_alu instid0(VALU_DEP_2) | instskip(NEXT) | instid1(VALU_DEP_1)
	v_lshlrev_b32_e32 v3, 3, v3
	v_add_lshl_u32 v6, v3, v9, 2
	ds_bpermute_b32 v3, v6, v1
	ds_bpermute_b32 v4, v6, v2
	s_waitcnt lgkmcnt(0)
	v_add_f64 v[1:2], v[1:2], v[3:4]
	v_cndmask_b32_e64 v3, 0, 1, s2
	v_cmp_gt_u32_e64 s2, 30, v9
	s_delay_alu instid0(VALU_DEP_2) | instskip(NEXT) | instid1(VALU_DEP_1)
	v_lshlrev_b32_e32 v3, 2, v3
	v_add_lshl_u32 v7, v3, v9, 2
	ds_bpermute_b32 v3, v7, v1
	ds_bpermute_b32 v4, v7, v2
	s_waitcnt lgkmcnt(0)
	v_add_f64 v[1:2], v[1:2], v[3:4]
	v_cndmask_b32_e64 v3, 0, 1, s2
	v_cmp_ne_u32_e64 s2, 31, v9
	s_delay_alu instid0(VALU_DEP_2) | instskip(NEXT) | instid1(VALU_DEP_1)
	v_lshlrev_b32_e32 v3, 1, v3
	v_add_lshl_u32 v8, v3, v9, 2
	ds_bpermute_b32 v3, v8, v1
	ds_bpermute_b32 v4, v8, v2
	s_waitcnt lgkmcnt(0)
	v_add_f64 v[1:2], v[1:2], v[3:4]
	v_add_co_ci_u32_e64 v3, s2, 0, v9, s2
	s_delay_alu instid0(VALU_DEP_1)
	v_lshlrev_b32_e32 v9, 2, v3
	ds_bpermute_b32 v3, v9, v1
	ds_bpermute_b32 v4, v9, v2
	v_cmpx_eq_u32_e32 0, v10
	s_cbranch_execz .LBB635_8
; %bb.7:
	s_waitcnt lgkmcnt(0)
	v_add_f64 v[1:2], v[1:2], v[3:4]
	v_lshrrev_b32_e32 v3, 2, v0
	s_delay_alu instid0(VALU_DEP_1)
	v_and_b32_e32 v3, 0x78, v3
	ds_store_b64 v3, v[1:2]
.LBB635_8:
	s_or_b32 exec_lo, exec_lo, s4
	v_mov_b32_e32 v1, 0
	v_mov_b32_e32 v2, 0
	s_mov_b32 s4, exec_lo
	s_waitcnt lgkmcnt(0)
	s_barrier
	buffer_gl0_inv
	v_cmpx_gt_u32_e32 16, v0
	s_cbranch_execz .LBB635_10
; %bb.9:
	ds_load_b64 v[1:2], v5
.LBB635_10:
	s_or_b32 exec_lo, exec_lo, s4
	s_and_saveexec_b32 s2, vcc_lo
	s_cbranch_execz .LBB635_12
; %bb.11:
	s_waitcnt lgkmcnt(0)
	ds_bpermute_b32 v3, v6, v1
	ds_bpermute_b32 v4, v6, v2
	s_waitcnt lgkmcnt(0)
	v_add_f64 v[1:2], v[1:2], v[3:4]
	ds_bpermute_b32 v3, v7, v1
	ds_bpermute_b32 v4, v7, v2
	s_waitcnt lgkmcnt(0)
	v_add_f64 v[1:2], v[1:2], v[3:4]
	;; [unrolled: 4-line block ×4, first 2 shown]
.LBB635_12:
	s_or_b32 exec_lo, exec_lo, s2
	s_delay_alu instid0(SALU_CYCLE_1)
	s_mov_b32 s2, exec_lo
	v_cmpx_eq_u32_e32 0, v0
	s_cbranch_execz .LBB635_18
; %bb.13:
	s_cmp_lg_u32 s3, 1
	s_cbranch_scc0 .LBB635_15
; %bb.14:
	s_load_b64 s[4:5], s[0:1], 0x30
	s_mul_hi_u32 s7, s3, s8
	s_mul_i32 s6, s3, s8
	s_mov_b32 s15, 0
	s_lshl_b64 s[2:3], s[6:7], 3
	s_waitcnt lgkmcnt(0)
	s_add_u32 s4, s4, s2
	s_addc_u32 s5, s5, s3
	s_lshl_b64 s[2:3], s[14:15], 3
	s_delay_alu instid0(SALU_CYCLE_1)
	s_add_u32 s2, s4, s2
	s_addc_u32 s3, s5, s3
	s_cbranch_execz .LBB635_16
	s_branch .LBB635_17
.LBB635_15:
                                        ; implicit-def: $sgpr2_sgpr3
.LBB635_16:
	s_load_b64 s[0:1], s[0:1], 0x38
	s_lshl_b64 s[2:3], s[8:9], 3
	s_waitcnt lgkmcnt(0)
	s_add_u32 s2, s0, s2
	s_addc_u32 s3, s1, s3
.LBB635_17:
	v_mov_b32_e32 v0, 0
	s_waitcnt lgkmcnt(0)
	global_store_b64 v0, v[1:2], s[2:3]
.LBB635_18:
	s_nop 0
	s_sendmsg sendmsg(MSG_DEALLOC_VGPRS)
	s_endpgm
	.section	.rodata,"a",@progbits
	.p2align	6, 0x0
	.amdhsa_kernel _ZL24rocblas_dot_kernel_magsqIlLb0ELi512ELi2ELb1EdPKddEviT5_lT_liPT6_PT4_
		.amdhsa_group_segment_fixed_size 256
		.amdhsa_private_segment_fixed_size 0
		.amdhsa_kernarg_size 320
		.amdhsa_user_sgpr_count 14
		.amdhsa_user_sgpr_dispatch_ptr 0
		.amdhsa_user_sgpr_queue_ptr 0
		.amdhsa_user_sgpr_kernarg_segment_ptr 1
		.amdhsa_user_sgpr_dispatch_id 0
		.amdhsa_user_sgpr_private_segment_size 0
		.amdhsa_wavefront_size32 1
		.amdhsa_uses_dynamic_stack 0
		.amdhsa_enable_private_segment 0
		.amdhsa_system_sgpr_workgroup_id_x 1
		.amdhsa_system_sgpr_workgroup_id_y 0
		.amdhsa_system_sgpr_workgroup_id_z 1
		.amdhsa_system_sgpr_workgroup_info 0
		.amdhsa_system_vgpr_workitem_id 0
		.amdhsa_next_free_vgpr 11
		.amdhsa_next_free_sgpr 18
		.amdhsa_reserve_vcc 1
		.amdhsa_float_round_mode_32 0
		.amdhsa_float_round_mode_16_64 0
		.amdhsa_float_denorm_mode_32 3
		.amdhsa_float_denorm_mode_16_64 3
		.amdhsa_dx10_clamp 1
		.amdhsa_ieee_mode 1
		.amdhsa_fp16_overflow 0
		.amdhsa_workgroup_processor_mode 1
		.amdhsa_memory_ordered 1
		.amdhsa_forward_progress 0
		.amdhsa_shared_vgpr_count 0
		.amdhsa_exception_fp_ieee_invalid_op 0
		.amdhsa_exception_fp_denorm_src 0
		.amdhsa_exception_fp_ieee_div_zero 0
		.amdhsa_exception_fp_ieee_overflow 0
		.amdhsa_exception_fp_ieee_underflow 0
		.amdhsa_exception_fp_ieee_inexact 0
		.amdhsa_exception_int_div_zero 0
	.end_amdhsa_kernel
	.section	.text._ZL24rocblas_dot_kernel_magsqIlLb0ELi512ELi2ELb1EdPKddEviT5_lT_liPT6_PT4_,"axG",@progbits,_ZL24rocblas_dot_kernel_magsqIlLb0ELi512ELi2ELb1EdPKddEviT5_lT_liPT6_PT4_,comdat
.Lfunc_end635:
	.size	_ZL24rocblas_dot_kernel_magsqIlLb0ELi512ELi2ELb1EdPKddEviT5_lT_liPT6_PT4_, .Lfunc_end635-_ZL24rocblas_dot_kernel_magsqIlLb0ELi512ELi2ELb1EdPKddEviT5_lT_liPT6_PT4_
                                        ; -- End function
	.section	.AMDGPU.csdata,"",@progbits
; Kernel info:
; codeLenInByte = 1068
; NumSgprs: 20
; NumVgprs: 11
; ScratchSize: 0
; MemoryBound: 0
; FloatMode: 240
; IeeeMode: 1
; LDSByteSize: 256 bytes/workgroup (compile time only)
; SGPRBlocks: 2
; VGPRBlocks: 1
; NumSGPRsForWavesPerEU: 20
; NumVGPRsForWavesPerEU: 11
; Occupancy: 16
; WaveLimiterHint : 0
; COMPUTE_PGM_RSRC2:SCRATCH_EN: 0
; COMPUTE_PGM_RSRC2:USER_SGPR: 14
; COMPUTE_PGM_RSRC2:TRAP_HANDLER: 0
; COMPUTE_PGM_RSRC2:TGID_X_EN: 1
; COMPUTE_PGM_RSRC2:TGID_Y_EN: 0
; COMPUTE_PGM_RSRC2:TGID_Z_EN: 1
; COMPUTE_PGM_RSRC2:TIDIG_COMP_CNT: 0
	.section	.text._ZL28rocblas_dot_batched_4_kernelIiLi32ELi4ELb1EddPKPKdEviT5_lT_lS4_lS5_liPT4_,"axG",@progbits,_ZL28rocblas_dot_batched_4_kernelIiLi32ELi4ELb1EddPKPKdEviT5_lT_lS4_lS5_liPT4_,comdat
	.globl	_ZL28rocblas_dot_batched_4_kernelIiLi32ELi4ELb1EddPKPKdEviT5_lT_lS4_lS5_liPT4_ ; -- Begin function _ZL28rocblas_dot_batched_4_kernelIiLi32ELi4ELb1EddPKPKdEviT5_lT_lS4_lS5_liPT4_
	.p2align	8
	.type	_ZL28rocblas_dot_batched_4_kernelIiLi32ELi4ELb1EddPKPKdEviT5_lT_lS4_lS5_liPT4_,@function
_ZL28rocblas_dot_batched_4_kernelIiLi32ELi4ELb1EddPKPKdEviT5_lT_lS4_lS5_liPT4_: ; @_ZL28rocblas_dot_batched_4_kernelIiLi32ELi4ELb1EddPKPKdEviT5_lT_lS4_lS5_liPT4_
; %bb.0:
	s_load_b32 s2, s[0:1], 0x48
	v_bfe_u32 v1, v0, 10, 10
	s_delay_alu instid0(VALU_DEP_1) | instskip(SKIP_1) | instid1(VALU_DEP_1)
	v_lshl_add_u32 v4, s15, 2, v1
	s_waitcnt lgkmcnt(0)
	v_cmp_gt_u32_e32 vcc_lo, s2, v4
	s_and_saveexec_b32 s2, vcc_lo
	s_cbranch_execz .LBB636_7
; %bb.1:
	s_clause 0x1
	s_load_b32 s12, s[0:1], 0x0
	s_load_b64 s[2:3], s[0:1], 0x50
	v_dual_mov_b32 v5, 0 :: v_dual_and_b32 v8, 0x3ff, v0
	v_mov_b32_e32 v2, 0
	v_mov_b32_e32 v3, 0
	s_mov_b32 s13, exec_lo
	s_delay_alu instid0(VALU_DEP_3)
	v_lshlrev_b64 v[0:1], 3, v[4:5]
	s_waitcnt lgkmcnt(0)
	v_cmpx_gt_i32_e64 s12, v8
	s_cbranch_execz .LBB636_5
; %bb.2:
	s_clause 0x3
	s_load_b128 s[4:7], s[0:1], 0x8
	s_load_b128 s[8:11], s[0:1], 0x28
	s_load_b32 s14, s[0:1], 0x18
	s_load_b32 s0, s[0:1], 0x38
	s_waitcnt lgkmcnt(0)
	v_add_co_u32 v2, vcc_lo, s4, v0
	v_add_co_ci_u32_e32 v3, vcc_lo, s5, v1, vcc_lo
	v_add_co_u32 v4, vcc_lo, s8, v0
	v_add_co_ci_u32_e32 v5, vcc_lo, s9, v1, vcc_lo
	v_mad_i64_i32 v[11:12], null, s0, v8, 0
	global_load_b64 v[6:7], v[2:3], off
	global_load_b64 v[9:10], v[4:5], off
	v_mad_i64_i32 v[4:5], null, s14, v8, 0
	s_lshl_b64 s[4:5], s[6:7], 3
	s_lshl_b64 s[6:7], s[10:11], 3
	v_mov_b32_e32 v2, 0
	v_lshlrev_b64 v[11:12], 3, v[11:12]
	v_mov_b32_e32 v3, 0
	s_ashr_i32 s15, s14, 31
	s_delay_alu instid0(VALU_DEP_4) | instskip(SKIP_1) | instid1(VALU_DEP_1)
	v_lshlrev_b64 v[4:5], 3, v[4:5]
	s_ashr_i32 s1, s0, 31
	v_add_co_u32 v4, vcc_lo, v4, s4
	s_delay_alu instid0(VALU_DEP_2)
	v_add_co_ci_u32_e32 v5, vcc_lo, s5, v5, vcc_lo
	v_add_co_u32 v11, vcc_lo, v11, s6
	v_add_co_ci_u32_e32 v12, vcc_lo, s7, v12, vcc_lo
	s_lshl_b64 s[4:5], s[14:15], 8
	s_lshl_b64 s[6:7], s[0:1], 8
	s_mov_b32 s1, 0
	s_waitcnt vmcnt(1)
	v_add_co_u32 v4, vcc_lo, v6, v4
	v_add_co_ci_u32_e32 v5, vcc_lo, v7, v5, vcc_lo
	s_waitcnt vmcnt(0)
	v_add_co_u32 v6, vcc_lo, v9, v11
	v_mov_b32_e32 v9, v8
	v_add_co_ci_u32_e32 v7, vcc_lo, v10, v12, vcc_lo
	.p2align	6
.LBB636_3:                              ; =>This Inner Loop Header: Depth=1
	global_load_b64 v[10:11], v[4:5], off
	global_load_b64 v[12:13], v[6:7], off
	v_add_nc_u32_e32 v9, 32, v9
	v_add_co_u32 v4, vcc_lo, v4, s4
	v_add_co_ci_u32_e32 v5, vcc_lo, s5, v5, vcc_lo
	s_delay_alu instid0(VALU_DEP_3) | instskip(SKIP_1) | instid1(VALU_DEP_1)
	v_cmp_le_i32_e32 vcc_lo, s12, v9
	v_add_co_u32 v6, s0, v6, s6
	v_add_co_ci_u32_e64 v7, s0, s7, v7, s0
	s_or_b32 s1, vcc_lo, s1
	s_waitcnt vmcnt(0)
	v_fma_f64 v[2:3], v[10:11], v[12:13], v[2:3]
	s_and_not1_b32 exec_lo, exec_lo, s1
	s_cbranch_execnz .LBB636_3
; %bb.4:
	s_or_b32 exec_lo, exec_lo, s1
.LBB636_5:
	s_delay_alu instid0(SALU_CYCLE_1)
	s_or_b32 exec_lo, exec_lo, s13
	v_mbcnt_lo_u32_b32 v6, -1, 0
	s_barrier
	buffer_gl0_inv
	v_cmp_gt_u32_e32 vcc_lo, 16, v6
	v_cndmask_b32_e64 v4, 0, 1, vcc_lo
	v_cmp_gt_u32_e32 vcc_lo, 24, v6
	s_delay_alu instid0(VALU_DEP_2) | instskip(NEXT) | instid1(VALU_DEP_1)
	v_lshlrev_b32_e32 v4, 4, v4
	v_add_lshl_u32 v5, v4, v6, 2
	ds_bpermute_b32 v4, v5, v2
	ds_bpermute_b32 v5, v5, v3
	s_waitcnt lgkmcnt(0)
	v_add_f64 v[2:3], v[2:3], v[4:5]
	v_cndmask_b32_e64 v4, 0, 1, vcc_lo
	v_cmp_gt_u32_e32 vcc_lo, 28, v6
	s_delay_alu instid0(VALU_DEP_2) | instskip(NEXT) | instid1(VALU_DEP_1)
	v_lshlrev_b32_e32 v4, 3, v4
	v_add_lshl_u32 v5, v4, v6, 2
	ds_bpermute_b32 v4, v5, v2
	ds_bpermute_b32 v5, v5, v3
	s_waitcnt lgkmcnt(0)
	v_add_f64 v[2:3], v[2:3], v[4:5]
	;; [unrolled: 9-line block ×3, first 2 shown]
	v_cndmask_b32_e64 v4, 0, 1, vcc_lo
	v_cmp_ne_u32_e32 vcc_lo, 31, v6
	s_delay_alu instid0(VALU_DEP_2) | instskip(NEXT) | instid1(VALU_DEP_1)
	v_lshlrev_b32_e32 v4, 1, v4
	v_add_lshl_u32 v5, v4, v6, 2
	ds_bpermute_b32 v4, v5, v2
	ds_bpermute_b32 v5, v5, v3
	s_waitcnt lgkmcnt(0)
	v_add_f64 v[2:3], v[2:3], v[4:5]
	v_add_co_ci_u32_e32 v4, vcc_lo, 0, v6, vcc_lo
	v_cmp_eq_u32_e32 vcc_lo, 0, v8
	s_delay_alu instid0(VALU_DEP_2)
	v_lshlrev_b32_e32 v5, 2, v4
	ds_bpermute_b32 v4, v5, v2
	ds_bpermute_b32 v5, v5, v3
	s_and_b32 exec_lo, exec_lo, vcc_lo
	s_cbranch_execz .LBB636_7
; %bb.6:
	s_waitcnt lgkmcnt(0)
	v_add_f64 v[2:3], v[2:3], v[4:5]
	v_add_co_u32 v0, vcc_lo, s2, v0
	v_add_co_ci_u32_e32 v1, vcc_lo, s3, v1, vcc_lo
	global_store_b64 v[0:1], v[2:3], off
.LBB636_7:
	s_nop 0
	s_sendmsg sendmsg(MSG_DEALLOC_VGPRS)
	s_endpgm
	.section	.rodata,"a",@progbits
	.p2align	6, 0x0
	.amdhsa_kernel _ZL28rocblas_dot_batched_4_kernelIiLi32ELi4ELb1EddPKPKdEviT5_lT_lS4_lS5_liPT4_
		.amdhsa_group_segment_fixed_size 0
		.amdhsa_private_segment_fixed_size 0
		.amdhsa_kernarg_size 88
		.amdhsa_user_sgpr_count 15
		.amdhsa_user_sgpr_dispatch_ptr 0
		.amdhsa_user_sgpr_queue_ptr 0
		.amdhsa_user_sgpr_kernarg_segment_ptr 1
		.amdhsa_user_sgpr_dispatch_id 0
		.amdhsa_user_sgpr_private_segment_size 0
		.amdhsa_wavefront_size32 1
		.amdhsa_uses_dynamic_stack 0
		.amdhsa_enable_private_segment 0
		.amdhsa_system_sgpr_workgroup_id_x 1
		.amdhsa_system_sgpr_workgroup_id_y 0
		.amdhsa_system_sgpr_workgroup_id_z 0
		.amdhsa_system_sgpr_workgroup_info 0
		.amdhsa_system_vgpr_workitem_id 1
		.amdhsa_next_free_vgpr 14
		.amdhsa_next_free_sgpr 16
		.amdhsa_reserve_vcc 1
		.amdhsa_float_round_mode_32 0
		.amdhsa_float_round_mode_16_64 0
		.amdhsa_float_denorm_mode_32 3
		.amdhsa_float_denorm_mode_16_64 3
		.amdhsa_dx10_clamp 1
		.amdhsa_ieee_mode 1
		.amdhsa_fp16_overflow 0
		.amdhsa_workgroup_processor_mode 1
		.amdhsa_memory_ordered 1
		.amdhsa_forward_progress 0
		.amdhsa_shared_vgpr_count 0
		.amdhsa_exception_fp_ieee_invalid_op 0
		.amdhsa_exception_fp_denorm_src 0
		.amdhsa_exception_fp_ieee_div_zero 0
		.amdhsa_exception_fp_ieee_overflow 0
		.amdhsa_exception_fp_ieee_underflow 0
		.amdhsa_exception_fp_ieee_inexact 0
		.amdhsa_exception_int_div_zero 0
	.end_amdhsa_kernel
	.section	.text._ZL28rocblas_dot_batched_4_kernelIiLi32ELi4ELb1EddPKPKdEviT5_lT_lS4_lS5_liPT4_,"axG",@progbits,_ZL28rocblas_dot_batched_4_kernelIiLi32ELi4ELb1EddPKPKdEviT5_lT_lS4_lS5_liPT4_,comdat
.Lfunc_end636:
	.size	_ZL28rocblas_dot_batched_4_kernelIiLi32ELi4ELb1EddPKPKdEviT5_lT_lS4_lS5_liPT4_, .Lfunc_end636-_ZL28rocblas_dot_batched_4_kernelIiLi32ELi4ELb1EddPKPKdEviT5_lT_lS4_lS5_liPT4_
                                        ; -- End function
	.section	.AMDGPU.csdata,"",@progbits
; Kernel info:
; codeLenInByte = 756
; NumSgprs: 18
; NumVgprs: 14
; ScratchSize: 0
; MemoryBound: 0
; FloatMode: 240
; IeeeMode: 1
; LDSByteSize: 0 bytes/workgroup (compile time only)
; SGPRBlocks: 2
; VGPRBlocks: 1
; NumSGPRsForWavesPerEU: 18
; NumVGPRsForWavesPerEU: 14
; Occupancy: 16
; WaveLimiterHint : 0
; COMPUTE_PGM_RSRC2:SCRATCH_EN: 0
; COMPUTE_PGM_RSRC2:USER_SGPR: 15
; COMPUTE_PGM_RSRC2:TRAP_HANDLER: 0
; COMPUTE_PGM_RSRC2:TGID_X_EN: 1
; COMPUTE_PGM_RSRC2:TGID_Y_EN: 0
; COMPUTE_PGM_RSRC2:TGID_Z_EN: 0
; COMPUTE_PGM_RSRC2:TIDIG_COMP_CNT: 1
	.section	.text._ZL28rocblas_dot_batched_4_kernelIiLi64ELi4ELb1EddPKPKdEviT5_lT_lS4_lS5_liPT4_,"axG",@progbits,_ZL28rocblas_dot_batched_4_kernelIiLi64ELi4ELb1EddPKPKdEviT5_lT_lS4_lS5_liPT4_,comdat
	.globl	_ZL28rocblas_dot_batched_4_kernelIiLi64ELi4ELb1EddPKPKdEviT5_lT_lS4_lS5_liPT4_ ; -- Begin function _ZL28rocblas_dot_batched_4_kernelIiLi64ELi4ELb1EddPKPKdEviT5_lT_lS4_lS5_liPT4_
	.p2align	8
	.type	_ZL28rocblas_dot_batched_4_kernelIiLi64ELi4ELb1EddPKPKdEviT5_lT_lS4_lS5_liPT4_,@function
_ZL28rocblas_dot_batched_4_kernelIiLi64ELi4ELb1EddPKPKdEviT5_lT_lS4_lS5_liPT4_: ; @_ZL28rocblas_dot_batched_4_kernelIiLi64ELi4ELb1EddPKPKdEviT5_lT_lS4_lS5_liPT4_
; %bb.0:
	s_load_b32 s2, s[0:1], 0x48
	v_bfe_u32 v1, v0, 10, 10
	s_delay_alu instid0(VALU_DEP_1) | instskip(SKIP_1) | instid1(VALU_DEP_1)
	v_lshl_add_u32 v4, s15, 2, v1
	s_waitcnt lgkmcnt(0)
	v_cmp_gt_u32_e32 vcc_lo, s2, v4
	s_and_saveexec_b32 s2, vcc_lo
	s_cbranch_execz .LBB637_7
; %bb.1:
	s_clause 0x1
	s_load_b32 s12, s[0:1], 0x0
	s_load_b64 s[2:3], s[0:1], 0x50
	v_dual_mov_b32 v5, 0 :: v_dual_and_b32 v8, 0x3ff, v0
	v_mov_b32_e32 v2, 0
	v_mov_b32_e32 v3, 0
	s_mov_b32 s13, exec_lo
	s_delay_alu instid0(VALU_DEP_3)
	v_lshlrev_b64 v[0:1], 3, v[4:5]
	s_waitcnt lgkmcnt(0)
	v_cmpx_gt_i32_e64 s12, v8
	s_cbranch_execz .LBB637_5
; %bb.2:
	s_clause 0x3
	s_load_b128 s[4:7], s[0:1], 0x8
	s_load_b128 s[8:11], s[0:1], 0x28
	s_load_b32 s14, s[0:1], 0x18
	s_load_b32 s0, s[0:1], 0x38
	s_waitcnt lgkmcnt(0)
	v_add_co_u32 v2, vcc_lo, s4, v0
	v_add_co_ci_u32_e32 v3, vcc_lo, s5, v1, vcc_lo
	v_add_co_u32 v4, vcc_lo, s8, v0
	v_add_co_ci_u32_e32 v5, vcc_lo, s9, v1, vcc_lo
	v_mad_i64_i32 v[11:12], null, s0, v8, 0
	global_load_b64 v[6:7], v[2:3], off
	global_load_b64 v[9:10], v[4:5], off
	v_mad_i64_i32 v[4:5], null, s14, v8, 0
	s_lshl_b64 s[4:5], s[6:7], 3
	s_lshl_b64 s[6:7], s[10:11], 3
	v_mov_b32_e32 v2, 0
	v_lshlrev_b64 v[11:12], 3, v[11:12]
	v_mov_b32_e32 v3, 0
	s_ashr_i32 s15, s14, 31
	s_delay_alu instid0(VALU_DEP_4) | instskip(SKIP_1) | instid1(VALU_DEP_1)
	v_lshlrev_b64 v[4:5], 3, v[4:5]
	s_ashr_i32 s1, s0, 31
	v_add_co_u32 v4, vcc_lo, v4, s4
	s_delay_alu instid0(VALU_DEP_2)
	v_add_co_ci_u32_e32 v5, vcc_lo, s5, v5, vcc_lo
	v_add_co_u32 v11, vcc_lo, v11, s6
	v_add_co_ci_u32_e32 v12, vcc_lo, s7, v12, vcc_lo
	s_lshl_b64 s[4:5], s[14:15], 9
	s_lshl_b64 s[6:7], s[0:1], 9
	s_mov_b32 s1, 0
	s_waitcnt vmcnt(1)
	v_add_co_u32 v4, vcc_lo, v6, v4
	v_add_co_ci_u32_e32 v5, vcc_lo, v7, v5, vcc_lo
	s_waitcnt vmcnt(0)
	v_add_co_u32 v6, vcc_lo, v9, v11
	v_mov_b32_e32 v9, v8
	v_add_co_ci_u32_e32 v7, vcc_lo, v10, v12, vcc_lo
	.p2align	6
.LBB637_3:                              ; =>This Inner Loop Header: Depth=1
	global_load_b64 v[10:11], v[4:5], off
	global_load_b64 v[12:13], v[6:7], off
	v_add_nc_u32_e32 v9, 64, v9
	v_add_co_u32 v4, vcc_lo, v4, s4
	v_add_co_ci_u32_e32 v5, vcc_lo, s5, v5, vcc_lo
	s_delay_alu instid0(VALU_DEP_3) | instskip(SKIP_1) | instid1(VALU_DEP_1)
	v_cmp_le_i32_e32 vcc_lo, s12, v9
	v_add_co_u32 v6, s0, v6, s6
	v_add_co_ci_u32_e64 v7, s0, s7, v7, s0
	s_or_b32 s1, vcc_lo, s1
	s_waitcnt vmcnt(0)
	v_fma_f64 v[2:3], v[10:11], v[12:13], v[2:3]
	s_and_not1_b32 exec_lo, exec_lo, s1
	s_cbranch_execnz .LBB637_3
; %bb.4:
	s_or_b32 exec_lo, exec_lo, s1
.LBB637_5:
	s_delay_alu instid0(SALU_CYCLE_1)
	s_or_b32 exec_lo, exec_lo, s13
	v_mbcnt_lo_u32_b32 v6, -1, 0
	s_barrier
	buffer_gl0_inv
	v_lshlrev_b32_e32 v5, 2, v6
	v_cmp_gt_u32_e32 vcc_lo, 16, v6
	ds_bpermute_b32 v4, v5, v2
	ds_bpermute_b32 v5, v5, v3
	s_waitcnt lgkmcnt(0)
	v_add_f64 v[2:3], v[2:3], v[4:5]
	v_cndmask_b32_e64 v4, 0, 1, vcc_lo
	v_cmp_gt_u32_e32 vcc_lo, 24, v6
	s_delay_alu instid0(VALU_DEP_2) | instskip(NEXT) | instid1(VALU_DEP_1)
	v_lshlrev_b32_e32 v4, 4, v4
	v_add_lshl_u32 v5, v4, v6, 2
	ds_bpermute_b32 v4, v5, v2
	ds_bpermute_b32 v5, v5, v3
	s_waitcnt lgkmcnt(0)
	v_add_f64 v[2:3], v[2:3], v[4:5]
	v_cndmask_b32_e64 v4, 0, 1, vcc_lo
	v_cmp_gt_u32_e32 vcc_lo, 28, v6
	s_delay_alu instid0(VALU_DEP_2) | instskip(NEXT) | instid1(VALU_DEP_1)
	v_lshlrev_b32_e32 v4, 3, v4
	v_add_lshl_u32 v5, v4, v6, 2
	ds_bpermute_b32 v4, v5, v2
	ds_bpermute_b32 v5, v5, v3
	s_waitcnt lgkmcnt(0)
	v_add_f64 v[2:3], v[2:3], v[4:5]
	v_cndmask_b32_e64 v4, 0, 1, vcc_lo
	v_cmp_gt_u32_e32 vcc_lo, 30, v6
	s_delay_alu instid0(VALU_DEP_2) | instskip(NEXT) | instid1(VALU_DEP_1)
	v_lshlrev_b32_e32 v4, 2, v4
	v_add_lshl_u32 v5, v4, v6, 2
	ds_bpermute_b32 v4, v5, v2
	ds_bpermute_b32 v5, v5, v3
	s_waitcnt lgkmcnt(0)
	v_add_f64 v[2:3], v[2:3], v[4:5]
	v_cndmask_b32_e64 v4, 0, 1, vcc_lo
	v_cmp_ne_u32_e32 vcc_lo, 31, v6
	s_delay_alu instid0(VALU_DEP_2) | instskip(NEXT) | instid1(VALU_DEP_1)
	v_lshlrev_b32_e32 v4, 1, v4
	v_add_lshl_u32 v5, v4, v6, 2
	ds_bpermute_b32 v4, v5, v2
	ds_bpermute_b32 v5, v5, v3
	s_waitcnt lgkmcnt(0)
	v_add_f64 v[2:3], v[2:3], v[4:5]
	v_add_co_ci_u32_e32 v4, vcc_lo, 0, v6, vcc_lo
	v_cmp_eq_u32_e32 vcc_lo, 0, v8
	s_delay_alu instid0(VALU_DEP_2)
	v_lshlrev_b32_e32 v5, 2, v4
	ds_bpermute_b32 v4, v5, v2
	ds_bpermute_b32 v5, v5, v3
	s_and_b32 exec_lo, exec_lo, vcc_lo
	s_cbranch_execz .LBB637_7
; %bb.6:
	s_waitcnt lgkmcnt(0)
	v_add_f64 v[2:3], v[2:3], v[4:5]
	v_add_co_u32 v0, vcc_lo, s2, v0
	v_add_co_ci_u32_e32 v1, vcc_lo, s3, v1, vcc_lo
	global_store_b64 v[0:1], v[2:3], off
.LBB637_7:
	s_nop 0
	s_sendmsg sendmsg(MSG_DEALLOC_VGPRS)
	s_endpgm
	.section	.rodata,"a",@progbits
	.p2align	6, 0x0
	.amdhsa_kernel _ZL28rocblas_dot_batched_4_kernelIiLi64ELi4ELb1EddPKPKdEviT5_lT_lS4_lS5_liPT4_
		.amdhsa_group_segment_fixed_size 0
		.amdhsa_private_segment_fixed_size 0
		.amdhsa_kernarg_size 88
		.amdhsa_user_sgpr_count 15
		.amdhsa_user_sgpr_dispatch_ptr 0
		.amdhsa_user_sgpr_queue_ptr 0
		.amdhsa_user_sgpr_kernarg_segment_ptr 1
		.amdhsa_user_sgpr_dispatch_id 0
		.amdhsa_user_sgpr_private_segment_size 0
		.amdhsa_wavefront_size32 1
		.amdhsa_uses_dynamic_stack 0
		.amdhsa_enable_private_segment 0
		.amdhsa_system_sgpr_workgroup_id_x 1
		.amdhsa_system_sgpr_workgroup_id_y 0
		.amdhsa_system_sgpr_workgroup_id_z 0
		.amdhsa_system_sgpr_workgroup_info 0
		.amdhsa_system_vgpr_workitem_id 1
		.amdhsa_next_free_vgpr 14
		.amdhsa_next_free_sgpr 16
		.amdhsa_reserve_vcc 1
		.amdhsa_float_round_mode_32 0
		.amdhsa_float_round_mode_16_64 0
		.amdhsa_float_denorm_mode_32 3
		.amdhsa_float_denorm_mode_16_64 3
		.amdhsa_dx10_clamp 1
		.amdhsa_ieee_mode 1
		.amdhsa_fp16_overflow 0
		.amdhsa_workgroup_processor_mode 1
		.amdhsa_memory_ordered 1
		.amdhsa_forward_progress 0
		.amdhsa_shared_vgpr_count 0
		.amdhsa_exception_fp_ieee_invalid_op 0
		.amdhsa_exception_fp_denorm_src 0
		.amdhsa_exception_fp_ieee_div_zero 0
		.amdhsa_exception_fp_ieee_overflow 0
		.amdhsa_exception_fp_ieee_underflow 0
		.amdhsa_exception_fp_ieee_inexact 0
		.amdhsa_exception_int_div_zero 0
	.end_amdhsa_kernel
	.section	.text._ZL28rocblas_dot_batched_4_kernelIiLi64ELi4ELb1EddPKPKdEviT5_lT_lS4_lS5_liPT4_,"axG",@progbits,_ZL28rocblas_dot_batched_4_kernelIiLi64ELi4ELb1EddPKPKdEviT5_lT_lS4_lS5_liPT4_,comdat
.Lfunc_end637:
	.size	_ZL28rocblas_dot_batched_4_kernelIiLi64ELi4ELb1EddPKPKdEviT5_lT_lS4_lS5_liPT4_, .Lfunc_end637-_ZL28rocblas_dot_batched_4_kernelIiLi64ELi4ELb1EddPKPKdEviT5_lT_lS4_lS5_liPT4_
                                        ; -- End function
	.section	.AMDGPU.csdata,"",@progbits
; Kernel info:
; codeLenInByte = 788
; NumSgprs: 18
; NumVgprs: 14
; ScratchSize: 0
; MemoryBound: 0
; FloatMode: 240
; IeeeMode: 1
; LDSByteSize: 0 bytes/workgroup (compile time only)
; SGPRBlocks: 2
; VGPRBlocks: 1
; NumSGPRsForWavesPerEU: 18
; NumVGPRsForWavesPerEU: 14
; Occupancy: 16
; WaveLimiterHint : 0
; COMPUTE_PGM_RSRC2:SCRATCH_EN: 0
; COMPUTE_PGM_RSRC2:USER_SGPR: 15
; COMPUTE_PGM_RSRC2:TRAP_HANDLER: 0
; COMPUTE_PGM_RSRC2:TGID_X_EN: 1
; COMPUTE_PGM_RSRC2:TGID_Y_EN: 0
; COMPUTE_PGM_RSRC2:TGID_Z_EN: 0
; COMPUTE_PGM_RSRC2:TIDIG_COMP_CNT: 1
	.section	.text._ZL26rocblas_dot_kernel_inc1by2ILb1ELi1024ELi32ELb1EdPKPKddEviT4_llS4_lliPT5_PT3_,"axG",@progbits,_ZL26rocblas_dot_kernel_inc1by2ILb1ELi1024ELi32ELb1EdPKPKddEviT4_llS4_lliPT5_PT3_,comdat
	.globl	_ZL26rocblas_dot_kernel_inc1by2ILb1ELi1024ELi32ELb1EdPKPKddEviT4_llS4_lliPT5_PT3_ ; -- Begin function _ZL26rocblas_dot_kernel_inc1by2ILb1ELi1024ELi32ELb1EdPKPKddEviT4_llS4_lliPT5_PT3_
	.p2align	8
	.type	_ZL26rocblas_dot_kernel_inc1by2ILb1ELi1024ELi32ELb1EdPKPKddEviT4_llS4_lliPT5_PT3_,@function
_ZL26rocblas_dot_kernel_inc1by2ILb1ELi1024ELi32ELb1EdPKPKddEviT4_llS4_lliPT5_PT3_: ; @_ZL26rocblas_dot_kernel_inc1by2ILb1ELi1024ELi32ELb1EdPKPKddEviT4_llS4_lliPT5_PT3_
; %bb.0:
	s_clause 0x1
	s_load_b32 s6, s[0:1], 0x0
	s_load_b64 s[2:3], s[0:1], 0x48
	v_mov_b32_e32 v1, 0
	v_mov_b32_e32 v2, 0
	s_mov_b32 s4, s15
	s_mov_b32 s5, 0
	s_mov_b32 s7, exec_lo
	s_waitcnt lgkmcnt(0)
	v_cmpx_gt_i32_e64 s6, v0
	s_cbranch_execz .LBB638_4
; %bb.1:
	s_clause 0x1
	s_load_b128 s[8:11], s[0:1], 0x8
	s_load_b128 s[12:15], s[0:1], 0x20
	s_lshl_b64 s[0:1], s[4:5], 3
	v_lshlrev_b32_e32 v5, 3, v0
	v_mov_b32_e32 v1, 0
	v_mov_b32_e32 v2, 0
	v_or_b32_e32 v7, 0x400, v0
	s_waitcnt lgkmcnt(0)
	s_add_u32 s8, s8, s0
	s_addc_u32 s9, s9, s1
	s_add_u32 s0, s12, s0
	s_addc_u32 s1, s13, s1
	s_lshl_b64 s[12:13], s[14:15], 3
	s_load_b64 s[0:1], s[0:1], 0x0
	s_load_b64 s[8:9], s[8:9], 0x0
	s_waitcnt lgkmcnt(0)
	s_add_u32 s12, s0, s12
	s_addc_u32 s13, s1, s13
	s_lshl_b64 s[0:1], s[10:11], 3
	v_add_co_u32 v3, s10, s12, v5
	s_add_u32 s0, s8, s0
	s_addc_u32 s1, s9, s1
	v_add_co_u32 v5, s0, s0, v5
	v_add_co_ci_u32_e64 v4, null, s13, 0, s10
	v_add_co_ci_u32_e64 v6, null, s1, 0, s0
	s_mov_b32 s1, s5
	s_mov_b32 s8, s5
	.p2align	6
.LBB638_2:                              ; =>This Inner Loop Header: Depth=1
	global_load_b64 v[8:9], v[3:4], off
	global_load_b64 v[10:11], v[5:6], off
	s_add_i32 s9, s8, 1
	v_cmp_le_i32_e32 vcc_lo, s6, v7
	v_add_co_u32 v3, s0, 0x2000, v3
	s_cmp_gt_u32 s8, 30
	v_add_co_ci_u32_e64 v4, s0, 0, v4, s0
	s_cselect_b32 s8, -1, 0
	v_add_co_u32 v5, s0, 0x2000, v5
	s_or_b32 s8, s8, vcc_lo
	v_add_nc_u32_e32 v7, 0x400, v7
	v_add_co_ci_u32_e64 v6, vcc_lo, 0, v6, s0
	s_and_b32 s0, exec_lo, s8
	s_mov_b32 s8, s9
	s_or_b32 s1, s0, s1
	s_waitcnt vmcnt(0)
	v_fma_f64 v[1:2], v[8:9], v[10:11], v[1:2]
	s_and_not1_b32 exec_lo, exec_lo, s1
	s_cbranch_execnz .LBB638_2
; %bb.3:
	s_or_b32 exec_lo, exec_lo, s1
.LBB638_4:
	s_delay_alu instid0(SALU_CYCLE_1) | instskip(SKIP_2) | instid1(VALU_DEP_2)
	s_or_b32 exec_lo, exec_lo, s7
	v_and_b32_e32 v11, 31, v0
	v_cmp_gt_u32_e32 vcc_lo, 32, v0
	v_lshlrev_b32_e32 v5, 3, v11
	s_and_saveexec_b32 s0, vcc_lo
	s_cbranch_execz .LBB638_6
; %bb.5:
	v_mov_b32_e32 v3, 0
	s_delay_alu instid0(VALU_DEP_1)
	v_mov_b32_e32 v4, v3
	ds_store_b64 v5, v[3:4]
.LBB638_6:
	s_or_b32 exec_lo, exec_lo, s0
	v_mbcnt_lo_u32_b32 v10, -1, 0
	s_mov_b32 s1, exec_lo
	s_waitcnt lgkmcnt(0)
	s_barrier
	buffer_gl0_inv
	v_cmp_gt_u32_e64 s0, 16, v10
	s_delay_alu instid0(VALU_DEP_1) | instskip(SKIP_1) | instid1(VALU_DEP_2)
	v_cndmask_b32_e64 v3, 0, 1, s0
	v_cmp_gt_u32_e64 s0, 24, v10
	v_lshlrev_b32_e32 v3, 4, v3
	s_delay_alu instid0(VALU_DEP_1)
	v_add_lshl_u32 v6, v3, v10, 2
	ds_bpermute_b32 v3, v6, v1
	ds_bpermute_b32 v4, v6, v2
	s_waitcnt lgkmcnt(0)
	v_add_f64 v[1:2], v[1:2], v[3:4]
	v_cndmask_b32_e64 v3, 0, 1, s0
	v_cmp_gt_u32_e64 s0, 28, v10
	s_delay_alu instid0(VALU_DEP_2) | instskip(NEXT) | instid1(VALU_DEP_1)
	v_lshlrev_b32_e32 v3, 3, v3
	v_add_lshl_u32 v7, v3, v10, 2
	ds_bpermute_b32 v3, v7, v1
	ds_bpermute_b32 v4, v7, v2
	s_waitcnt lgkmcnt(0)
	v_add_f64 v[1:2], v[1:2], v[3:4]
	v_cndmask_b32_e64 v3, 0, 1, s0
	v_cmp_gt_u32_e64 s0, 30, v10
	s_delay_alu instid0(VALU_DEP_2) | instskip(NEXT) | instid1(VALU_DEP_1)
	v_lshlrev_b32_e32 v3, 2, v3
	v_add_lshl_u32 v8, v3, v10, 2
	ds_bpermute_b32 v3, v8, v1
	ds_bpermute_b32 v4, v8, v2
	s_waitcnt lgkmcnt(0)
	v_add_f64 v[1:2], v[1:2], v[3:4]
	v_cndmask_b32_e64 v3, 0, 1, s0
	v_cmp_ne_u32_e64 s0, 31, v10
	s_delay_alu instid0(VALU_DEP_2) | instskip(NEXT) | instid1(VALU_DEP_1)
	v_lshlrev_b32_e32 v3, 1, v3
	v_add_lshl_u32 v9, v3, v10, 2
	ds_bpermute_b32 v3, v9, v1
	ds_bpermute_b32 v4, v9, v2
	s_waitcnt lgkmcnt(0)
	v_add_f64 v[1:2], v[1:2], v[3:4]
	v_add_co_ci_u32_e64 v3, s0, 0, v10, s0
	s_delay_alu instid0(VALU_DEP_1)
	v_lshlrev_b32_e32 v10, 2, v3
	ds_bpermute_b32 v3, v10, v1
	ds_bpermute_b32 v4, v10, v2
	v_cmpx_eq_u32_e32 0, v11
	s_cbranch_execz .LBB638_8
; %bb.7:
	s_waitcnt lgkmcnt(0)
	v_add_f64 v[1:2], v[1:2], v[3:4]
	v_lshrrev_b32_e32 v3, 2, v0
	s_delay_alu instid0(VALU_DEP_1)
	v_and_b32_e32 v3, 0xf8, v3
	ds_store_b64 v3, v[1:2]
.LBB638_8:
	s_or_b32 exec_lo, exec_lo, s1
	v_mov_b32_e32 v1, 0
	v_mov_b32_e32 v2, 0
	s_waitcnt lgkmcnt(0)
	s_barrier
	buffer_gl0_inv
	s_and_saveexec_b32 s0, vcc_lo
	s_cbranch_execz .LBB638_10
; %bb.9:
	ds_load_b64 v[1:2], v5
.LBB638_10:
	s_or_b32 exec_lo, exec_lo, s0
	s_and_saveexec_b32 s0, vcc_lo
	s_cbranch_execz .LBB638_12
; %bb.11:
	s_waitcnt lgkmcnt(0)
	ds_bpermute_b32 v3, v6, v1
	ds_bpermute_b32 v4, v6, v2
	s_waitcnt lgkmcnt(0)
	v_add_f64 v[1:2], v[1:2], v[3:4]
	ds_bpermute_b32 v3, v7, v1
	ds_bpermute_b32 v4, v7, v2
	s_waitcnt lgkmcnt(0)
	v_add_f64 v[1:2], v[1:2], v[3:4]
	;; [unrolled: 4-line block ×5, first 2 shown]
.LBB638_12:
	s_or_b32 exec_lo, exec_lo, s0
	s_delay_alu instid0(SALU_CYCLE_1)
	s_mov_b32 s0, exec_lo
	v_cmpx_eq_u32_e32 0, v0
	s_cbranch_execz .LBB638_14
; %bb.13:
	s_lshl_b64 s[0:1], s[4:5], 3
	v_mov_b32_e32 v0, 0
	s_add_u32 s0, s2, s0
	s_addc_u32 s1, s3, s1
	s_waitcnt lgkmcnt(0)
	global_store_b64 v0, v[1:2], s[0:1]
.LBB638_14:
	s_nop 0
	s_sendmsg sendmsg(MSG_DEALLOC_VGPRS)
	s_endpgm
	.section	.rodata,"a",@progbits
	.p2align	6, 0x0
	.amdhsa_kernel _ZL26rocblas_dot_kernel_inc1by2ILb1ELi1024ELi32ELb1EdPKPKddEviT4_llS4_lliPT5_PT3_
		.amdhsa_group_segment_fixed_size 256
		.amdhsa_private_segment_fixed_size 0
		.amdhsa_kernarg_size 80
		.amdhsa_user_sgpr_count 14
		.amdhsa_user_sgpr_dispatch_ptr 0
		.amdhsa_user_sgpr_queue_ptr 0
		.amdhsa_user_sgpr_kernarg_segment_ptr 1
		.amdhsa_user_sgpr_dispatch_id 0
		.amdhsa_user_sgpr_private_segment_size 0
		.amdhsa_wavefront_size32 1
		.amdhsa_uses_dynamic_stack 0
		.amdhsa_enable_private_segment 0
		.amdhsa_system_sgpr_workgroup_id_x 1
		.amdhsa_system_sgpr_workgroup_id_y 0
		.amdhsa_system_sgpr_workgroup_id_z 1
		.amdhsa_system_sgpr_workgroup_info 0
		.amdhsa_system_vgpr_workitem_id 0
		.amdhsa_next_free_vgpr 12
		.amdhsa_next_free_sgpr 16
		.amdhsa_reserve_vcc 1
		.amdhsa_float_round_mode_32 0
		.amdhsa_float_round_mode_16_64 0
		.amdhsa_float_denorm_mode_32 3
		.amdhsa_float_denorm_mode_16_64 3
		.amdhsa_dx10_clamp 1
		.amdhsa_ieee_mode 1
		.amdhsa_fp16_overflow 0
		.amdhsa_workgroup_processor_mode 1
		.amdhsa_memory_ordered 1
		.amdhsa_forward_progress 0
		.amdhsa_shared_vgpr_count 0
		.amdhsa_exception_fp_ieee_invalid_op 0
		.amdhsa_exception_fp_denorm_src 0
		.amdhsa_exception_fp_ieee_div_zero 0
		.amdhsa_exception_fp_ieee_overflow 0
		.amdhsa_exception_fp_ieee_underflow 0
		.amdhsa_exception_fp_ieee_inexact 0
		.amdhsa_exception_int_div_zero 0
	.end_amdhsa_kernel
	.section	.text._ZL26rocblas_dot_kernel_inc1by2ILb1ELi1024ELi32ELb1EdPKPKddEviT4_llS4_lliPT5_PT3_,"axG",@progbits,_ZL26rocblas_dot_kernel_inc1by2ILb1ELi1024ELi32ELb1EdPKPKddEviT4_llS4_lliPT5_PT3_,comdat
.Lfunc_end638:
	.size	_ZL26rocblas_dot_kernel_inc1by2ILb1ELi1024ELi32ELb1EdPKPKddEviT4_llS4_lliPT5_PT3_, .Lfunc_end638-_ZL26rocblas_dot_kernel_inc1by2ILb1ELi1024ELi32ELb1EdPKPKddEviT4_llS4_lliPT5_PT3_
                                        ; -- End function
	.section	.AMDGPU.csdata,"",@progbits
; Kernel info:
; codeLenInByte = 992
; NumSgprs: 18
; NumVgprs: 12
; ScratchSize: 0
; MemoryBound: 0
; FloatMode: 240
; IeeeMode: 1
; LDSByteSize: 256 bytes/workgroup (compile time only)
; SGPRBlocks: 2
; VGPRBlocks: 1
; NumSGPRsForWavesPerEU: 18
; NumVGPRsForWavesPerEU: 12
; Occupancy: 16
; WaveLimiterHint : 0
; COMPUTE_PGM_RSRC2:SCRATCH_EN: 0
; COMPUTE_PGM_RSRC2:USER_SGPR: 14
; COMPUTE_PGM_RSRC2:TRAP_HANDLER: 0
; COMPUTE_PGM_RSRC2:TGID_X_EN: 1
; COMPUTE_PGM_RSRC2:TGID_Y_EN: 0
; COMPUTE_PGM_RSRC2:TGID_Z_EN: 1
; COMPUTE_PGM_RSRC2:TIDIG_COMP_CNT: 0
	.section	.text._ZL18rocblas_dot_kernelIiLb1ELi1024ELi32ELb1EdPKPKddEviT5_lT_lS4_lS5_liPT6_PT4_,"axG",@progbits,_ZL18rocblas_dot_kernelIiLb1ELi1024ELi32ELb1EdPKPKddEviT5_lT_lS4_lS5_liPT6_PT4_,comdat
	.globl	_ZL18rocblas_dot_kernelIiLb1ELi1024ELi32ELb1EdPKPKddEviT5_lT_lS4_lS5_liPT6_PT4_ ; -- Begin function _ZL18rocblas_dot_kernelIiLb1ELi1024ELi32ELb1EdPKPKddEviT5_lT_lS4_lS5_liPT6_PT4_
	.p2align	8
	.type	_ZL18rocblas_dot_kernelIiLb1ELi1024ELi32ELb1EdPKPKddEviT5_lT_lS4_lS5_liPT6_PT4_,@function
_ZL18rocblas_dot_kernelIiLb1ELi1024ELi32ELb1EdPKPKddEviT5_lT_lS4_lS5_liPT6_PT4_: ; @_ZL18rocblas_dot_kernelIiLb1ELi1024ELi32ELb1EdPKPKddEviT5_lT_lS4_lS5_liPT6_PT4_
; %bb.0:
	s_clause 0x1
	s_load_b32 s14, s[0:1], 0x0
	s_load_b64 s[2:3], s[0:1], 0x58
	v_mov_b32_e32 v1, 0
	v_mov_b32_e32 v2, 0
	s_mov_b32 s12, s15
	s_mov_b32 s13, 0
	s_mov_b32 s15, exec_lo
	s_waitcnt lgkmcnt(0)
	v_cmpx_gt_i32_e64 s14, v0
	s_cbranch_execz .LBB639_4
; %bb.1:
	s_clause 0x4
	s_load_b128 s[8:11], s[0:1], 0x8
	s_load_b128 s[4:7], s[0:1], 0x28
	s_load_b32 s18, s[0:1], 0x18
	s_load_b32 s20, s[0:1], 0x38
	;; [unrolled: 1-line block ×3, first 2 shown]
	s_lshl_b64 s[0:1], s[12:13], 3
	v_mov_b32_e32 v1, 0
	v_mov_b32_e32 v2, 0
	s_waitcnt lgkmcnt(0)
	s_add_u32 s8, s8, s0
	s_addc_u32 s9, s9, s1
	s_add_u32 s0, s4, s0
	s_load_b64 s[8:9], s[8:9], 0x0
	s_addc_u32 s1, s5, s1
	v_mad_i64_i32 v[3:4], null, s18, v0, 0
	s_load_b64 s[16:17], s[0:1], 0x0
	v_mad_i64_i32 v[5:6], null, s20, v0, 0
	s_lshl_b32 s1, s19, 10
	s_lshl_b64 s[4:5], s[10:11], 3
	s_mul_hi_i32 s11, s18, s1
	s_delay_alu instid0(VALU_DEP_2) | instskip(SKIP_2) | instid1(VALU_DEP_3)
	v_lshlrev_b64 v[3:4], 3, v[3:4]
	s_mul_i32 s10, s18, s1
	v_or_b32_e32 v7, s1, v0
	v_lshlrev_b64 v[5:6], 3, v[5:6]
	s_mul_hi_i32 s19, s20, s1
	s_mul_i32 s18, s20, s1
	s_waitcnt lgkmcnt(0)
	s_add_u32 s0, s8, s4
	s_addc_u32 s8, s9, s5
	s_lshl_b64 s[6:7], s[6:7], 3
	s_lshl_b64 s[4:5], s[10:11], 3
	v_add_co_u32 v3, vcc_lo, s0, v3
	s_add_u32 s0, s16, s6
	v_add_co_ci_u32_e32 v4, vcc_lo, s8, v4, vcc_lo
	s_addc_u32 s6, s17, s7
	v_add_co_u32 v5, vcc_lo, s0, v5
	v_add_co_ci_u32_e32 v6, vcc_lo, s6, v6, vcc_lo
	s_lshl_b64 s[6:7], s[18:19], 3
	s_mov_b32 s8, s13
	s_mov_b32 s9, s13
	.p2align	6
.LBB639_2:                              ; =>This Inner Loop Header: Depth=1
	global_load_b64 v[8:9], v[5:6], off
	global_load_b64 v[10:11], v[3:4], off
	s_add_i32 s10, s9, 1
	v_cmp_le_i32_e32 vcc_lo, s14, v7
	v_add_co_u32 v3, s0, v3, s4
	s_cmp_gt_u32 s9, 30
	v_add_co_ci_u32_e64 v4, s0, s5, v4, s0
	s_cselect_b32 s9, -1, 0
	v_add_co_u32 v5, s0, v5, s6
	s_or_b32 s9, s9, vcc_lo
	v_add_nc_u32_e32 v7, s1, v7
	v_add_co_ci_u32_e64 v6, vcc_lo, s7, v6, s0
	s_and_b32 s0, exec_lo, s9
	s_mov_b32 s9, s10
	s_or_b32 s8, s0, s8
	s_waitcnt vmcnt(0)
	v_fma_f64 v[1:2], v[8:9], v[10:11], v[1:2]
	s_and_not1_b32 exec_lo, exec_lo, s8
	s_cbranch_execnz .LBB639_2
; %bb.3:
	s_or_b32 exec_lo, exec_lo, s8
.LBB639_4:
	s_delay_alu instid0(SALU_CYCLE_1) | instskip(SKIP_2) | instid1(VALU_DEP_2)
	s_or_b32 exec_lo, exec_lo, s15
	v_and_b32_e32 v11, 31, v0
	v_cmp_gt_u32_e32 vcc_lo, 32, v0
	v_lshlrev_b32_e32 v5, 3, v11
	s_and_saveexec_b32 s0, vcc_lo
	s_cbranch_execz .LBB639_6
; %bb.5:
	v_mov_b32_e32 v3, 0
	s_delay_alu instid0(VALU_DEP_1)
	v_mov_b32_e32 v4, v3
	ds_store_b64 v5, v[3:4]
.LBB639_6:
	s_or_b32 exec_lo, exec_lo, s0
	v_mbcnt_lo_u32_b32 v10, -1, 0
	s_mov_b32 s1, exec_lo
	s_waitcnt lgkmcnt(0)
	s_barrier
	buffer_gl0_inv
	v_cmp_gt_u32_e64 s0, 16, v10
	s_delay_alu instid0(VALU_DEP_1) | instskip(SKIP_1) | instid1(VALU_DEP_2)
	v_cndmask_b32_e64 v3, 0, 1, s0
	v_cmp_gt_u32_e64 s0, 24, v10
	v_lshlrev_b32_e32 v3, 4, v3
	s_delay_alu instid0(VALU_DEP_1)
	v_add_lshl_u32 v6, v3, v10, 2
	ds_bpermute_b32 v3, v6, v1
	ds_bpermute_b32 v4, v6, v2
	s_waitcnt lgkmcnt(0)
	v_add_f64 v[1:2], v[1:2], v[3:4]
	v_cndmask_b32_e64 v3, 0, 1, s0
	v_cmp_gt_u32_e64 s0, 28, v10
	s_delay_alu instid0(VALU_DEP_2) | instskip(NEXT) | instid1(VALU_DEP_1)
	v_lshlrev_b32_e32 v3, 3, v3
	v_add_lshl_u32 v7, v3, v10, 2
	ds_bpermute_b32 v3, v7, v1
	ds_bpermute_b32 v4, v7, v2
	s_waitcnt lgkmcnt(0)
	v_add_f64 v[1:2], v[1:2], v[3:4]
	v_cndmask_b32_e64 v3, 0, 1, s0
	v_cmp_gt_u32_e64 s0, 30, v10
	s_delay_alu instid0(VALU_DEP_2) | instskip(NEXT) | instid1(VALU_DEP_1)
	v_lshlrev_b32_e32 v3, 2, v3
	v_add_lshl_u32 v8, v3, v10, 2
	ds_bpermute_b32 v3, v8, v1
	ds_bpermute_b32 v4, v8, v2
	s_waitcnt lgkmcnt(0)
	v_add_f64 v[1:2], v[1:2], v[3:4]
	v_cndmask_b32_e64 v3, 0, 1, s0
	v_cmp_ne_u32_e64 s0, 31, v10
	s_delay_alu instid0(VALU_DEP_2) | instskip(NEXT) | instid1(VALU_DEP_1)
	v_lshlrev_b32_e32 v3, 1, v3
	v_add_lshl_u32 v9, v3, v10, 2
	ds_bpermute_b32 v3, v9, v1
	ds_bpermute_b32 v4, v9, v2
	s_waitcnt lgkmcnt(0)
	v_add_f64 v[1:2], v[1:2], v[3:4]
	v_add_co_ci_u32_e64 v3, s0, 0, v10, s0
	s_delay_alu instid0(VALU_DEP_1)
	v_lshlrev_b32_e32 v10, 2, v3
	ds_bpermute_b32 v3, v10, v1
	ds_bpermute_b32 v4, v10, v2
	v_cmpx_eq_u32_e32 0, v11
	s_cbranch_execz .LBB639_8
; %bb.7:
	s_waitcnt lgkmcnt(0)
	v_add_f64 v[1:2], v[1:2], v[3:4]
	v_lshrrev_b32_e32 v3, 2, v0
	s_delay_alu instid0(VALU_DEP_1)
	v_and_b32_e32 v3, 0xf8, v3
	ds_store_b64 v3, v[1:2]
.LBB639_8:
	s_or_b32 exec_lo, exec_lo, s1
	v_mov_b32_e32 v1, 0
	v_mov_b32_e32 v2, 0
	s_waitcnt lgkmcnt(0)
	s_barrier
	buffer_gl0_inv
	s_and_saveexec_b32 s0, vcc_lo
	s_cbranch_execz .LBB639_10
; %bb.9:
	ds_load_b64 v[1:2], v5
.LBB639_10:
	s_or_b32 exec_lo, exec_lo, s0
	s_and_saveexec_b32 s0, vcc_lo
	s_cbranch_execz .LBB639_12
; %bb.11:
	s_waitcnt lgkmcnt(0)
	ds_bpermute_b32 v3, v6, v1
	ds_bpermute_b32 v4, v6, v2
	s_waitcnt lgkmcnt(0)
	v_add_f64 v[1:2], v[1:2], v[3:4]
	ds_bpermute_b32 v3, v7, v1
	ds_bpermute_b32 v4, v7, v2
	s_waitcnt lgkmcnt(0)
	v_add_f64 v[1:2], v[1:2], v[3:4]
	;; [unrolled: 4-line block ×5, first 2 shown]
.LBB639_12:
	s_or_b32 exec_lo, exec_lo, s0
	s_delay_alu instid0(SALU_CYCLE_1)
	s_mov_b32 s0, exec_lo
	v_cmpx_eq_u32_e32 0, v0
	s_cbranch_execz .LBB639_14
; %bb.13:
	s_lshl_b64 s[0:1], s[12:13], 3
	v_mov_b32_e32 v0, 0
	s_add_u32 s0, s2, s0
	s_addc_u32 s1, s3, s1
	s_waitcnt lgkmcnt(0)
	global_store_b64 v0, v[1:2], s[0:1]
.LBB639_14:
	s_nop 0
	s_sendmsg sendmsg(MSG_DEALLOC_VGPRS)
	s_endpgm
	.section	.rodata,"a",@progbits
	.p2align	6, 0x0
	.amdhsa_kernel _ZL18rocblas_dot_kernelIiLb1ELi1024ELi32ELb1EdPKPKddEviT5_lT_lS4_lS5_liPT6_PT4_
		.amdhsa_group_segment_fixed_size 256
		.amdhsa_private_segment_fixed_size 0
		.amdhsa_kernarg_size 352
		.amdhsa_user_sgpr_count 14
		.amdhsa_user_sgpr_dispatch_ptr 0
		.amdhsa_user_sgpr_queue_ptr 0
		.amdhsa_user_sgpr_kernarg_segment_ptr 1
		.amdhsa_user_sgpr_dispatch_id 0
		.amdhsa_user_sgpr_private_segment_size 0
		.amdhsa_wavefront_size32 1
		.amdhsa_uses_dynamic_stack 0
		.amdhsa_enable_private_segment 0
		.amdhsa_system_sgpr_workgroup_id_x 1
		.amdhsa_system_sgpr_workgroup_id_y 0
		.amdhsa_system_sgpr_workgroup_id_z 1
		.amdhsa_system_sgpr_workgroup_info 0
		.amdhsa_system_vgpr_workitem_id 0
		.amdhsa_next_free_vgpr 12
		.amdhsa_next_free_sgpr 21
		.amdhsa_reserve_vcc 1
		.amdhsa_float_round_mode_32 0
		.amdhsa_float_round_mode_16_64 0
		.amdhsa_float_denorm_mode_32 3
		.amdhsa_float_denorm_mode_16_64 3
		.amdhsa_dx10_clamp 1
		.amdhsa_ieee_mode 1
		.amdhsa_fp16_overflow 0
		.amdhsa_workgroup_processor_mode 1
		.amdhsa_memory_ordered 1
		.amdhsa_forward_progress 0
		.amdhsa_shared_vgpr_count 0
		.amdhsa_exception_fp_ieee_invalid_op 0
		.amdhsa_exception_fp_denorm_src 0
		.amdhsa_exception_fp_ieee_div_zero 0
		.amdhsa_exception_fp_ieee_overflow 0
		.amdhsa_exception_fp_ieee_underflow 0
		.amdhsa_exception_fp_ieee_inexact 0
		.amdhsa_exception_int_div_zero 0
	.end_amdhsa_kernel
	.section	.text._ZL18rocblas_dot_kernelIiLb1ELi1024ELi32ELb1EdPKPKddEviT5_lT_lS4_lS5_liPT6_PT4_,"axG",@progbits,_ZL18rocblas_dot_kernelIiLb1ELi1024ELi32ELb1EdPKPKddEviT5_lT_lS4_lS5_liPT6_PT4_,comdat
.Lfunc_end639:
	.size	_ZL18rocblas_dot_kernelIiLb1ELi1024ELi32ELb1EdPKPKddEviT5_lT_lS4_lS5_liPT6_PT4_, .Lfunc_end639-_ZL18rocblas_dot_kernelIiLb1ELi1024ELi32ELb1EdPKPKddEviT5_lT_lS4_lS5_liPT6_PT4_
                                        ; -- End function
	.section	.AMDGPU.csdata,"",@progbits
; Kernel info:
; codeLenInByte = 1052
; NumSgprs: 23
; NumVgprs: 12
; ScratchSize: 0
; MemoryBound: 0
; FloatMode: 240
; IeeeMode: 1
; LDSByteSize: 256 bytes/workgroup (compile time only)
; SGPRBlocks: 2
; VGPRBlocks: 1
; NumSGPRsForWavesPerEU: 23
; NumVGPRsForWavesPerEU: 12
; Occupancy: 16
; WaveLimiterHint : 0
; COMPUTE_PGM_RSRC2:SCRATCH_EN: 0
; COMPUTE_PGM_RSRC2:USER_SGPR: 14
; COMPUTE_PGM_RSRC2:TRAP_HANDLER: 0
; COMPUTE_PGM_RSRC2:TGID_X_EN: 1
; COMPUTE_PGM_RSRC2:TGID_Y_EN: 0
; COMPUTE_PGM_RSRC2:TGID_Z_EN: 1
; COMPUTE_PGM_RSRC2:TIDIG_COMP_CNT: 0
	.section	.text._ZL24rocblas_dot_kernel_magsqIiLb1ELi1024ELi32ELb1EdPKPKddEviT5_lT_liPT6_PT4_,"axG",@progbits,_ZL24rocblas_dot_kernel_magsqIiLb1ELi1024ELi32ELb1EdPKPKddEviT5_lT_liPT6_PT4_,comdat
	.globl	_ZL24rocblas_dot_kernel_magsqIiLb1ELi1024ELi32ELb1EdPKPKddEviT5_lT_liPT6_PT4_ ; -- Begin function _ZL24rocblas_dot_kernel_magsqIiLb1ELi1024ELi32ELb1EdPKPKddEviT5_lT_liPT6_PT4_
	.p2align	8
	.type	_ZL24rocblas_dot_kernel_magsqIiLb1ELi1024ELi32ELb1EdPKPKddEviT5_lT_liPT6_PT4_,@function
_ZL24rocblas_dot_kernel_magsqIiLb1ELi1024ELi32ELb1EdPKPKddEviT5_lT_liPT6_PT4_: ; @_ZL24rocblas_dot_kernel_magsqIiLb1ELi1024ELi32ELb1EdPKPKddEviT5_lT_liPT6_PT4_
; %bb.0:
	s_clause 0x1
	s_load_b32 s8, s[0:1], 0x0
	s_load_b64 s[2:3], s[0:1], 0x38
	v_mov_b32_e32 v1, 0
	v_mov_b32_e32 v2, 0
	s_mov_b32 s4, s15
	s_mov_b32 s5, 0
	s_mov_b32 s9, exec_lo
	s_waitcnt lgkmcnt(0)
	v_cmpx_gt_i32_e64 s8, v0
	s_cbranch_execz .LBB640_4
; %bb.1:
	s_clause 0x2
	s_load_b128 s[12:15], s[0:1], 0x8
	s_load_b32 s16, s[0:1], 0x18
	s_load_b32 s10, s[0:1], 0x40
	s_lshl_b64 s[0:1], s[4:5], 3
	v_mov_b32_e32 v1, 0
	v_mov_b32_e32 v2, 0
	s_waitcnt lgkmcnt(0)
	s_add_u32 s0, s12, s0
	s_addc_u32 s1, s13, s1
	v_mad_i64_i32 v[3:4], null, s16, v0, 0
	s_load_b64 s[6:7], s[0:1], 0x0
	s_lshl_b32 s1, s10, 10
	s_lshl_b64 s[10:11], s[14:15], 3
	v_or_b32_e32 v5, s1, v0
	s_mul_hi_i32 s13, s16, s1
	s_mul_i32 s12, s16, s1
	s_delay_alu instid0(VALU_DEP_2) | instskip(SKIP_3) | instid1(VALU_DEP_1)
	v_lshlrev_b64 v[3:4], 3, v[3:4]
	s_waitcnt lgkmcnt(0)
	s_add_u32 s0, s6, s10
	s_addc_u32 s6, s7, s11
	v_add_co_u32 v3, vcc_lo, s0, v3
	s_delay_alu instid0(VALU_DEP_2)
	v_add_co_ci_u32_e32 v4, vcc_lo, s6, v4, vcc_lo
	s_lshl_b64 s[6:7], s[12:13], 3
	s_mov_b32 s10, s5
	s_mov_b32 s11, s5
	.p2align	6
.LBB640_2:                              ; =>This Inner Loop Header: Depth=1
	global_load_b64 v[6:7], v[3:4], off
	s_add_i32 s12, s11, 1
	v_cmp_le_i32_e32 vcc_lo, s8, v5
	s_cmp_gt_u32 s11, 30
	v_add_co_u32 v3, s0, v3, s6
	s_cselect_b32 s11, -1, 0
	v_add_nc_u32_e32 v5, s1, v5
	s_or_b32 s11, s11, vcc_lo
	v_add_co_ci_u32_e64 v4, vcc_lo, s7, v4, s0
	s_and_b32 s0, exec_lo, s11
	s_mov_b32 s11, s12
	s_or_b32 s10, s0, s10
	s_waitcnt vmcnt(0)
	v_fma_f64 v[1:2], v[6:7], v[6:7], v[1:2]
	s_and_not1_b32 exec_lo, exec_lo, s10
	s_cbranch_execnz .LBB640_2
; %bb.3:
	s_or_b32 exec_lo, exec_lo, s10
.LBB640_4:
	s_delay_alu instid0(SALU_CYCLE_1) | instskip(SKIP_2) | instid1(VALU_DEP_2)
	s_or_b32 exec_lo, exec_lo, s9
	v_and_b32_e32 v11, 31, v0
	v_cmp_gt_u32_e32 vcc_lo, 32, v0
	v_lshlrev_b32_e32 v5, 3, v11
	s_and_saveexec_b32 s0, vcc_lo
	s_cbranch_execz .LBB640_6
; %bb.5:
	v_mov_b32_e32 v3, 0
	s_delay_alu instid0(VALU_DEP_1)
	v_mov_b32_e32 v4, v3
	ds_store_b64 v5, v[3:4]
.LBB640_6:
	s_or_b32 exec_lo, exec_lo, s0
	v_mbcnt_lo_u32_b32 v10, -1, 0
	s_mov_b32 s1, exec_lo
	s_waitcnt lgkmcnt(0)
	s_barrier
	buffer_gl0_inv
	v_cmp_gt_u32_e64 s0, 16, v10
	s_delay_alu instid0(VALU_DEP_1) | instskip(SKIP_1) | instid1(VALU_DEP_2)
	v_cndmask_b32_e64 v3, 0, 1, s0
	v_cmp_gt_u32_e64 s0, 24, v10
	v_lshlrev_b32_e32 v3, 4, v3
	s_delay_alu instid0(VALU_DEP_1)
	v_add_lshl_u32 v6, v3, v10, 2
	ds_bpermute_b32 v3, v6, v1
	ds_bpermute_b32 v4, v6, v2
	s_waitcnt lgkmcnt(0)
	v_add_f64 v[1:2], v[1:2], v[3:4]
	v_cndmask_b32_e64 v3, 0, 1, s0
	v_cmp_gt_u32_e64 s0, 28, v10
	s_delay_alu instid0(VALU_DEP_2) | instskip(NEXT) | instid1(VALU_DEP_1)
	v_lshlrev_b32_e32 v3, 3, v3
	v_add_lshl_u32 v7, v3, v10, 2
	ds_bpermute_b32 v3, v7, v1
	ds_bpermute_b32 v4, v7, v2
	s_waitcnt lgkmcnt(0)
	v_add_f64 v[1:2], v[1:2], v[3:4]
	v_cndmask_b32_e64 v3, 0, 1, s0
	v_cmp_gt_u32_e64 s0, 30, v10
	s_delay_alu instid0(VALU_DEP_2) | instskip(NEXT) | instid1(VALU_DEP_1)
	v_lshlrev_b32_e32 v3, 2, v3
	v_add_lshl_u32 v8, v3, v10, 2
	ds_bpermute_b32 v3, v8, v1
	ds_bpermute_b32 v4, v8, v2
	s_waitcnt lgkmcnt(0)
	v_add_f64 v[1:2], v[1:2], v[3:4]
	v_cndmask_b32_e64 v3, 0, 1, s0
	v_cmp_ne_u32_e64 s0, 31, v10
	s_delay_alu instid0(VALU_DEP_2) | instskip(NEXT) | instid1(VALU_DEP_1)
	v_lshlrev_b32_e32 v3, 1, v3
	v_add_lshl_u32 v9, v3, v10, 2
	ds_bpermute_b32 v3, v9, v1
	ds_bpermute_b32 v4, v9, v2
	s_waitcnt lgkmcnt(0)
	v_add_f64 v[1:2], v[1:2], v[3:4]
	v_add_co_ci_u32_e64 v3, s0, 0, v10, s0
	s_delay_alu instid0(VALU_DEP_1)
	v_lshlrev_b32_e32 v10, 2, v3
	ds_bpermute_b32 v3, v10, v1
	ds_bpermute_b32 v4, v10, v2
	v_cmpx_eq_u32_e32 0, v11
	s_cbranch_execz .LBB640_8
; %bb.7:
	s_waitcnt lgkmcnt(0)
	v_add_f64 v[1:2], v[1:2], v[3:4]
	v_lshrrev_b32_e32 v3, 2, v0
	s_delay_alu instid0(VALU_DEP_1)
	v_and_b32_e32 v3, 0xf8, v3
	ds_store_b64 v3, v[1:2]
.LBB640_8:
	s_or_b32 exec_lo, exec_lo, s1
	v_mov_b32_e32 v1, 0
	v_mov_b32_e32 v2, 0
	s_waitcnt lgkmcnt(0)
	s_barrier
	buffer_gl0_inv
	s_and_saveexec_b32 s0, vcc_lo
	s_cbranch_execz .LBB640_10
; %bb.9:
	ds_load_b64 v[1:2], v5
.LBB640_10:
	s_or_b32 exec_lo, exec_lo, s0
	s_and_saveexec_b32 s0, vcc_lo
	s_cbranch_execz .LBB640_12
; %bb.11:
	s_waitcnt lgkmcnt(0)
	ds_bpermute_b32 v3, v6, v1
	ds_bpermute_b32 v4, v6, v2
	s_waitcnt lgkmcnt(0)
	v_add_f64 v[1:2], v[1:2], v[3:4]
	ds_bpermute_b32 v3, v7, v1
	ds_bpermute_b32 v4, v7, v2
	s_waitcnt lgkmcnt(0)
	v_add_f64 v[1:2], v[1:2], v[3:4]
	;; [unrolled: 4-line block ×5, first 2 shown]
.LBB640_12:
	s_or_b32 exec_lo, exec_lo, s0
	s_delay_alu instid0(SALU_CYCLE_1)
	s_mov_b32 s0, exec_lo
	v_cmpx_eq_u32_e32 0, v0
	s_cbranch_execz .LBB640_14
; %bb.13:
	s_lshl_b64 s[0:1], s[4:5], 3
	v_mov_b32_e32 v0, 0
	s_add_u32 s0, s2, s0
	s_addc_u32 s1, s3, s1
	s_waitcnt lgkmcnt(0)
	global_store_b64 v0, v[1:2], s[0:1]
.LBB640_14:
	s_nop 0
	s_sendmsg sendmsg(MSG_DEALLOC_VGPRS)
	s_endpgm
	.section	.rodata,"a",@progbits
	.p2align	6, 0x0
	.amdhsa_kernel _ZL24rocblas_dot_kernel_magsqIiLb1ELi1024ELi32ELb1EdPKPKddEviT5_lT_liPT6_PT4_
		.amdhsa_group_segment_fixed_size 256
		.amdhsa_private_segment_fixed_size 0
		.amdhsa_kernarg_size 320
		.amdhsa_user_sgpr_count 14
		.amdhsa_user_sgpr_dispatch_ptr 0
		.amdhsa_user_sgpr_queue_ptr 0
		.amdhsa_user_sgpr_kernarg_segment_ptr 1
		.amdhsa_user_sgpr_dispatch_id 0
		.amdhsa_user_sgpr_private_segment_size 0
		.amdhsa_wavefront_size32 1
		.amdhsa_uses_dynamic_stack 0
		.amdhsa_enable_private_segment 0
		.amdhsa_system_sgpr_workgroup_id_x 1
		.amdhsa_system_sgpr_workgroup_id_y 0
		.amdhsa_system_sgpr_workgroup_id_z 1
		.amdhsa_system_sgpr_workgroup_info 0
		.amdhsa_system_vgpr_workitem_id 0
		.amdhsa_next_free_vgpr 12
		.amdhsa_next_free_sgpr 17
		.amdhsa_reserve_vcc 1
		.amdhsa_float_round_mode_32 0
		.amdhsa_float_round_mode_16_64 0
		.amdhsa_float_denorm_mode_32 3
		.amdhsa_float_denorm_mode_16_64 3
		.amdhsa_dx10_clamp 1
		.amdhsa_ieee_mode 1
		.amdhsa_fp16_overflow 0
		.amdhsa_workgroup_processor_mode 1
		.amdhsa_memory_ordered 1
		.amdhsa_forward_progress 0
		.amdhsa_shared_vgpr_count 0
		.amdhsa_exception_fp_ieee_invalid_op 0
		.amdhsa_exception_fp_denorm_src 0
		.amdhsa_exception_fp_ieee_div_zero 0
		.amdhsa_exception_fp_ieee_overflow 0
		.amdhsa_exception_fp_ieee_underflow 0
		.amdhsa_exception_fp_ieee_inexact 0
		.amdhsa_exception_int_div_zero 0
	.end_amdhsa_kernel
	.section	.text._ZL24rocblas_dot_kernel_magsqIiLb1ELi1024ELi32ELb1EdPKPKddEviT5_lT_liPT6_PT4_,"axG",@progbits,_ZL24rocblas_dot_kernel_magsqIiLb1ELi1024ELi32ELb1EdPKPKddEviT5_lT_liPT6_PT4_,comdat
.Lfunc_end640:
	.size	_ZL24rocblas_dot_kernel_magsqIiLb1ELi1024ELi32ELb1EdPKPKddEviT5_lT_liPT6_PT4_, .Lfunc_end640-_ZL24rocblas_dot_kernel_magsqIiLb1ELi1024ELi32ELb1EdPKPKddEviT5_lT_liPT6_PT4_
                                        ; -- End function
	.section	.AMDGPU.csdata,"",@progbits
; Kernel info:
; codeLenInByte = 948
; NumSgprs: 19
; NumVgprs: 12
; ScratchSize: 0
; MemoryBound: 0
; FloatMode: 240
; IeeeMode: 1
; LDSByteSize: 256 bytes/workgroup (compile time only)
; SGPRBlocks: 2
; VGPRBlocks: 1
; NumSGPRsForWavesPerEU: 19
; NumVGPRsForWavesPerEU: 12
; Occupancy: 16
; WaveLimiterHint : 0
; COMPUTE_PGM_RSRC2:SCRATCH_EN: 0
; COMPUTE_PGM_RSRC2:USER_SGPR: 14
; COMPUTE_PGM_RSRC2:TRAP_HANDLER: 0
; COMPUTE_PGM_RSRC2:TGID_X_EN: 1
; COMPUTE_PGM_RSRC2:TGID_Y_EN: 0
; COMPUTE_PGM_RSRC2:TGID_Z_EN: 1
; COMPUTE_PGM_RSRC2:TIDIG_COMP_CNT: 0
	.section	.text._ZL23rocblas_dot_kernel_inc1ILb0ELi512ELi2ELb1EdPKPKddEviT4_llS4_lliPT5_PT3_,"axG",@progbits,_ZL23rocblas_dot_kernel_inc1ILb0ELi512ELi2ELb1EdPKPKddEviT4_llS4_lliPT5_PT3_,comdat
	.globl	_ZL23rocblas_dot_kernel_inc1ILb0ELi512ELi2ELb1EdPKPKddEviT4_llS4_lliPT5_PT3_ ; -- Begin function _ZL23rocblas_dot_kernel_inc1ILb0ELi512ELi2ELb1EdPKPKddEviT4_llS4_lliPT5_PT3_
	.p2align	8
	.type	_ZL23rocblas_dot_kernel_inc1ILb0ELi512ELi2ELb1EdPKPKddEviT4_llS4_lliPT5_PT3_,@function
_ZL23rocblas_dot_kernel_inc1ILb0ELi512ELi2ELb1EdPKPKddEviT4_llS4_lliPT5_PT3_: ; @_ZL23rocblas_dot_kernel_inc1ILb0ELi512ELi2ELb1EdPKPKddEviT4_llS4_lliPT5_PT3_
; %bb.0:
	s_clause 0x1
	s_load_b32 s6, s[0:1], 0x0
	s_load_b32 s3, s[0:1], 0x50
	v_mov_b32_e32 v1, 0
	v_lshl_or_b32 v3, s14, 9, v0
	v_mov_b32_e32 v2, 0
	s_mov_b32 s4, s15
	s_mov_b32 s5, 0
	s_mov_b32 s2, exec_lo
	s_waitcnt lgkmcnt(0)
	v_cmpx_gt_i32_e64 s6, v3
	s_cbranch_execz .LBB641_4
; %bb.1:
	s_clause 0x1
	s_load_b128 s[8:11], s[0:1], 0x8
	s_load_b128 s[16:19], s[0:1], 0x20
	s_lshl_b64 s[12:13], s[4:5], 3
	v_ashrrev_i32_e32 v4, 31, v3
	s_delay_alu instid0(VALU_DEP_1)
	v_lshlrev_b64 v[1:2], 3, v[3:4]
	s_waitcnt lgkmcnt(0)
	s_add_u32 s8, s8, s12
	s_addc_u32 s9, s9, s13
	s_lshl_b64 s[10:11], s[10:11], 3
	s_load_b64 s[8:9], s[8:9], 0x0
	s_waitcnt lgkmcnt(0)
	s_add_u32 s7, s8, s10
	s_addc_u32 s8, s9, s11
	s_add_u32 s10, s16, s12
	s_addc_u32 s11, s17, s13
	s_lshl_b64 s[12:13], s[18:19], 3
	s_load_b64 s[10:11], s[10:11], 0x0
	s_waitcnt lgkmcnt(0)
	s_add_u32 s9, s10, s12
	s_addc_u32 s10, s11, s13
	v_add_co_u32 v3, vcc_lo, s9, v1
	v_add_co_ci_u32_e32 v4, vcc_lo, s10, v2, vcc_lo
	v_add_co_u32 v1, vcc_lo, s7, v1
	v_add_co_ci_u32_e32 v2, vcc_lo, s8, v2, vcc_lo
	s_add_i32 s11, s14, s3
	global_load_b64 v[3:4], v[3:4], off
	global_load_b64 v[1:2], v[1:2], off
	s_waitcnt vmcnt(0)
	v_fma_f64 v[1:2], v[3:4], v[1:2], 0
	v_lshl_or_b32 v3, s11, 9, v0
	s_delay_alu instid0(VALU_DEP_1)
	v_cmp_gt_i32_e32 vcc_lo, s6, v3
	s_and_saveexec_b32 s6, vcc_lo
	s_cbranch_execz .LBB641_3
; %bb.2:
	v_ashrrev_i32_e32 v4, 31, v3
	s_delay_alu instid0(VALU_DEP_1) | instskip(NEXT) | instid1(VALU_DEP_1)
	v_lshlrev_b64 v[3:4], 3, v[3:4]
	v_add_co_u32 v5, vcc_lo, s9, v3
	s_delay_alu instid0(VALU_DEP_2)
	v_add_co_ci_u32_e32 v6, vcc_lo, s10, v4, vcc_lo
	v_add_co_u32 v3, vcc_lo, s7, v3
	v_add_co_ci_u32_e32 v4, vcc_lo, s8, v4, vcc_lo
	global_load_b64 v[5:6], v[5:6], off
	global_load_b64 v[3:4], v[3:4], off
	s_waitcnt vmcnt(0)
	v_fma_f64 v[1:2], v[5:6], v[3:4], v[1:2]
.LBB641_3:
	s_or_b32 exec_lo, exec_lo, s6
.LBB641_4:
	s_delay_alu instid0(SALU_CYCLE_1) | instskip(SKIP_2) | instid1(VALU_DEP_2)
	s_or_b32 exec_lo, exec_lo, s2
	v_and_b32_e32 v10, 31, v0
	v_cmp_gt_u32_e32 vcc_lo, 32, v0
	v_lshlrev_b32_e32 v5, 3, v10
	s_and_saveexec_b32 s2, vcc_lo
	s_cbranch_execz .LBB641_6
; %bb.5:
	v_mov_b32_e32 v3, 0
	s_delay_alu instid0(VALU_DEP_1)
	v_mov_b32_e32 v4, v3
	ds_store_b64 v5, v[3:4]
.LBB641_6:
	s_or_b32 exec_lo, exec_lo, s2
	v_mbcnt_lo_u32_b32 v9, -1, 0
	s_mov_b32 s6, exec_lo
	s_waitcnt lgkmcnt(0)
	s_barrier
	buffer_gl0_inv
	v_cmp_gt_u32_e64 s2, 16, v9
	s_delay_alu instid0(VALU_DEP_1) | instskip(SKIP_1) | instid1(VALU_DEP_2)
	v_cndmask_b32_e64 v3, 0, 1, s2
	v_cmp_gt_u32_e64 s2, 24, v9
	v_lshlrev_b32_e32 v3, 4, v3
	s_delay_alu instid0(VALU_DEP_1)
	v_add_lshl_u32 v4, v3, v9, 2
	ds_bpermute_b32 v3, v4, v1
	ds_bpermute_b32 v4, v4, v2
	s_waitcnt lgkmcnt(0)
	v_add_f64 v[1:2], v[1:2], v[3:4]
	v_cndmask_b32_e64 v3, 0, 1, s2
	v_cmp_gt_u32_e64 s2, 28, v9
	s_delay_alu instid0(VALU_DEP_2) | instskip(NEXT) | instid1(VALU_DEP_1)
	v_lshlrev_b32_e32 v3, 3, v3
	v_add_lshl_u32 v6, v3, v9, 2
	ds_bpermute_b32 v3, v6, v1
	ds_bpermute_b32 v4, v6, v2
	s_waitcnt lgkmcnt(0)
	v_add_f64 v[1:2], v[1:2], v[3:4]
	v_cndmask_b32_e64 v3, 0, 1, s2
	v_cmp_gt_u32_e64 s2, 30, v9
	s_delay_alu instid0(VALU_DEP_2) | instskip(NEXT) | instid1(VALU_DEP_1)
	v_lshlrev_b32_e32 v3, 2, v3
	v_add_lshl_u32 v7, v3, v9, 2
	ds_bpermute_b32 v3, v7, v1
	ds_bpermute_b32 v4, v7, v2
	s_waitcnt lgkmcnt(0)
	v_add_f64 v[1:2], v[1:2], v[3:4]
	v_cndmask_b32_e64 v3, 0, 1, s2
	v_cmp_ne_u32_e64 s2, 31, v9
	s_delay_alu instid0(VALU_DEP_2) | instskip(NEXT) | instid1(VALU_DEP_1)
	v_lshlrev_b32_e32 v3, 1, v3
	v_add_lshl_u32 v8, v3, v9, 2
	ds_bpermute_b32 v3, v8, v1
	ds_bpermute_b32 v4, v8, v2
	s_waitcnt lgkmcnt(0)
	v_add_f64 v[1:2], v[1:2], v[3:4]
	v_add_co_ci_u32_e64 v3, s2, 0, v9, s2
	s_delay_alu instid0(VALU_DEP_1)
	v_lshlrev_b32_e32 v9, 2, v3
	ds_bpermute_b32 v3, v9, v1
	ds_bpermute_b32 v4, v9, v2
	v_cmpx_eq_u32_e32 0, v10
	s_cbranch_execz .LBB641_8
; %bb.7:
	s_waitcnt lgkmcnt(0)
	v_add_f64 v[1:2], v[1:2], v[3:4]
	v_lshrrev_b32_e32 v3, 2, v0
	s_delay_alu instid0(VALU_DEP_1)
	v_and_b32_e32 v3, 0x78, v3
	ds_store_b64 v3, v[1:2]
.LBB641_8:
	s_or_b32 exec_lo, exec_lo, s6
	v_mov_b32_e32 v1, 0
	v_mov_b32_e32 v2, 0
	s_mov_b32 s6, exec_lo
	s_waitcnt lgkmcnt(0)
	s_barrier
	buffer_gl0_inv
	v_cmpx_gt_u32_e32 16, v0
	s_cbranch_execz .LBB641_10
; %bb.9:
	ds_load_b64 v[1:2], v5
.LBB641_10:
	s_or_b32 exec_lo, exec_lo, s6
	s_and_saveexec_b32 s2, vcc_lo
	s_cbranch_execz .LBB641_12
; %bb.11:
	s_waitcnt lgkmcnt(0)
	ds_bpermute_b32 v3, v6, v1
	ds_bpermute_b32 v4, v6, v2
	s_waitcnt lgkmcnt(0)
	v_add_f64 v[1:2], v[1:2], v[3:4]
	ds_bpermute_b32 v3, v7, v1
	ds_bpermute_b32 v4, v7, v2
	s_waitcnt lgkmcnt(0)
	v_add_f64 v[1:2], v[1:2], v[3:4]
	ds_bpermute_b32 v3, v8, v1
	ds_bpermute_b32 v4, v8, v2
	s_waitcnt lgkmcnt(0)
	v_add_f64 v[1:2], v[1:2], v[3:4]
	ds_bpermute_b32 v3, v9, v1
	ds_bpermute_b32 v4, v9, v2
	s_waitcnt lgkmcnt(0)
	v_add_f64 v[1:2], v[1:2], v[3:4]
.LBB641_12:
	s_or_b32 exec_lo, exec_lo, s2
	s_delay_alu instid0(SALU_CYCLE_1)
	s_mov_b32 s2, exec_lo
	v_cmpx_eq_u32_e32 0, v0
	s_cbranch_execz .LBB641_18
; %bb.13:
	s_cmp_lg_u32 s3, 1
	s_cbranch_scc0 .LBB641_15
; %bb.14:
	s_load_b64 s[6:7], s[0:1], 0x40
	s_mul_hi_u32 s9, s3, s4
	s_mul_i32 s8, s3, s4
	s_mov_b32 s15, 0
	s_lshl_b64 s[2:3], s[8:9], 3
	s_waitcnt lgkmcnt(0)
	s_add_u32 s6, s6, s2
	s_addc_u32 s7, s7, s3
	s_lshl_b64 s[2:3], s[14:15], 3
	s_delay_alu instid0(SALU_CYCLE_1)
	s_add_u32 s2, s6, s2
	s_addc_u32 s3, s7, s3
	s_cbranch_execz .LBB641_16
	s_branch .LBB641_17
.LBB641_15:
                                        ; implicit-def: $sgpr2_sgpr3
.LBB641_16:
	s_load_b64 s[0:1], s[0:1], 0x48
	s_lshl_b64 s[2:3], s[4:5], 3
	s_waitcnt lgkmcnt(0)
	s_add_u32 s2, s0, s2
	s_addc_u32 s3, s1, s3
.LBB641_17:
	v_mov_b32_e32 v0, 0
	s_waitcnt lgkmcnt(0)
	global_store_b64 v0, v[1:2], s[2:3]
.LBB641_18:
	s_nop 0
	s_sendmsg sendmsg(MSG_DEALLOC_VGPRS)
	s_endpgm
	.section	.rodata,"a",@progbits
	.p2align	6, 0x0
	.amdhsa_kernel _ZL23rocblas_dot_kernel_inc1ILb0ELi512ELi2ELb1EdPKPKddEviT4_llS4_lliPT5_PT3_
		.amdhsa_group_segment_fixed_size 256
		.amdhsa_private_segment_fixed_size 0
		.amdhsa_kernarg_size 336
		.amdhsa_user_sgpr_count 14
		.amdhsa_user_sgpr_dispatch_ptr 0
		.amdhsa_user_sgpr_queue_ptr 0
		.amdhsa_user_sgpr_kernarg_segment_ptr 1
		.amdhsa_user_sgpr_dispatch_id 0
		.amdhsa_user_sgpr_private_segment_size 0
		.amdhsa_wavefront_size32 1
		.amdhsa_uses_dynamic_stack 0
		.amdhsa_enable_private_segment 0
		.amdhsa_system_sgpr_workgroup_id_x 1
		.amdhsa_system_sgpr_workgroup_id_y 0
		.amdhsa_system_sgpr_workgroup_id_z 1
		.amdhsa_system_sgpr_workgroup_info 0
		.amdhsa_system_vgpr_workitem_id 0
		.amdhsa_next_free_vgpr 11
		.amdhsa_next_free_sgpr 20
		.amdhsa_reserve_vcc 1
		.amdhsa_float_round_mode_32 0
		.amdhsa_float_round_mode_16_64 0
		.amdhsa_float_denorm_mode_32 3
		.amdhsa_float_denorm_mode_16_64 3
		.amdhsa_dx10_clamp 1
		.amdhsa_ieee_mode 1
		.amdhsa_fp16_overflow 0
		.amdhsa_workgroup_processor_mode 1
		.amdhsa_memory_ordered 1
		.amdhsa_forward_progress 0
		.amdhsa_shared_vgpr_count 0
		.amdhsa_exception_fp_ieee_invalid_op 0
		.amdhsa_exception_fp_denorm_src 0
		.amdhsa_exception_fp_ieee_div_zero 0
		.amdhsa_exception_fp_ieee_overflow 0
		.amdhsa_exception_fp_ieee_underflow 0
		.amdhsa_exception_fp_ieee_inexact 0
		.amdhsa_exception_int_div_zero 0
	.end_amdhsa_kernel
	.section	.text._ZL23rocblas_dot_kernel_inc1ILb0ELi512ELi2ELb1EdPKPKddEviT4_llS4_lliPT5_PT3_,"axG",@progbits,_ZL23rocblas_dot_kernel_inc1ILb0ELi512ELi2ELb1EdPKPKddEviT4_llS4_lliPT5_PT3_,comdat
.Lfunc_end641:
	.size	_ZL23rocblas_dot_kernel_inc1ILb0ELi512ELi2ELb1EdPKPKddEviT4_llS4_lliPT5_PT3_, .Lfunc_end641-_ZL23rocblas_dot_kernel_inc1ILb0ELi512ELi2ELb1EdPKPKddEviT4_llS4_lliPT5_PT3_
                                        ; -- End function
	.section	.AMDGPU.csdata,"",@progbits
; Kernel info:
; codeLenInByte = 1052
; NumSgprs: 22
; NumVgprs: 11
; ScratchSize: 0
; MemoryBound: 0
; FloatMode: 240
; IeeeMode: 1
; LDSByteSize: 256 bytes/workgroup (compile time only)
; SGPRBlocks: 2
; VGPRBlocks: 1
; NumSGPRsForWavesPerEU: 22
; NumVGPRsForWavesPerEU: 11
; Occupancy: 16
; WaveLimiterHint : 1
; COMPUTE_PGM_RSRC2:SCRATCH_EN: 0
; COMPUTE_PGM_RSRC2:USER_SGPR: 14
; COMPUTE_PGM_RSRC2:TRAP_HANDLER: 0
; COMPUTE_PGM_RSRC2:TGID_X_EN: 1
; COMPUTE_PGM_RSRC2:TGID_Y_EN: 0
; COMPUTE_PGM_RSRC2:TGID_Z_EN: 1
; COMPUTE_PGM_RSRC2:TIDIG_COMP_CNT: 0
	.section	.text._ZL18rocblas_dot_kernelIiLb0ELi512ELi2ELb1EdPKPKddEviT5_lT_lS4_lS5_liPT6_PT4_,"axG",@progbits,_ZL18rocblas_dot_kernelIiLb0ELi512ELi2ELb1EdPKPKddEviT5_lT_lS4_lS5_liPT6_PT4_,comdat
	.globl	_ZL18rocblas_dot_kernelIiLb0ELi512ELi2ELb1EdPKPKddEviT5_lT_lS4_lS5_liPT6_PT4_ ; -- Begin function _ZL18rocblas_dot_kernelIiLb0ELi512ELi2ELb1EdPKPKddEviT5_lT_lS4_lS5_liPT6_PT4_
	.p2align	8
	.type	_ZL18rocblas_dot_kernelIiLb0ELi512ELi2ELb1EdPKPKddEviT5_lT_lS4_lS5_liPT6_PT4_,@function
_ZL18rocblas_dot_kernelIiLb0ELi512ELi2ELb1EdPKPKddEviT5_lT_lS4_lS5_liPT6_PT4_: ; @_ZL18rocblas_dot_kernelIiLb0ELi512ELi2ELb1EdPKPKddEviT5_lT_lS4_lS5_liPT6_PT4_
; %bb.0:
	s_clause 0x1
	s_load_b32 s6, s[0:1], 0x0
	s_load_b32 s3, s[0:1], 0x60
	v_mov_b32_e32 v1, 0
	v_lshl_or_b32 v3, s14, 9, v0
	v_mov_b32_e32 v2, 0
	s_mov_b32 s4, s15
	s_mov_b32 s5, 0
	s_mov_b32 s2, exec_lo
	s_waitcnt lgkmcnt(0)
	v_cmpx_gt_i32_e64 s6, v3
	s_cbranch_execz .LBB642_4
; %bb.1:
	s_clause 0x1
	s_load_b128 s[16:19], s[0:1], 0x8
	s_load_b32 s7, s[0:1], 0x18
	s_lshl_b64 s[12:13], s[4:5], 3
	s_waitcnt lgkmcnt(0)
	s_add_u32 s8, s16, s12
	s_addc_u32 s9, s17, s13
	s_lshl_b64 s[16:17], s[18:19], 3
	s_load_b64 s[8:9], s[8:9], 0x0
	s_clause 0x1
	s_load_b128 s[20:23], s[0:1], 0x28
	s_load_b32 s10, s[0:1], 0x38
	v_mad_i64_i32 v[4:5], null, v3, s7, 0
	s_waitcnt lgkmcnt(0)
	s_add_u32 s8, s8, s16
	s_addc_u32 s9, s9, s17
	s_add_u32 s12, s20, s12
	s_addc_u32 s13, s21, s13
	v_mad_i64_i32 v[1:2], null, v3, s10, 0
	s_load_b64 s[12:13], s[12:13], 0x0
	s_lshl_b64 s[16:17], s[22:23], 3
	v_lshlrev_b64 v[3:4], 3, v[4:5]
	s_delay_alu instid0(VALU_DEP_2) | instskip(SKIP_3) | instid1(VALU_DEP_1)
	v_lshlrev_b64 v[1:2], 3, v[1:2]
	s_waitcnt lgkmcnt(0)
	s_add_u32 s11, s12, s16
	s_addc_u32 s12, s13, s17
	v_add_co_u32 v1, vcc_lo, s11, v1
	s_delay_alu instid0(VALU_DEP_2)
	v_add_co_ci_u32_e32 v2, vcc_lo, s12, v2, vcc_lo
	v_add_co_u32 v3, vcc_lo, s8, v3
	v_add_co_ci_u32_e32 v4, vcc_lo, s9, v4, vcc_lo
	global_load_b64 v[1:2], v[1:2], off
	global_load_b64 v[3:4], v[3:4], off
	s_add_i32 s13, s14, s3
	s_waitcnt vmcnt(0)
	v_fma_f64 v[1:2], v[1:2], v[3:4], 0
	v_lshl_or_b32 v3, s13, 9, v0
	s_delay_alu instid0(VALU_DEP_1)
	v_cmp_gt_i32_e32 vcc_lo, s6, v3
	s_and_saveexec_b32 s6, vcc_lo
	s_cbranch_execz .LBB642_3
; %bb.2:
	v_mad_i64_i32 v[4:5], null, v3, s10, 0
	v_mad_i64_i32 v[6:7], null, v3, s7, 0
	s_delay_alu instid0(VALU_DEP_2) | instskip(NEXT) | instid1(VALU_DEP_2)
	v_lshlrev_b64 v[3:4], 3, v[4:5]
	v_lshlrev_b64 v[5:6], 3, v[6:7]
	s_delay_alu instid0(VALU_DEP_2) | instskip(NEXT) | instid1(VALU_DEP_3)
	v_add_co_u32 v3, vcc_lo, s11, v3
	v_add_co_ci_u32_e32 v4, vcc_lo, s12, v4, vcc_lo
	s_delay_alu instid0(VALU_DEP_3) | instskip(NEXT) | instid1(VALU_DEP_4)
	v_add_co_u32 v5, vcc_lo, s8, v5
	v_add_co_ci_u32_e32 v6, vcc_lo, s9, v6, vcc_lo
	global_load_b64 v[3:4], v[3:4], off
	global_load_b64 v[5:6], v[5:6], off
	s_waitcnt vmcnt(0)
	v_fma_f64 v[1:2], v[3:4], v[5:6], v[1:2]
.LBB642_3:
	s_or_b32 exec_lo, exec_lo, s6
.LBB642_4:
	s_delay_alu instid0(SALU_CYCLE_1) | instskip(SKIP_2) | instid1(VALU_DEP_2)
	s_or_b32 exec_lo, exec_lo, s2
	v_and_b32_e32 v10, 31, v0
	v_cmp_gt_u32_e32 vcc_lo, 32, v0
	v_lshlrev_b32_e32 v5, 3, v10
	s_and_saveexec_b32 s2, vcc_lo
	s_cbranch_execz .LBB642_6
; %bb.5:
	v_mov_b32_e32 v3, 0
	s_delay_alu instid0(VALU_DEP_1)
	v_mov_b32_e32 v4, v3
	ds_store_b64 v5, v[3:4]
.LBB642_6:
	s_or_b32 exec_lo, exec_lo, s2
	v_mbcnt_lo_u32_b32 v9, -1, 0
	s_mov_b32 s6, exec_lo
	s_waitcnt lgkmcnt(0)
	s_barrier
	buffer_gl0_inv
	v_cmp_gt_u32_e64 s2, 16, v9
	s_delay_alu instid0(VALU_DEP_1) | instskip(SKIP_1) | instid1(VALU_DEP_2)
	v_cndmask_b32_e64 v3, 0, 1, s2
	v_cmp_gt_u32_e64 s2, 24, v9
	v_lshlrev_b32_e32 v3, 4, v3
	s_delay_alu instid0(VALU_DEP_1)
	v_add_lshl_u32 v4, v3, v9, 2
	ds_bpermute_b32 v3, v4, v1
	ds_bpermute_b32 v4, v4, v2
	s_waitcnt lgkmcnt(0)
	v_add_f64 v[1:2], v[1:2], v[3:4]
	v_cndmask_b32_e64 v3, 0, 1, s2
	v_cmp_gt_u32_e64 s2, 28, v9
	s_delay_alu instid0(VALU_DEP_2) | instskip(NEXT) | instid1(VALU_DEP_1)
	v_lshlrev_b32_e32 v3, 3, v3
	v_add_lshl_u32 v6, v3, v9, 2
	ds_bpermute_b32 v3, v6, v1
	ds_bpermute_b32 v4, v6, v2
	s_waitcnt lgkmcnt(0)
	v_add_f64 v[1:2], v[1:2], v[3:4]
	v_cndmask_b32_e64 v3, 0, 1, s2
	v_cmp_gt_u32_e64 s2, 30, v9
	s_delay_alu instid0(VALU_DEP_2) | instskip(NEXT) | instid1(VALU_DEP_1)
	v_lshlrev_b32_e32 v3, 2, v3
	v_add_lshl_u32 v7, v3, v9, 2
	ds_bpermute_b32 v3, v7, v1
	ds_bpermute_b32 v4, v7, v2
	s_waitcnt lgkmcnt(0)
	v_add_f64 v[1:2], v[1:2], v[3:4]
	v_cndmask_b32_e64 v3, 0, 1, s2
	v_cmp_ne_u32_e64 s2, 31, v9
	s_delay_alu instid0(VALU_DEP_2) | instskip(NEXT) | instid1(VALU_DEP_1)
	v_lshlrev_b32_e32 v3, 1, v3
	v_add_lshl_u32 v8, v3, v9, 2
	ds_bpermute_b32 v3, v8, v1
	ds_bpermute_b32 v4, v8, v2
	s_waitcnt lgkmcnt(0)
	v_add_f64 v[1:2], v[1:2], v[3:4]
	v_add_co_ci_u32_e64 v3, s2, 0, v9, s2
	s_delay_alu instid0(VALU_DEP_1)
	v_lshlrev_b32_e32 v9, 2, v3
	ds_bpermute_b32 v3, v9, v1
	ds_bpermute_b32 v4, v9, v2
	v_cmpx_eq_u32_e32 0, v10
	s_cbranch_execz .LBB642_8
; %bb.7:
	s_waitcnt lgkmcnt(0)
	v_add_f64 v[1:2], v[1:2], v[3:4]
	v_lshrrev_b32_e32 v3, 2, v0
	s_delay_alu instid0(VALU_DEP_1)
	v_and_b32_e32 v3, 0x78, v3
	ds_store_b64 v3, v[1:2]
.LBB642_8:
	s_or_b32 exec_lo, exec_lo, s6
	v_mov_b32_e32 v1, 0
	v_mov_b32_e32 v2, 0
	s_mov_b32 s6, exec_lo
	s_waitcnt lgkmcnt(0)
	s_barrier
	buffer_gl0_inv
	v_cmpx_gt_u32_e32 16, v0
	s_cbranch_execz .LBB642_10
; %bb.9:
	ds_load_b64 v[1:2], v5
.LBB642_10:
	s_or_b32 exec_lo, exec_lo, s6
	s_and_saveexec_b32 s2, vcc_lo
	s_cbranch_execz .LBB642_12
; %bb.11:
	s_waitcnt lgkmcnt(0)
	ds_bpermute_b32 v3, v6, v1
	ds_bpermute_b32 v4, v6, v2
	s_waitcnt lgkmcnt(0)
	v_add_f64 v[1:2], v[1:2], v[3:4]
	ds_bpermute_b32 v3, v7, v1
	ds_bpermute_b32 v4, v7, v2
	s_waitcnt lgkmcnt(0)
	v_add_f64 v[1:2], v[1:2], v[3:4]
	;; [unrolled: 4-line block ×4, first 2 shown]
.LBB642_12:
	s_or_b32 exec_lo, exec_lo, s2
	s_delay_alu instid0(SALU_CYCLE_1)
	s_mov_b32 s2, exec_lo
	v_cmpx_eq_u32_e32 0, v0
	s_cbranch_execz .LBB642_18
; %bb.13:
	s_cmp_lg_u32 s3, 1
	s_cbranch_scc0 .LBB642_15
; %bb.14:
	s_load_b64 s[6:7], s[0:1], 0x50
	s_mul_hi_u32 s9, s3, s4
	s_mul_i32 s8, s3, s4
	s_mov_b32 s15, 0
	s_lshl_b64 s[2:3], s[8:9], 3
	s_waitcnt lgkmcnt(0)
	s_add_u32 s6, s6, s2
	s_addc_u32 s7, s7, s3
	s_lshl_b64 s[2:3], s[14:15], 3
	s_delay_alu instid0(SALU_CYCLE_1)
	s_add_u32 s2, s6, s2
	s_addc_u32 s3, s7, s3
	s_cbranch_execz .LBB642_16
	s_branch .LBB642_17
.LBB642_15:
                                        ; implicit-def: $sgpr2_sgpr3
.LBB642_16:
	s_load_b64 s[0:1], s[0:1], 0x58
	s_lshl_b64 s[2:3], s[4:5], 3
	s_waitcnt lgkmcnt(0)
	s_add_u32 s2, s0, s2
	s_addc_u32 s3, s1, s3
.LBB642_17:
	v_mov_b32_e32 v0, 0
	s_waitcnt lgkmcnt(0)
	global_store_b64 v0, v[1:2], s[2:3]
.LBB642_18:
	s_nop 0
	s_sendmsg sendmsg(MSG_DEALLOC_VGPRS)
	s_endpgm
	.section	.rodata,"a",@progbits
	.p2align	6, 0x0
	.amdhsa_kernel _ZL18rocblas_dot_kernelIiLb0ELi512ELi2ELb1EdPKPKddEviT5_lT_lS4_lS5_liPT6_PT4_
		.amdhsa_group_segment_fixed_size 256
		.amdhsa_private_segment_fixed_size 0
		.amdhsa_kernarg_size 352
		.amdhsa_user_sgpr_count 14
		.amdhsa_user_sgpr_dispatch_ptr 0
		.amdhsa_user_sgpr_queue_ptr 0
		.amdhsa_user_sgpr_kernarg_segment_ptr 1
		.amdhsa_user_sgpr_dispatch_id 0
		.amdhsa_user_sgpr_private_segment_size 0
		.amdhsa_wavefront_size32 1
		.amdhsa_uses_dynamic_stack 0
		.amdhsa_enable_private_segment 0
		.amdhsa_system_sgpr_workgroup_id_x 1
		.amdhsa_system_sgpr_workgroup_id_y 0
		.amdhsa_system_sgpr_workgroup_id_z 1
		.amdhsa_system_sgpr_workgroup_info 0
		.amdhsa_system_vgpr_workitem_id 0
		.amdhsa_next_free_vgpr 11
		.amdhsa_next_free_sgpr 24
		.amdhsa_reserve_vcc 1
		.amdhsa_float_round_mode_32 0
		.amdhsa_float_round_mode_16_64 0
		.amdhsa_float_denorm_mode_32 3
		.amdhsa_float_denorm_mode_16_64 3
		.amdhsa_dx10_clamp 1
		.amdhsa_ieee_mode 1
		.amdhsa_fp16_overflow 0
		.amdhsa_workgroup_processor_mode 1
		.amdhsa_memory_ordered 1
		.amdhsa_forward_progress 0
		.amdhsa_shared_vgpr_count 0
		.amdhsa_exception_fp_ieee_invalid_op 0
		.amdhsa_exception_fp_denorm_src 0
		.amdhsa_exception_fp_ieee_div_zero 0
		.amdhsa_exception_fp_ieee_overflow 0
		.amdhsa_exception_fp_ieee_underflow 0
		.amdhsa_exception_fp_ieee_inexact 0
		.amdhsa_exception_int_div_zero 0
	.end_amdhsa_kernel
	.section	.text._ZL18rocblas_dot_kernelIiLb0ELi512ELi2ELb1EdPKPKddEviT5_lT_lS4_lS5_liPT6_PT4_,"axG",@progbits,_ZL18rocblas_dot_kernelIiLb0ELi512ELi2ELb1EdPKPKddEviT5_lT_lS4_lS5_liPT6_PT4_,comdat
.Lfunc_end642:
	.size	_ZL18rocblas_dot_kernelIiLb0ELi512ELi2ELb1EdPKPKddEviT5_lT_lS4_lS5_liPT6_PT4_, .Lfunc_end642-_ZL18rocblas_dot_kernelIiLb0ELi512ELi2ELb1EdPKPKddEviT5_lT_lS4_lS5_liPT6_PT4_
                                        ; -- End function
	.section	.AMDGPU.csdata,"",@progbits
; Kernel info:
; codeLenInByte = 1120
; NumSgprs: 26
; NumVgprs: 11
; ScratchSize: 0
; MemoryBound: 0
; FloatMode: 240
; IeeeMode: 1
; LDSByteSize: 256 bytes/workgroup (compile time only)
; SGPRBlocks: 3
; VGPRBlocks: 1
; NumSGPRsForWavesPerEU: 26
; NumVGPRsForWavesPerEU: 11
; Occupancy: 16
; WaveLimiterHint : 1
; COMPUTE_PGM_RSRC2:SCRATCH_EN: 0
; COMPUTE_PGM_RSRC2:USER_SGPR: 14
; COMPUTE_PGM_RSRC2:TRAP_HANDLER: 0
; COMPUTE_PGM_RSRC2:TGID_X_EN: 1
; COMPUTE_PGM_RSRC2:TGID_Y_EN: 0
; COMPUTE_PGM_RSRC2:TGID_Z_EN: 1
; COMPUTE_PGM_RSRC2:TIDIG_COMP_CNT: 0
	.section	.text._ZL24rocblas_dot_kernel_magsqIiLb0ELi512ELi2ELb1EdPKPKddEviT5_lT_liPT6_PT4_,"axG",@progbits,_ZL24rocblas_dot_kernel_magsqIiLb0ELi512ELi2ELb1EdPKPKddEviT5_lT_liPT6_PT4_,comdat
	.globl	_ZL24rocblas_dot_kernel_magsqIiLb0ELi512ELi2ELb1EdPKPKddEviT5_lT_liPT6_PT4_ ; -- Begin function _ZL24rocblas_dot_kernel_magsqIiLb0ELi512ELi2ELb1EdPKPKddEviT5_lT_liPT6_PT4_
	.p2align	8
	.type	_ZL24rocblas_dot_kernel_magsqIiLb0ELi512ELi2ELb1EdPKPKddEviT5_lT_liPT6_PT4_,@function
_ZL24rocblas_dot_kernel_magsqIiLb0ELi512ELi2ELb1EdPKPKddEviT5_lT_liPT6_PT4_: ; @_ZL24rocblas_dot_kernel_magsqIiLb0ELi512ELi2ELb1EdPKPKddEviT5_lT_liPT6_PT4_
; %bb.0:
	s_clause 0x1
	s_load_b32 s6, s[0:1], 0x0
	s_load_b32 s3, s[0:1], 0x40
	v_mov_b32_e32 v1, 0
	v_lshl_or_b32 v3, s14, 9, v0
	v_mov_b32_e32 v2, 0
	s_mov_b32 s4, s15
	s_mov_b32 s5, 0
	s_mov_b32 s2, exec_lo
	s_waitcnt lgkmcnt(0)
	v_cmpx_gt_i32_e64 s6, v3
	s_cbranch_execz .LBB643_4
; %bb.1:
	s_clause 0x1
	s_load_b128 s[8:11], s[0:1], 0x8
	s_load_b32 s7, s[0:1], 0x18
	s_lshl_b64 s[12:13], s[4:5], 3
	s_waitcnt lgkmcnt(0)
	s_add_u32 s8, s8, s12
	s_addc_u32 s9, s9, s13
	v_mad_i64_i32 v[1:2], null, v3, s7, 0
	s_load_b64 s[8:9], s[8:9], 0x0
	s_lshl_b64 s[10:11], s[10:11], 3
	s_delay_alu instid0(VALU_DEP_1) | instskip(SKIP_3) | instid1(VALU_DEP_1)
	v_lshlrev_b64 v[1:2], 3, v[1:2]
	s_waitcnt lgkmcnt(0)
	s_add_u32 s8, s8, s10
	s_addc_u32 s9, s9, s11
	v_add_co_u32 v1, vcc_lo, s8, v1
	s_delay_alu instid0(VALU_DEP_2) | instskip(SKIP_1) | instid1(SALU_CYCLE_1)
	v_add_co_ci_u32_e32 v2, vcc_lo, s9, v2, vcc_lo
	s_add_i32 s10, s14, s3
	v_lshl_or_b32 v3, s10, 9, v0
	global_load_b64 v[1:2], v[1:2], off
	v_cmp_gt_i32_e32 vcc_lo, s6, v3
	s_waitcnt vmcnt(0)
	v_mul_f64 v[1:2], v[1:2], v[1:2]
	s_and_saveexec_b32 s6, vcc_lo
	s_cbranch_execz .LBB643_3
; %bb.2:
	v_mad_i64_i32 v[4:5], null, v3, s7, 0
	s_delay_alu instid0(VALU_DEP_1) | instskip(NEXT) | instid1(VALU_DEP_1)
	v_lshlrev_b64 v[3:4], 3, v[4:5]
	v_add_co_u32 v3, vcc_lo, s8, v3
	s_delay_alu instid0(VALU_DEP_2)
	v_add_co_ci_u32_e32 v4, vcc_lo, s9, v4, vcc_lo
	global_load_b64 v[3:4], v[3:4], off
	s_waitcnt vmcnt(0)
	v_fma_f64 v[1:2], v[3:4], v[3:4], v[1:2]
.LBB643_3:
	s_or_b32 exec_lo, exec_lo, s6
.LBB643_4:
	s_delay_alu instid0(SALU_CYCLE_1) | instskip(SKIP_2) | instid1(VALU_DEP_2)
	s_or_b32 exec_lo, exec_lo, s2
	v_and_b32_e32 v10, 31, v0
	v_cmp_gt_u32_e32 vcc_lo, 32, v0
	v_lshlrev_b32_e32 v5, 3, v10
	s_and_saveexec_b32 s2, vcc_lo
	s_cbranch_execz .LBB643_6
; %bb.5:
	v_mov_b32_e32 v3, 0
	s_delay_alu instid0(VALU_DEP_1)
	v_mov_b32_e32 v4, v3
	ds_store_b64 v5, v[3:4]
.LBB643_6:
	s_or_b32 exec_lo, exec_lo, s2
	v_mbcnt_lo_u32_b32 v9, -1, 0
	s_mov_b32 s6, exec_lo
	s_waitcnt lgkmcnt(0)
	s_barrier
	buffer_gl0_inv
	v_cmp_gt_u32_e64 s2, 16, v9
	s_delay_alu instid0(VALU_DEP_1) | instskip(SKIP_1) | instid1(VALU_DEP_2)
	v_cndmask_b32_e64 v3, 0, 1, s2
	v_cmp_gt_u32_e64 s2, 24, v9
	v_lshlrev_b32_e32 v3, 4, v3
	s_delay_alu instid0(VALU_DEP_1)
	v_add_lshl_u32 v4, v3, v9, 2
	ds_bpermute_b32 v3, v4, v1
	ds_bpermute_b32 v4, v4, v2
	s_waitcnt lgkmcnt(0)
	v_add_f64 v[1:2], v[1:2], v[3:4]
	v_cndmask_b32_e64 v3, 0, 1, s2
	v_cmp_gt_u32_e64 s2, 28, v9
	s_delay_alu instid0(VALU_DEP_2) | instskip(NEXT) | instid1(VALU_DEP_1)
	v_lshlrev_b32_e32 v3, 3, v3
	v_add_lshl_u32 v6, v3, v9, 2
	ds_bpermute_b32 v3, v6, v1
	ds_bpermute_b32 v4, v6, v2
	s_waitcnt lgkmcnt(0)
	v_add_f64 v[1:2], v[1:2], v[3:4]
	v_cndmask_b32_e64 v3, 0, 1, s2
	v_cmp_gt_u32_e64 s2, 30, v9
	s_delay_alu instid0(VALU_DEP_2) | instskip(NEXT) | instid1(VALU_DEP_1)
	v_lshlrev_b32_e32 v3, 2, v3
	v_add_lshl_u32 v7, v3, v9, 2
	ds_bpermute_b32 v3, v7, v1
	ds_bpermute_b32 v4, v7, v2
	s_waitcnt lgkmcnt(0)
	v_add_f64 v[1:2], v[1:2], v[3:4]
	v_cndmask_b32_e64 v3, 0, 1, s2
	v_cmp_ne_u32_e64 s2, 31, v9
	s_delay_alu instid0(VALU_DEP_2) | instskip(NEXT) | instid1(VALU_DEP_1)
	v_lshlrev_b32_e32 v3, 1, v3
	v_add_lshl_u32 v8, v3, v9, 2
	ds_bpermute_b32 v3, v8, v1
	ds_bpermute_b32 v4, v8, v2
	s_waitcnt lgkmcnt(0)
	v_add_f64 v[1:2], v[1:2], v[3:4]
	v_add_co_ci_u32_e64 v3, s2, 0, v9, s2
	s_delay_alu instid0(VALU_DEP_1)
	v_lshlrev_b32_e32 v9, 2, v3
	ds_bpermute_b32 v3, v9, v1
	ds_bpermute_b32 v4, v9, v2
	v_cmpx_eq_u32_e32 0, v10
	s_cbranch_execz .LBB643_8
; %bb.7:
	s_waitcnt lgkmcnt(0)
	v_add_f64 v[1:2], v[1:2], v[3:4]
	v_lshrrev_b32_e32 v3, 2, v0
	s_delay_alu instid0(VALU_DEP_1)
	v_and_b32_e32 v3, 0x78, v3
	ds_store_b64 v3, v[1:2]
.LBB643_8:
	s_or_b32 exec_lo, exec_lo, s6
	v_mov_b32_e32 v1, 0
	v_mov_b32_e32 v2, 0
	s_mov_b32 s6, exec_lo
	s_waitcnt lgkmcnt(0)
	s_barrier
	buffer_gl0_inv
	v_cmpx_gt_u32_e32 16, v0
	s_cbranch_execz .LBB643_10
; %bb.9:
	ds_load_b64 v[1:2], v5
.LBB643_10:
	s_or_b32 exec_lo, exec_lo, s6
	s_and_saveexec_b32 s2, vcc_lo
	s_cbranch_execz .LBB643_12
; %bb.11:
	s_waitcnt lgkmcnt(0)
	ds_bpermute_b32 v3, v6, v1
	ds_bpermute_b32 v4, v6, v2
	s_waitcnt lgkmcnt(0)
	v_add_f64 v[1:2], v[1:2], v[3:4]
	ds_bpermute_b32 v3, v7, v1
	ds_bpermute_b32 v4, v7, v2
	s_waitcnt lgkmcnt(0)
	v_add_f64 v[1:2], v[1:2], v[3:4]
	;; [unrolled: 4-line block ×4, first 2 shown]
.LBB643_12:
	s_or_b32 exec_lo, exec_lo, s2
	s_delay_alu instid0(SALU_CYCLE_1)
	s_mov_b32 s2, exec_lo
	v_cmpx_eq_u32_e32 0, v0
	s_cbranch_execz .LBB643_18
; %bb.13:
	s_cmp_lg_u32 s3, 1
	s_cbranch_scc0 .LBB643_15
; %bb.14:
	s_load_b64 s[6:7], s[0:1], 0x30
	s_mul_hi_u32 s9, s3, s4
	s_mul_i32 s8, s3, s4
	s_mov_b32 s15, 0
	s_lshl_b64 s[2:3], s[8:9], 3
	s_waitcnt lgkmcnt(0)
	s_add_u32 s6, s6, s2
	s_addc_u32 s7, s7, s3
	s_lshl_b64 s[2:3], s[14:15], 3
	s_delay_alu instid0(SALU_CYCLE_1)
	s_add_u32 s2, s6, s2
	s_addc_u32 s3, s7, s3
	s_cbranch_execz .LBB643_16
	s_branch .LBB643_17
.LBB643_15:
                                        ; implicit-def: $sgpr2_sgpr3
.LBB643_16:
	s_load_b64 s[0:1], s[0:1], 0x38
	s_lshl_b64 s[2:3], s[4:5], 3
	s_waitcnt lgkmcnt(0)
	s_add_u32 s2, s0, s2
	s_addc_u32 s3, s1, s3
.LBB643_17:
	v_mov_b32_e32 v0, 0
	s_waitcnt lgkmcnt(0)
	global_store_b64 v0, v[1:2], s[2:3]
.LBB643_18:
	s_nop 0
	s_sendmsg sendmsg(MSG_DEALLOC_VGPRS)
	s_endpgm
	.section	.rodata,"a",@progbits
	.p2align	6, 0x0
	.amdhsa_kernel _ZL24rocblas_dot_kernel_magsqIiLb0ELi512ELi2ELb1EdPKPKddEviT5_lT_liPT6_PT4_
		.amdhsa_group_segment_fixed_size 256
		.amdhsa_private_segment_fixed_size 0
		.amdhsa_kernarg_size 320
		.amdhsa_user_sgpr_count 14
		.amdhsa_user_sgpr_dispatch_ptr 0
		.amdhsa_user_sgpr_queue_ptr 0
		.amdhsa_user_sgpr_kernarg_segment_ptr 1
		.amdhsa_user_sgpr_dispatch_id 0
		.amdhsa_user_sgpr_private_segment_size 0
		.amdhsa_wavefront_size32 1
		.amdhsa_uses_dynamic_stack 0
		.amdhsa_enable_private_segment 0
		.amdhsa_system_sgpr_workgroup_id_x 1
		.amdhsa_system_sgpr_workgroup_id_y 0
		.amdhsa_system_sgpr_workgroup_id_z 1
		.amdhsa_system_sgpr_workgroup_info 0
		.amdhsa_system_vgpr_workitem_id 0
		.amdhsa_next_free_vgpr 11
		.amdhsa_next_free_sgpr 16
		.amdhsa_reserve_vcc 1
		.amdhsa_float_round_mode_32 0
		.amdhsa_float_round_mode_16_64 0
		.amdhsa_float_denorm_mode_32 3
		.amdhsa_float_denorm_mode_16_64 3
		.amdhsa_dx10_clamp 1
		.amdhsa_ieee_mode 1
		.amdhsa_fp16_overflow 0
		.amdhsa_workgroup_processor_mode 1
		.amdhsa_memory_ordered 1
		.amdhsa_forward_progress 0
		.amdhsa_shared_vgpr_count 0
		.amdhsa_exception_fp_ieee_invalid_op 0
		.amdhsa_exception_fp_denorm_src 0
		.amdhsa_exception_fp_ieee_div_zero 0
		.amdhsa_exception_fp_ieee_overflow 0
		.amdhsa_exception_fp_ieee_underflow 0
		.amdhsa_exception_fp_ieee_inexact 0
		.amdhsa_exception_int_div_zero 0
	.end_amdhsa_kernel
	.section	.text._ZL24rocblas_dot_kernel_magsqIiLb0ELi512ELi2ELb1EdPKPKddEviT5_lT_liPT6_PT4_,"axG",@progbits,_ZL24rocblas_dot_kernel_magsqIiLb0ELi512ELi2ELb1EdPKPKddEviT5_lT_liPT6_PT4_,comdat
.Lfunc_end643:
	.size	_ZL24rocblas_dot_kernel_magsqIiLb0ELi512ELi2ELb1EdPKPKddEviT5_lT_liPT6_PT4_, .Lfunc_end643-_ZL24rocblas_dot_kernel_magsqIiLb0ELi512ELi2ELb1EdPKPKddEviT5_lT_liPT6_PT4_
                                        ; -- End function
	.section	.AMDGPU.csdata,"",@progbits
; Kernel info:
; codeLenInByte = 988
; NumSgprs: 18
; NumVgprs: 11
; ScratchSize: 0
; MemoryBound: 0
; FloatMode: 240
; IeeeMode: 1
; LDSByteSize: 256 bytes/workgroup (compile time only)
; SGPRBlocks: 2
; VGPRBlocks: 1
; NumSGPRsForWavesPerEU: 18
; NumVGPRsForWavesPerEU: 11
; Occupancy: 16
; WaveLimiterHint : 1
; COMPUTE_PGM_RSRC2:SCRATCH_EN: 0
; COMPUTE_PGM_RSRC2:USER_SGPR: 14
; COMPUTE_PGM_RSRC2:TRAP_HANDLER: 0
; COMPUTE_PGM_RSRC2:TGID_X_EN: 1
; COMPUTE_PGM_RSRC2:TGID_Y_EN: 0
; COMPUTE_PGM_RSRC2:TGID_Z_EN: 1
; COMPUTE_PGM_RSRC2:TIDIG_COMP_CNT: 0
	.section	.text._ZL28rocblas_dot_batched_4_kernelIlLi32ELi4ELb1EddPKPKdEviT5_lT_lS4_lS5_liPT4_,"axG",@progbits,_ZL28rocblas_dot_batched_4_kernelIlLi32ELi4ELb1EddPKPKdEviT5_lT_lS4_lS5_liPT4_,comdat
	.globl	_ZL28rocblas_dot_batched_4_kernelIlLi32ELi4ELb1EddPKPKdEviT5_lT_lS4_lS5_liPT4_ ; -- Begin function _ZL28rocblas_dot_batched_4_kernelIlLi32ELi4ELb1EddPKPKdEviT5_lT_lS4_lS5_liPT4_
	.p2align	8
	.type	_ZL28rocblas_dot_batched_4_kernelIlLi32ELi4ELb1EddPKPKdEviT5_lT_lS4_lS5_liPT4_,@function
_ZL28rocblas_dot_batched_4_kernelIlLi32ELi4ELb1EddPKPKdEviT5_lT_lS4_lS5_liPT4_: ; @_ZL28rocblas_dot_batched_4_kernelIlLi32ELi4ELb1EddPKPKdEviT5_lT_lS4_lS5_liPT4_
; %bb.0:
	s_load_b32 s2, s[0:1], 0x48
	v_bfe_u32 v1, v0, 10, 10
	s_delay_alu instid0(VALU_DEP_1) | instskip(SKIP_1) | instid1(VALU_DEP_1)
	v_lshl_add_u32 v4, s15, 2, v1
	s_waitcnt lgkmcnt(0)
	v_cmp_gt_u32_e32 vcc_lo, s2, v4
	s_and_saveexec_b32 s2, vcc_lo
	s_cbranch_execz .LBB644_7
; %bb.1:
	s_clause 0x1
	s_load_b32 s10, s[0:1], 0x0
	s_load_b64 s[8:9], s[0:1], 0x50
	v_dual_mov_b32 v5, 0 :: v_dual_and_b32 v8, 0x3ff, v0
	v_mov_b32_e32 v2, 0
	v_mov_b32_e32 v3, 0
	s_mov_b32 s11, exec_lo
	s_delay_alu instid0(VALU_DEP_3)
	v_lshlrev_b64 v[0:1], 3, v[4:5]
	s_waitcnt lgkmcnt(0)
	v_cmpx_gt_i32_e64 s10, v8
	s_cbranch_execz .LBB644_5
; %bb.2:
	s_clause 0x3
	s_load_b64 s[12:13], s[0:1], 0x8
	s_load_b64 s[14:15], s[0:1], 0x28
	s_load_b128 s[4:7], s[0:1], 0x10
	s_load_b128 s[0:3], s[0:1], 0x30
	s_waitcnt lgkmcnt(0)
	v_add_co_u32 v2, vcc_lo, s12, v0
	v_add_co_ci_u32_e32 v3, vcc_lo, s13, v1, vcc_lo
	v_add_co_u32 v4, vcc_lo, s14, v0
	v_add_co_ci_u32_e32 v5, vcc_lo, s15, v1, vcc_lo
	s_lshl_b64 s[4:5], s[4:5], 3
	global_load_b64 v[6:7], v[2:3], off
	global_load_b64 v[9:10], v[4:5], off
	v_mad_u64_u32 v[2:3], null, s6, v8, 0
	v_mad_u64_u32 v[4:5], null, s2, v8, 0
	s_lshl_b64 s[0:1], s[0:1], 3
	s_delay_alu instid0(VALU_DEP_1) | instskip(NEXT) | instid1(VALU_DEP_1)
	v_mad_u64_u32 v[11:12], null, s7, v8, v[3:4]
	v_mov_b32_e32 v3, v11
	s_waitcnt vmcnt(1)
	s_delay_alu instid0(VALU_DEP_3) | instskip(SKIP_1) | instid1(VALU_DEP_1)
	v_mad_u64_u32 v[12:13], null, s3, v8, v[5:6]
	s_lshl_b64 s[2:3], s[2:3], 8
	v_mov_b32_e32 v5, v12
	v_lshlrev_b64 v[11:12], 3, v[2:3]
	v_mov_b32_e32 v2, 0
	v_mov_b32_e32 v3, 0
	s_delay_alu instid0(VALU_DEP_4) | instskip(NEXT) | instid1(VALU_DEP_4)
	v_lshlrev_b64 v[4:5], 3, v[4:5]
	v_add_co_u32 v11, vcc_lo, v11, s4
	v_add_co_ci_u32_e32 v12, vcc_lo, s5, v12, vcc_lo
	s_delay_alu instid0(VALU_DEP_3) | instskip(NEXT) | instid1(VALU_DEP_4)
	v_add_co_u32 v13, vcc_lo, v4, s0
	v_add_co_ci_u32_e32 v14, vcc_lo, s1, v5, vcc_lo
	s_delay_alu instid0(VALU_DEP_4) | instskip(NEXT) | instid1(VALU_DEP_4)
	v_add_co_u32 v4, vcc_lo, v6, v11
	v_add_co_ci_u32_e32 v5, vcc_lo, v7, v12, vcc_lo
	s_waitcnt vmcnt(0)
	v_add_co_u32 v6, vcc_lo, v9, v13
	v_add_co_ci_u32_e32 v7, vcc_lo, v10, v14, vcc_lo
	v_mov_b32_e32 v9, v8
	s_lshl_b64 s[4:5], s[6:7], 8
	s_mov_b32 s1, 0
	.p2align	6
.LBB644_3:                              ; =>This Inner Loop Header: Depth=1
	global_load_b64 v[10:11], v[4:5], off
	global_load_b64 v[12:13], v[6:7], off
	v_add_nc_u32_e32 v9, 32, v9
	v_add_co_u32 v4, vcc_lo, v4, s4
	v_add_co_ci_u32_e32 v5, vcc_lo, s5, v5, vcc_lo
	s_delay_alu instid0(VALU_DEP_3) | instskip(SKIP_1) | instid1(VALU_DEP_1)
	v_cmp_le_i32_e32 vcc_lo, s10, v9
	v_add_co_u32 v6, s0, v6, s2
	v_add_co_ci_u32_e64 v7, s0, s3, v7, s0
	s_or_b32 s1, vcc_lo, s1
	s_waitcnt vmcnt(0)
	v_fma_f64 v[2:3], v[10:11], v[12:13], v[2:3]
	s_and_not1_b32 exec_lo, exec_lo, s1
	s_cbranch_execnz .LBB644_3
; %bb.4:
	s_or_b32 exec_lo, exec_lo, s1
.LBB644_5:
	s_delay_alu instid0(SALU_CYCLE_1)
	s_or_b32 exec_lo, exec_lo, s11
	v_mbcnt_lo_u32_b32 v6, -1, 0
	s_barrier
	buffer_gl0_inv
	v_cmp_gt_u32_e32 vcc_lo, 16, v6
	v_cndmask_b32_e64 v4, 0, 1, vcc_lo
	v_cmp_gt_u32_e32 vcc_lo, 24, v6
	s_delay_alu instid0(VALU_DEP_2) | instskip(NEXT) | instid1(VALU_DEP_1)
	v_lshlrev_b32_e32 v4, 4, v4
	v_add_lshl_u32 v5, v4, v6, 2
	ds_bpermute_b32 v4, v5, v2
	ds_bpermute_b32 v5, v5, v3
	s_waitcnt lgkmcnt(0)
	v_add_f64 v[2:3], v[2:3], v[4:5]
	v_cndmask_b32_e64 v4, 0, 1, vcc_lo
	v_cmp_gt_u32_e32 vcc_lo, 28, v6
	s_delay_alu instid0(VALU_DEP_2) | instskip(NEXT) | instid1(VALU_DEP_1)
	v_lshlrev_b32_e32 v4, 3, v4
	v_add_lshl_u32 v5, v4, v6, 2
	ds_bpermute_b32 v4, v5, v2
	ds_bpermute_b32 v5, v5, v3
	s_waitcnt lgkmcnt(0)
	v_add_f64 v[2:3], v[2:3], v[4:5]
	;; [unrolled: 9-line block ×3, first 2 shown]
	v_cndmask_b32_e64 v4, 0, 1, vcc_lo
	v_cmp_ne_u32_e32 vcc_lo, 31, v6
	s_delay_alu instid0(VALU_DEP_2) | instskip(NEXT) | instid1(VALU_DEP_1)
	v_lshlrev_b32_e32 v4, 1, v4
	v_add_lshl_u32 v5, v4, v6, 2
	ds_bpermute_b32 v4, v5, v2
	ds_bpermute_b32 v5, v5, v3
	s_waitcnt lgkmcnt(0)
	v_add_f64 v[2:3], v[2:3], v[4:5]
	v_add_co_ci_u32_e32 v4, vcc_lo, 0, v6, vcc_lo
	v_cmp_eq_u32_e32 vcc_lo, 0, v8
	s_delay_alu instid0(VALU_DEP_2)
	v_lshlrev_b32_e32 v5, 2, v4
	ds_bpermute_b32 v4, v5, v2
	ds_bpermute_b32 v5, v5, v3
	s_and_b32 exec_lo, exec_lo, vcc_lo
	s_cbranch_execz .LBB644_7
; %bb.6:
	s_waitcnt lgkmcnt(0)
	v_add_f64 v[2:3], v[2:3], v[4:5]
	v_add_co_u32 v0, vcc_lo, s8, v0
	v_add_co_ci_u32_e32 v1, vcc_lo, s9, v1, vcc_lo
	global_store_b64 v[0:1], v[2:3], off
.LBB644_7:
	s_nop 0
	s_sendmsg sendmsg(MSG_DEALLOC_VGPRS)
	s_endpgm
	.section	.rodata,"a",@progbits
	.p2align	6, 0x0
	.amdhsa_kernel _ZL28rocblas_dot_batched_4_kernelIlLi32ELi4ELb1EddPKPKdEviT5_lT_lS4_lS5_liPT4_
		.amdhsa_group_segment_fixed_size 0
		.amdhsa_private_segment_fixed_size 0
		.amdhsa_kernarg_size 88
		.amdhsa_user_sgpr_count 15
		.amdhsa_user_sgpr_dispatch_ptr 0
		.amdhsa_user_sgpr_queue_ptr 0
		.amdhsa_user_sgpr_kernarg_segment_ptr 1
		.amdhsa_user_sgpr_dispatch_id 0
		.amdhsa_user_sgpr_private_segment_size 0
		.amdhsa_wavefront_size32 1
		.amdhsa_uses_dynamic_stack 0
		.amdhsa_enable_private_segment 0
		.amdhsa_system_sgpr_workgroup_id_x 1
		.amdhsa_system_sgpr_workgroup_id_y 0
		.amdhsa_system_sgpr_workgroup_id_z 0
		.amdhsa_system_sgpr_workgroup_info 0
		.amdhsa_system_vgpr_workitem_id 1
		.amdhsa_next_free_vgpr 15
		.amdhsa_next_free_sgpr 16
		.amdhsa_reserve_vcc 1
		.amdhsa_float_round_mode_32 0
		.amdhsa_float_round_mode_16_64 0
		.amdhsa_float_denorm_mode_32 3
		.amdhsa_float_denorm_mode_16_64 3
		.amdhsa_dx10_clamp 1
		.amdhsa_ieee_mode 1
		.amdhsa_fp16_overflow 0
		.amdhsa_workgroup_processor_mode 1
		.amdhsa_memory_ordered 1
		.amdhsa_forward_progress 0
		.amdhsa_shared_vgpr_count 0
		.amdhsa_exception_fp_ieee_invalid_op 0
		.amdhsa_exception_fp_denorm_src 0
		.amdhsa_exception_fp_ieee_div_zero 0
		.amdhsa_exception_fp_ieee_overflow 0
		.amdhsa_exception_fp_ieee_underflow 0
		.amdhsa_exception_fp_ieee_inexact 0
		.amdhsa_exception_int_div_zero 0
	.end_amdhsa_kernel
	.section	.text._ZL28rocblas_dot_batched_4_kernelIlLi32ELi4ELb1EddPKPKdEviT5_lT_lS4_lS5_liPT4_,"axG",@progbits,_ZL28rocblas_dot_batched_4_kernelIlLi32ELi4ELb1EddPKPKdEviT5_lT_lS4_lS5_liPT4_,comdat
.Lfunc_end644:
	.size	_ZL28rocblas_dot_batched_4_kernelIlLi32ELi4ELb1EddPKPKdEviT5_lT_lS4_lS5_liPT4_, .Lfunc_end644-_ZL28rocblas_dot_batched_4_kernelIlLi32ELi4ELb1EddPKPKdEviT5_lT_lS4_lS5_liPT4_
                                        ; -- End function
	.section	.AMDGPU.csdata,"",@progbits
; Kernel info:
; codeLenInByte = 784
; NumSgprs: 18
; NumVgprs: 15
; ScratchSize: 0
; MemoryBound: 0
; FloatMode: 240
; IeeeMode: 1
; LDSByteSize: 0 bytes/workgroup (compile time only)
; SGPRBlocks: 2
; VGPRBlocks: 1
; NumSGPRsForWavesPerEU: 18
; NumVGPRsForWavesPerEU: 15
; Occupancy: 16
; WaveLimiterHint : 0
; COMPUTE_PGM_RSRC2:SCRATCH_EN: 0
; COMPUTE_PGM_RSRC2:USER_SGPR: 15
; COMPUTE_PGM_RSRC2:TRAP_HANDLER: 0
; COMPUTE_PGM_RSRC2:TGID_X_EN: 1
; COMPUTE_PGM_RSRC2:TGID_Y_EN: 0
; COMPUTE_PGM_RSRC2:TGID_Z_EN: 0
; COMPUTE_PGM_RSRC2:TIDIG_COMP_CNT: 1
	.section	.text._ZL28rocblas_dot_batched_4_kernelIlLi64ELi4ELb1EddPKPKdEviT5_lT_lS4_lS5_liPT4_,"axG",@progbits,_ZL28rocblas_dot_batched_4_kernelIlLi64ELi4ELb1EddPKPKdEviT5_lT_lS4_lS5_liPT4_,comdat
	.globl	_ZL28rocblas_dot_batched_4_kernelIlLi64ELi4ELb1EddPKPKdEviT5_lT_lS4_lS5_liPT4_ ; -- Begin function _ZL28rocblas_dot_batched_4_kernelIlLi64ELi4ELb1EddPKPKdEviT5_lT_lS4_lS5_liPT4_
	.p2align	8
	.type	_ZL28rocblas_dot_batched_4_kernelIlLi64ELi4ELb1EddPKPKdEviT5_lT_lS4_lS5_liPT4_,@function
_ZL28rocblas_dot_batched_4_kernelIlLi64ELi4ELb1EddPKPKdEviT5_lT_lS4_lS5_liPT4_: ; @_ZL28rocblas_dot_batched_4_kernelIlLi64ELi4ELb1EddPKPKdEviT5_lT_lS4_lS5_liPT4_
; %bb.0:
	s_load_b32 s2, s[0:1], 0x48
	v_bfe_u32 v1, v0, 10, 10
	s_delay_alu instid0(VALU_DEP_1) | instskip(SKIP_1) | instid1(VALU_DEP_1)
	v_lshl_add_u32 v4, s15, 2, v1
	s_waitcnt lgkmcnt(0)
	v_cmp_gt_u32_e32 vcc_lo, s2, v4
	s_and_saveexec_b32 s2, vcc_lo
	s_cbranch_execz .LBB645_7
; %bb.1:
	s_clause 0x1
	s_load_b32 s10, s[0:1], 0x0
	s_load_b64 s[8:9], s[0:1], 0x50
	v_dual_mov_b32 v5, 0 :: v_dual_and_b32 v8, 0x3ff, v0
	v_mov_b32_e32 v2, 0
	v_mov_b32_e32 v3, 0
	s_mov_b32 s11, exec_lo
	s_delay_alu instid0(VALU_DEP_3)
	v_lshlrev_b64 v[0:1], 3, v[4:5]
	s_waitcnt lgkmcnt(0)
	v_cmpx_gt_i32_e64 s10, v8
	s_cbranch_execz .LBB645_5
; %bb.2:
	s_clause 0x3
	s_load_b64 s[12:13], s[0:1], 0x8
	s_load_b64 s[14:15], s[0:1], 0x28
	s_load_b128 s[4:7], s[0:1], 0x10
	s_load_b128 s[0:3], s[0:1], 0x30
	s_waitcnt lgkmcnt(0)
	v_add_co_u32 v2, vcc_lo, s12, v0
	v_add_co_ci_u32_e32 v3, vcc_lo, s13, v1, vcc_lo
	v_add_co_u32 v4, vcc_lo, s14, v0
	v_add_co_ci_u32_e32 v5, vcc_lo, s15, v1, vcc_lo
	s_lshl_b64 s[4:5], s[4:5], 3
	global_load_b64 v[6:7], v[2:3], off
	global_load_b64 v[9:10], v[4:5], off
	v_mad_u64_u32 v[2:3], null, s6, v8, 0
	v_mad_u64_u32 v[4:5], null, s2, v8, 0
	s_lshl_b64 s[0:1], s[0:1], 3
	s_delay_alu instid0(VALU_DEP_1) | instskip(NEXT) | instid1(VALU_DEP_1)
	v_mad_u64_u32 v[11:12], null, s7, v8, v[3:4]
	v_mov_b32_e32 v3, v11
	s_waitcnt vmcnt(1)
	s_delay_alu instid0(VALU_DEP_3) | instskip(SKIP_1) | instid1(VALU_DEP_1)
	v_mad_u64_u32 v[12:13], null, s3, v8, v[5:6]
	s_lshl_b64 s[2:3], s[2:3], 9
	v_mov_b32_e32 v5, v12
	v_lshlrev_b64 v[11:12], 3, v[2:3]
	v_mov_b32_e32 v2, 0
	v_mov_b32_e32 v3, 0
	s_delay_alu instid0(VALU_DEP_4) | instskip(NEXT) | instid1(VALU_DEP_4)
	v_lshlrev_b64 v[4:5], 3, v[4:5]
	v_add_co_u32 v11, vcc_lo, v11, s4
	v_add_co_ci_u32_e32 v12, vcc_lo, s5, v12, vcc_lo
	s_delay_alu instid0(VALU_DEP_3) | instskip(NEXT) | instid1(VALU_DEP_4)
	v_add_co_u32 v13, vcc_lo, v4, s0
	v_add_co_ci_u32_e32 v14, vcc_lo, s1, v5, vcc_lo
	s_delay_alu instid0(VALU_DEP_4) | instskip(NEXT) | instid1(VALU_DEP_4)
	v_add_co_u32 v4, vcc_lo, v6, v11
	v_add_co_ci_u32_e32 v5, vcc_lo, v7, v12, vcc_lo
	s_waitcnt vmcnt(0)
	v_add_co_u32 v6, vcc_lo, v9, v13
	v_add_co_ci_u32_e32 v7, vcc_lo, v10, v14, vcc_lo
	v_mov_b32_e32 v9, v8
	s_lshl_b64 s[4:5], s[6:7], 9
	s_mov_b32 s1, 0
	.p2align	6
.LBB645_3:                              ; =>This Inner Loop Header: Depth=1
	global_load_b64 v[10:11], v[4:5], off
	global_load_b64 v[12:13], v[6:7], off
	v_add_nc_u32_e32 v9, 64, v9
	v_add_co_u32 v4, vcc_lo, v4, s4
	v_add_co_ci_u32_e32 v5, vcc_lo, s5, v5, vcc_lo
	s_delay_alu instid0(VALU_DEP_3) | instskip(SKIP_1) | instid1(VALU_DEP_1)
	v_cmp_le_i32_e32 vcc_lo, s10, v9
	v_add_co_u32 v6, s0, v6, s2
	v_add_co_ci_u32_e64 v7, s0, s3, v7, s0
	s_or_b32 s1, vcc_lo, s1
	s_waitcnt vmcnt(0)
	v_fma_f64 v[2:3], v[10:11], v[12:13], v[2:3]
	s_and_not1_b32 exec_lo, exec_lo, s1
	s_cbranch_execnz .LBB645_3
; %bb.4:
	s_or_b32 exec_lo, exec_lo, s1
.LBB645_5:
	s_delay_alu instid0(SALU_CYCLE_1)
	s_or_b32 exec_lo, exec_lo, s11
	v_mbcnt_lo_u32_b32 v6, -1, 0
	s_barrier
	buffer_gl0_inv
	v_lshlrev_b32_e32 v5, 2, v6
	v_cmp_gt_u32_e32 vcc_lo, 16, v6
	ds_bpermute_b32 v4, v5, v2
	ds_bpermute_b32 v5, v5, v3
	s_waitcnt lgkmcnt(0)
	v_add_f64 v[2:3], v[2:3], v[4:5]
	v_cndmask_b32_e64 v4, 0, 1, vcc_lo
	v_cmp_gt_u32_e32 vcc_lo, 24, v6
	s_delay_alu instid0(VALU_DEP_2) | instskip(NEXT) | instid1(VALU_DEP_1)
	v_lshlrev_b32_e32 v4, 4, v4
	v_add_lshl_u32 v5, v4, v6, 2
	ds_bpermute_b32 v4, v5, v2
	ds_bpermute_b32 v5, v5, v3
	s_waitcnt lgkmcnt(0)
	v_add_f64 v[2:3], v[2:3], v[4:5]
	v_cndmask_b32_e64 v4, 0, 1, vcc_lo
	v_cmp_gt_u32_e32 vcc_lo, 28, v6
	s_delay_alu instid0(VALU_DEP_2) | instskip(NEXT) | instid1(VALU_DEP_1)
	v_lshlrev_b32_e32 v4, 3, v4
	v_add_lshl_u32 v5, v4, v6, 2
	;; [unrolled: 9-line block ×3, first 2 shown]
	ds_bpermute_b32 v4, v5, v2
	ds_bpermute_b32 v5, v5, v3
	s_waitcnt lgkmcnt(0)
	v_add_f64 v[2:3], v[2:3], v[4:5]
	v_cndmask_b32_e64 v4, 0, 1, vcc_lo
	v_cmp_ne_u32_e32 vcc_lo, 31, v6
	s_delay_alu instid0(VALU_DEP_2) | instskip(NEXT) | instid1(VALU_DEP_1)
	v_lshlrev_b32_e32 v4, 1, v4
	v_add_lshl_u32 v5, v4, v6, 2
	ds_bpermute_b32 v4, v5, v2
	ds_bpermute_b32 v5, v5, v3
	s_waitcnt lgkmcnt(0)
	v_add_f64 v[2:3], v[2:3], v[4:5]
	v_add_co_ci_u32_e32 v4, vcc_lo, 0, v6, vcc_lo
	v_cmp_eq_u32_e32 vcc_lo, 0, v8
	s_delay_alu instid0(VALU_DEP_2)
	v_lshlrev_b32_e32 v5, 2, v4
	ds_bpermute_b32 v4, v5, v2
	ds_bpermute_b32 v5, v5, v3
	s_and_b32 exec_lo, exec_lo, vcc_lo
	s_cbranch_execz .LBB645_7
; %bb.6:
	s_waitcnt lgkmcnt(0)
	v_add_f64 v[2:3], v[2:3], v[4:5]
	v_add_co_u32 v0, vcc_lo, s8, v0
	v_add_co_ci_u32_e32 v1, vcc_lo, s9, v1, vcc_lo
	global_store_b64 v[0:1], v[2:3], off
.LBB645_7:
	s_nop 0
	s_sendmsg sendmsg(MSG_DEALLOC_VGPRS)
	s_endpgm
	.section	.rodata,"a",@progbits
	.p2align	6, 0x0
	.amdhsa_kernel _ZL28rocblas_dot_batched_4_kernelIlLi64ELi4ELb1EddPKPKdEviT5_lT_lS4_lS5_liPT4_
		.amdhsa_group_segment_fixed_size 0
		.amdhsa_private_segment_fixed_size 0
		.amdhsa_kernarg_size 88
		.amdhsa_user_sgpr_count 15
		.amdhsa_user_sgpr_dispatch_ptr 0
		.amdhsa_user_sgpr_queue_ptr 0
		.amdhsa_user_sgpr_kernarg_segment_ptr 1
		.amdhsa_user_sgpr_dispatch_id 0
		.amdhsa_user_sgpr_private_segment_size 0
		.amdhsa_wavefront_size32 1
		.amdhsa_uses_dynamic_stack 0
		.amdhsa_enable_private_segment 0
		.amdhsa_system_sgpr_workgroup_id_x 1
		.amdhsa_system_sgpr_workgroup_id_y 0
		.amdhsa_system_sgpr_workgroup_id_z 0
		.amdhsa_system_sgpr_workgroup_info 0
		.amdhsa_system_vgpr_workitem_id 1
		.amdhsa_next_free_vgpr 15
		.amdhsa_next_free_sgpr 16
		.amdhsa_reserve_vcc 1
		.amdhsa_float_round_mode_32 0
		.amdhsa_float_round_mode_16_64 0
		.amdhsa_float_denorm_mode_32 3
		.amdhsa_float_denorm_mode_16_64 3
		.amdhsa_dx10_clamp 1
		.amdhsa_ieee_mode 1
		.amdhsa_fp16_overflow 0
		.amdhsa_workgroup_processor_mode 1
		.amdhsa_memory_ordered 1
		.amdhsa_forward_progress 0
		.amdhsa_shared_vgpr_count 0
		.amdhsa_exception_fp_ieee_invalid_op 0
		.amdhsa_exception_fp_denorm_src 0
		.amdhsa_exception_fp_ieee_div_zero 0
		.amdhsa_exception_fp_ieee_overflow 0
		.amdhsa_exception_fp_ieee_underflow 0
		.amdhsa_exception_fp_ieee_inexact 0
		.amdhsa_exception_int_div_zero 0
	.end_amdhsa_kernel
	.section	.text._ZL28rocblas_dot_batched_4_kernelIlLi64ELi4ELb1EddPKPKdEviT5_lT_lS4_lS5_liPT4_,"axG",@progbits,_ZL28rocblas_dot_batched_4_kernelIlLi64ELi4ELb1EddPKPKdEviT5_lT_lS4_lS5_liPT4_,comdat
.Lfunc_end645:
	.size	_ZL28rocblas_dot_batched_4_kernelIlLi64ELi4ELb1EddPKPKdEviT5_lT_lS4_lS5_liPT4_, .Lfunc_end645-_ZL28rocblas_dot_batched_4_kernelIlLi64ELi4ELb1EddPKPKdEviT5_lT_lS4_lS5_liPT4_
                                        ; -- End function
	.section	.AMDGPU.csdata,"",@progbits
; Kernel info:
; codeLenInByte = 816
; NumSgprs: 18
; NumVgprs: 15
; ScratchSize: 0
; MemoryBound: 0
; FloatMode: 240
; IeeeMode: 1
; LDSByteSize: 0 bytes/workgroup (compile time only)
; SGPRBlocks: 2
; VGPRBlocks: 1
; NumSGPRsForWavesPerEU: 18
; NumVGPRsForWavesPerEU: 15
; Occupancy: 16
; WaveLimiterHint : 0
; COMPUTE_PGM_RSRC2:SCRATCH_EN: 0
; COMPUTE_PGM_RSRC2:USER_SGPR: 15
; COMPUTE_PGM_RSRC2:TRAP_HANDLER: 0
; COMPUTE_PGM_RSRC2:TGID_X_EN: 1
; COMPUTE_PGM_RSRC2:TGID_Y_EN: 0
; COMPUTE_PGM_RSRC2:TGID_Z_EN: 0
; COMPUTE_PGM_RSRC2:TIDIG_COMP_CNT: 1
	.section	.text._ZL18rocblas_dot_kernelIlLb1ELi1024ELi32ELb1EdPKPKddEviT5_lT_lS4_lS5_liPT6_PT4_,"axG",@progbits,_ZL18rocblas_dot_kernelIlLb1ELi1024ELi32ELb1EdPKPKddEviT5_lT_lS4_lS5_liPT6_PT4_,comdat
	.globl	_ZL18rocblas_dot_kernelIlLb1ELi1024ELi32ELb1EdPKPKddEviT5_lT_lS4_lS5_liPT6_PT4_ ; -- Begin function _ZL18rocblas_dot_kernelIlLb1ELi1024ELi32ELb1EdPKPKddEviT5_lT_lS4_lS5_liPT6_PT4_
	.p2align	8
	.type	_ZL18rocblas_dot_kernelIlLb1ELi1024ELi32ELb1EdPKPKddEviT5_lT_lS4_lS5_liPT6_PT4_,@function
_ZL18rocblas_dot_kernelIlLb1ELi1024ELi32ELb1EdPKPKddEviT5_lT_lS4_lS5_liPT6_PT4_: ; @_ZL18rocblas_dot_kernelIlLb1ELi1024ELi32ELb1EdPKPKddEviT5_lT_lS4_lS5_liPT6_PT4_
; %bb.0:
	s_clause 0x1
	s_load_b32 s14, s[0:1], 0x0
	s_load_b64 s[2:3], s[0:1], 0x58
	v_mov_b32_e32 v1, 0
	v_mov_b32_e32 v2, 0
	s_mov_b32 s12, s15
	s_mov_b32 s13, 0
	s_mov_b32 s15, exec_lo
	s_waitcnt lgkmcnt(0)
	v_cmpx_gt_i32_e64 s14, v0
	s_cbranch_execz .LBB646_4
; %bb.1:
	s_clause 0x4
	s_load_b64 s[16:17], s[0:1], 0x8
	s_load_b128 s[8:11], s[0:1], 0x10
	s_load_b128 s[4:7], s[0:1], 0x30
	s_load_b64 s[18:19], s[0:1], 0x28
	s_load_b32 s20, s[0:1], 0x60
	s_lshl_b64 s[0:1], s[12:13], 3
	s_waitcnt lgkmcnt(0)
	s_add_u32 s16, s16, s0
	s_addc_u32 s17, s17, s1
	v_mad_u64_u32 v[3:4], null, s10, v0, 0
	s_load_b64 s[16:17], s[16:17], 0x0
	v_mad_u64_u32 v[5:6], null, s6, v0, 0
	s_add_u32 s18, s18, s0
	s_addc_u32 s19, s19, s1
	s_lshl_b32 s1, s20, 10
	s_load_b64 s[18:19], s[18:19], 0x0
	v_or_b32_e32 v7, s1, v0
	s_lshl_b64 s[8:9], s[8:9], 3
	s_delay_alu instid0(VALU_DEP_2) | instskip(SKIP_1) | instid1(VALU_DEP_3)
	v_mad_u64_u32 v[8:9], null, s11, v0, v[4:5]
	v_mov_b32_e32 v1, 0
	v_mad_u64_u32 v[9:10], null, s7, v0, v[6:7]
	s_mul_hi_u32 s0, s10, s1
	s_mul_i32 s11, s11, s1
	s_mul_i32 s20, s10, s1
	s_delay_alu instid0(VALU_DEP_3)
	v_mov_b32_e32 v4, v8
	s_mul_hi_u32 s23, s6, s1
	s_mul_i32 s22, s6, s1
	s_waitcnt lgkmcnt(0)
	s_add_u32 s16, s16, s8
	v_mov_b32_e32 v6, v9
	s_addc_u32 s17, s17, s9
	s_ashr_i32 s24, s1, 31
	s_lshl_b64 s[8:9], s[4:5], 3
	s_mul_i32 s4, s10, s24
	v_lshlrev_b64 v[3:4], 3, v[3:4]
	s_add_i32 s0, s0, s4
	v_lshlrev_b64 v[5:6], 3, v[5:6]
	s_add_i32 s21, s0, s11
	s_mul_i32 s0, s6, s24
	s_lshl_b64 s[4:5], s[20:21], 3
	v_add_co_u32 v3, vcc_lo, s16, v3
	s_add_u32 s6, s18, s8
	v_add_co_ci_u32_e32 v4, vcc_lo, s17, v4, vcc_lo
	s_addc_u32 s8, s19, s9
	v_add_co_u32 v5, vcc_lo, s6, v5
	s_mul_i32 s7, s7, s1
	s_add_i32 s0, s23, s0
	v_mov_b32_e32 v2, 0
	v_add_co_ci_u32_e32 v6, vcc_lo, s8, v6, vcc_lo
	s_add_i32 s23, s0, s7
	s_mov_b32 s8, s13
	s_lshl_b64 s[6:7], s[22:23], 3
	s_mov_b32 s9, s13
	.p2align	6
.LBB646_2:                              ; =>This Inner Loop Header: Depth=1
	global_load_b64 v[8:9], v[5:6], off
	global_load_b64 v[10:11], v[3:4], off
	s_add_i32 s10, s9, 1
	v_cmp_le_i32_e32 vcc_lo, s14, v7
	v_add_co_u32 v3, s0, v3, s4
	s_cmp_gt_u32 s9, 30
	v_add_co_ci_u32_e64 v4, s0, s5, v4, s0
	s_cselect_b32 s9, -1, 0
	v_add_co_u32 v5, s0, v5, s6
	s_or_b32 s9, s9, vcc_lo
	v_add_nc_u32_e32 v7, s1, v7
	v_add_co_ci_u32_e64 v6, vcc_lo, s7, v6, s0
	s_and_b32 s0, exec_lo, s9
	s_mov_b32 s9, s10
	s_or_b32 s8, s0, s8
	s_waitcnt vmcnt(0)
	v_fma_f64 v[1:2], v[8:9], v[10:11], v[1:2]
	s_and_not1_b32 exec_lo, exec_lo, s8
	s_cbranch_execnz .LBB646_2
; %bb.3:
	s_or_b32 exec_lo, exec_lo, s8
.LBB646_4:
	s_delay_alu instid0(SALU_CYCLE_1) | instskip(SKIP_2) | instid1(VALU_DEP_2)
	s_or_b32 exec_lo, exec_lo, s15
	v_and_b32_e32 v11, 31, v0
	v_cmp_gt_u32_e32 vcc_lo, 32, v0
	v_lshlrev_b32_e32 v5, 3, v11
	s_and_saveexec_b32 s0, vcc_lo
	s_cbranch_execz .LBB646_6
; %bb.5:
	v_mov_b32_e32 v3, 0
	s_delay_alu instid0(VALU_DEP_1)
	v_mov_b32_e32 v4, v3
	ds_store_b64 v5, v[3:4]
.LBB646_6:
	s_or_b32 exec_lo, exec_lo, s0
	v_mbcnt_lo_u32_b32 v10, -1, 0
	s_mov_b32 s1, exec_lo
	s_waitcnt lgkmcnt(0)
	s_barrier
	buffer_gl0_inv
	v_cmp_gt_u32_e64 s0, 16, v10
	s_delay_alu instid0(VALU_DEP_1) | instskip(SKIP_1) | instid1(VALU_DEP_2)
	v_cndmask_b32_e64 v3, 0, 1, s0
	v_cmp_gt_u32_e64 s0, 24, v10
	v_lshlrev_b32_e32 v3, 4, v3
	s_delay_alu instid0(VALU_DEP_1)
	v_add_lshl_u32 v6, v3, v10, 2
	ds_bpermute_b32 v3, v6, v1
	ds_bpermute_b32 v4, v6, v2
	s_waitcnt lgkmcnt(0)
	v_add_f64 v[1:2], v[1:2], v[3:4]
	v_cndmask_b32_e64 v3, 0, 1, s0
	v_cmp_gt_u32_e64 s0, 28, v10
	s_delay_alu instid0(VALU_DEP_2) | instskip(NEXT) | instid1(VALU_DEP_1)
	v_lshlrev_b32_e32 v3, 3, v3
	v_add_lshl_u32 v7, v3, v10, 2
	ds_bpermute_b32 v3, v7, v1
	ds_bpermute_b32 v4, v7, v2
	s_waitcnt lgkmcnt(0)
	v_add_f64 v[1:2], v[1:2], v[3:4]
	v_cndmask_b32_e64 v3, 0, 1, s0
	v_cmp_gt_u32_e64 s0, 30, v10
	s_delay_alu instid0(VALU_DEP_2) | instskip(NEXT) | instid1(VALU_DEP_1)
	v_lshlrev_b32_e32 v3, 2, v3
	v_add_lshl_u32 v8, v3, v10, 2
	ds_bpermute_b32 v3, v8, v1
	ds_bpermute_b32 v4, v8, v2
	s_waitcnt lgkmcnt(0)
	v_add_f64 v[1:2], v[1:2], v[3:4]
	v_cndmask_b32_e64 v3, 0, 1, s0
	v_cmp_ne_u32_e64 s0, 31, v10
	s_delay_alu instid0(VALU_DEP_2) | instskip(NEXT) | instid1(VALU_DEP_1)
	v_lshlrev_b32_e32 v3, 1, v3
	v_add_lshl_u32 v9, v3, v10, 2
	ds_bpermute_b32 v3, v9, v1
	ds_bpermute_b32 v4, v9, v2
	s_waitcnt lgkmcnt(0)
	v_add_f64 v[1:2], v[1:2], v[3:4]
	v_add_co_ci_u32_e64 v3, s0, 0, v10, s0
	s_delay_alu instid0(VALU_DEP_1)
	v_lshlrev_b32_e32 v10, 2, v3
	ds_bpermute_b32 v3, v10, v1
	ds_bpermute_b32 v4, v10, v2
	v_cmpx_eq_u32_e32 0, v11
	s_cbranch_execz .LBB646_8
; %bb.7:
	s_waitcnt lgkmcnt(0)
	v_add_f64 v[1:2], v[1:2], v[3:4]
	v_lshrrev_b32_e32 v3, 2, v0
	s_delay_alu instid0(VALU_DEP_1)
	v_and_b32_e32 v3, 0xf8, v3
	ds_store_b64 v3, v[1:2]
.LBB646_8:
	s_or_b32 exec_lo, exec_lo, s1
	v_mov_b32_e32 v1, 0
	v_mov_b32_e32 v2, 0
	s_waitcnt lgkmcnt(0)
	s_barrier
	buffer_gl0_inv
	s_and_saveexec_b32 s0, vcc_lo
	s_cbranch_execz .LBB646_10
; %bb.9:
	ds_load_b64 v[1:2], v5
.LBB646_10:
	s_or_b32 exec_lo, exec_lo, s0
	s_and_saveexec_b32 s0, vcc_lo
	s_cbranch_execz .LBB646_12
; %bb.11:
	s_waitcnt lgkmcnt(0)
	ds_bpermute_b32 v3, v6, v1
	ds_bpermute_b32 v4, v6, v2
	s_waitcnt lgkmcnt(0)
	v_add_f64 v[1:2], v[1:2], v[3:4]
	ds_bpermute_b32 v3, v7, v1
	ds_bpermute_b32 v4, v7, v2
	s_waitcnt lgkmcnt(0)
	v_add_f64 v[1:2], v[1:2], v[3:4]
	;; [unrolled: 4-line block ×5, first 2 shown]
.LBB646_12:
	s_or_b32 exec_lo, exec_lo, s0
	s_delay_alu instid0(SALU_CYCLE_1)
	s_mov_b32 s0, exec_lo
	v_cmpx_eq_u32_e32 0, v0
	s_cbranch_execz .LBB646_14
; %bb.13:
	s_lshl_b64 s[0:1], s[12:13], 3
	v_mov_b32_e32 v0, 0
	s_add_u32 s0, s2, s0
	s_addc_u32 s1, s3, s1
	s_waitcnt lgkmcnt(0)
	global_store_b64 v0, v[1:2], s[0:1]
.LBB646_14:
	s_nop 0
	s_sendmsg sendmsg(MSG_DEALLOC_VGPRS)
	s_endpgm
	.section	.rodata,"a",@progbits
	.p2align	6, 0x0
	.amdhsa_kernel _ZL18rocblas_dot_kernelIlLb1ELi1024ELi32ELb1EdPKPKddEviT5_lT_lS4_lS5_liPT6_PT4_
		.amdhsa_group_segment_fixed_size 256
		.amdhsa_private_segment_fixed_size 0
		.amdhsa_kernarg_size 352
		.amdhsa_user_sgpr_count 14
		.amdhsa_user_sgpr_dispatch_ptr 0
		.amdhsa_user_sgpr_queue_ptr 0
		.amdhsa_user_sgpr_kernarg_segment_ptr 1
		.amdhsa_user_sgpr_dispatch_id 0
		.amdhsa_user_sgpr_private_segment_size 0
		.amdhsa_wavefront_size32 1
		.amdhsa_uses_dynamic_stack 0
		.amdhsa_enable_private_segment 0
		.amdhsa_system_sgpr_workgroup_id_x 1
		.amdhsa_system_sgpr_workgroup_id_y 0
		.amdhsa_system_sgpr_workgroup_id_z 1
		.amdhsa_system_sgpr_workgroup_info 0
		.amdhsa_system_vgpr_workitem_id 0
		.amdhsa_next_free_vgpr 12
		.amdhsa_next_free_sgpr 25
		.amdhsa_reserve_vcc 1
		.amdhsa_float_round_mode_32 0
		.amdhsa_float_round_mode_16_64 0
		.amdhsa_float_denorm_mode_32 3
		.amdhsa_float_denorm_mode_16_64 3
		.amdhsa_dx10_clamp 1
		.amdhsa_ieee_mode 1
		.amdhsa_fp16_overflow 0
		.amdhsa_workgroup_processor_mode 1
		.amdhsa_memory_ordered 1
		.amdhsa_forward_progress 0
		.amdhsa_shared_vgpr_count 0
		.amdhsa_exception_fp_ieee_invalid_op 0
		.amdhsa_exception_fp_denorm_src 0
		.amdhsa_exception_fp_ieee_div_zero 0
		.amdhsa_exception_fp_ieee_overflow 0
		.amdhsa_exception_fp_ieee_underflow 0
		.amdhsa_exception_fp_ieee_inexact 0
		.amdhsa_exception_int_div_zero 0
	.end_amdhsa_kernel
	.section	.text._ZL18rocblas_dot_kernelIlLb1ELi1024ELi32ELb1EdPKPKddEviT5_lT_lS4_lS5_liPT6_PT4_,"axG",@progbits,_ZL18rocblas_dot_kernelIlLb1ELi1024ELi32ELb1EdPKPKddEviT5_lT_lS4_lS5_liPT6_PT4_,comdat
.Lfunc_end646:
	.size	_ZL18rocblas_dot_kernelIlLb1ELi1024ELi32ELb1EdPKPKddEviT5_lT_lS4_lS5_liPT6_PT4_, .Lfunc_end646-_ZL18rocblas_dot_kernelIlLb1ELi1024ELi32ELb1EdPKPKddEviT5_lT_lS4_lS5_liPT6_PT4_
                                        ; -- End function
	.section	.AMDGPU.csdata,"",@progbits
; Kernel info:
; codeLenInByte = 1116
; NumSgprs: 27
; NumVgprs: 12
; ScratchSize: 0
; MemoryBound: 0
; FloatMode: 240
; IeeeMode: 1
; LDSByteSize: 256 bytes/workgroup (compile time only)
; SGPRBlocks: 3
; VGPRBlocks: 1
; NumSGPRsForWavesPerEU: 27
; NumVGPRsForWavesPerEU: 12
; Occupancy: 16
; WaveLimiterHint : 0
; COMPUTE_PGM_RSRC2:SCRATCH_EN: 0
; COMPUTE_PGM_RSRC2:USER_SGPR: 14
; COMPUTE_PGM_RSRC2:TRAP_HANDLER: 0
; COMPUTE_PGM_RSRC2:TGID_X_EN: 1
; COMPUTE_PGM_RSRC2:TGID_Y_EN: 0
; COMPUTE_PGM_RSRC2:TGID_Z_EN: 1
; COMPUTE_PGM_RSRC2:TIDIG_COMP_CNT: 0
	.section	.text._ZL24rocblas_dot_kernel_magsqIlLb1ELi1024ELi32ELb1EdPKPKddEviT5_lT_liPT6_PT4_,"axG",@progbits,_ZL24rocblas_dot_kernel_magsqIlLb1ELi1024ELi32ELb1EdPKPKddEviT5_lT_liPT6_PT4_,comdat
	.globl	_ZL24rocblas_dot_kernel_magsqIlLb1ELi1024ELi32ELb1EdPKPKddEviT5_lT_liPT6_PT4_ ; -- Begin function _ZL24rocblas_dot_kernel_magsqIlLb1ELi1024ELi32ELb1EdPKPKddEviT5_lT_liPT6_PT4_
	.p2align	8
	.type	_ZL24rocblas_dot_kernel_magsqIlLb1ELi1024ELi32ELb1EdPKPKddEviT5_lT_liPT6_PT4_,@function
_ZL24rocblas_dot_kernel_magsqIlLb1ELi1024ELi32ELb1EdPKPKddEviT5_lT_liPT6_PT4_: ; @_ZL24rocblas_dot_kernel_magsqIlLb1ELi1024ELi32ELb1EdPKPKddEviT5_lT_liPT6_PT4_
; %bb.0:
	s_clause 0x1
	s_load_b32 s10, s[0:1], 0x0
	s_load_b64 s[2:3], s[0:1], 0x38
	v_mov_b32_e32 v1, 0
	v_mov_b32_e32 v2, 0
	s_mov_b32 s8, s15
	s_mov_b32 s9, 0
	s_mov_b32 s11, exec_lo
	s_waitcnt lgkmcnt(0)
	v_cmpx_gt_i32_e64 s10, v0
	s_cbranch_execz .LBB647_4
; %bb.1:
	s_clause 0x1
	s_load_b64 s[12:13], s[0:1], 0x8
	s_load_b128 s[4:7], s[0:1], 0x10
	s_lshl_b64 s[14:15], s[8:9], 3
	s_load_b32 s16, s[0:1], 0x40
	s_waitcnt lgkmcnt(0)
	s_add_u32 s0, s12, s14
	v_mad_u64_u32 v[3:4], null, s6, v0, 0
	s_addc_u32 s1, s13, s15
	s_lshl_b64 s[4:5], s[4:5], 3
	s_load_b64 s[12:13], s[0:1], 0x0
	s_lshl_b32 s1, s16, 10
	s_delay_alu instid0(SALU_CYCLE_1) | instskip(NEXT) | instid1(VALU_DEP_1)
	s_mul_hi_u32 s0, s6, s1
	v_mov_b32_e32 v1, v4
	s_delay_alu instid0(VALU_DEP_1) | instskip(SKIP_3) | instid1(VALU_DEP_4)
	v_mad_u64_u32 v[4:5], null, s7, v0, v[1:2]
	v_mov_b32_e32 v1, 0
	v_mov_b32_e32 v2, 0
	v_or_b32_e32 v5, s1, v0
	v_lshlrev_b64 v[3:4], 3, v[3:4]
	s_waitcnt lgkmcnt(0)
	s_add_u32 s12, s12, s4
	s_addc_u32 s13, s13, s5
	s_ashr_i32 s4, s1, 31
	s_delay_alu instid0(VALU_DEP_1)
	v_add_co_u32 v3, vcc_lo, s12, v3
	s_mul_i32 s4, s6, s4
	s_mul_i32 s5, s7, s1
	s_add_i32 s0, s0, s4
	v_add_co_ci_u32_e32 v4, vcc_lo, s13, v4, vcc_lo
	s_mul_i32 s4, s6, s1
	s_add_i32 s5, s0, s5
	s_mov_b32 s6, s9
	s_lshl_b64 s[4:5], s[4:5], 3
	s_mov_b32 s7, s9
	.p2align	6
.LBB647_2:                              ; =>This Inner Loop Header: Depth=1
	global_load_b64 v[6:7], v[3:4], off
	s_add_i32 s12, s7, 1
	v_cmp_le_i32_e32 vcc_lo, s10, v5
	s_cmp_gt_u32 s7, 30
	v_add_co_u32 v3, s0, v3, s4
	s_cselect_b32 s7, -1, 0
	v_add_nc_u32_e32 v5, s1, v5
	s_or_b32 s7, s7, vcc_lo
	v_add_co_ci_u32_e64 v4, vcc_lo, s5, v4, s0
	s_and_b32 s0, exec_lo, s7
	s_mov_b32 s7, s12
	s_or_b32 s6, s0, s6
	s_waitcnt vmcnt(0)
	v_fma_f64 v[1:2], v[6:7], v[6:7], v[1:2]
	s_and_not1_b32 exec_lo, exec_lo, s6
	s_cbranch_execnz .LBB647_2
; %bb.3:
	s_or_b32 exec_lo, exec_lo, s6
.LBB647_4:
	s_delay_alu instid0(SALU_CYCLE_1) | instskip(SKIP_2) | instid1(VALU_DEP_2)
	s_or_b32 exec_lo, exec_lo, s11
	v_and_b32_e32 v11, 31, v0
	v_cmp_gt_u32_e32 vcc_lo, 32, v0
	v_lshlrev_b32_e32 v5, 3, v11
	s_and_saveexec_b32 s0, vcc_lo
	s_cbranch_execz .LBB647_6
; %bb.5:
	v_mov_b32_e32 v3, 0
	s_delay_alu instid0(VALU_DEP_1)
	v_mov_b32_e32 v4, v3
	ds_store_b64 v5, v[3:4]
.LBB647_6:
	s_or_b32 exec_lo, exec_lo, s0
	v_mbcnt_lo_u32_b32 v10, -1, 0
	s_mov_b32 s1, exec_lo
	s_waitcnt lgkmcnt(0)
	s_barrier
	buffer_gl0_inv
	v_cmp_gt_u32_e64 s0, 16, v10
	s_delay_alu instid0(VALU_DEP_1) | instskip(SKIP_1) | instid1(VALU_DEP_2)
	v_cndmask_b32_e64 v3, 0, 1, s0
	v_cmp_gt_u32_e64 s0, 24, v10
	v_lshlrev_b32_e32 v3, 4, v3
	s_delay_alu instid0(VALU_DEP_1)
	v_add_lshl_u32 v6, v3, v10, 2
	ds_bpermute_b32 v3, v6, v1
	ds_bpermute_b32 v4, v6, v2
	s_waitcnt lgkmcnt(0)
	v_add_f64 v[1:2], v[1:2], v[3:4]
	v_cndmask_b32_e64 v3, 0, 1, s0
	v_cmp_gt_u32_e64 s0, 28, v10
	s_delay_alu instid0(VALU_DEP_2) | instskip(NEXT) | instid1(VALU_DEP_1)
	v_lshlrev_b32_e32 v3, 3, v3
	v_add_lshl_u32 v7, v3, v10, 2
	ds_bpermute_b32 v3, v7, v1
	ds_bpermute_b32 v4, v7, v2
	s_waitcnt lgkmcnt(0)
	v_add_f64 v[1:2], v[1:2], v[3:4]
	v_cndmask_b32_e64 v3, 0, 1, s0
	v_cmp_gt_u32_e64 s0, 30, v10
	s_delay_alu instid0(VALU_DEP_2) | instskip(NEXT) | instid1(VALU_DEP_1)
	v_lshlrev_b32_e32 v3, 2, v3
	v_add_lshl_u32 v8, v3, v10, 2
	ds_bpermute_b32 v3, v8, v1
	ds_bpermute_b32 v4, v8, v2
	s_waitcnt lgkmcnt(0)
	v_add_f64 v[1:2], v[1:2], v[3:4]
	v_cndmask_b32_e64 v3, 0, 1, s0
	v_cmp_ne_u32_e64 s0, 31, v10
	s_delay_alu instid0(VALU_DEP_2) | instskip(NEXT) | instid1(VALU_DEP_1)
	v_lshlrev_b32_e32 v3, 1, v3
	v_add_lshl_u32 v9, v3, v10, 2
	ds_bpermute_b32 v3, v9, v1
	ds_bpermute_b32 v4, v9, v2
	s_waitcnt lgkmcnt(0)
	v_add_f64 v[1:2], v[1:2], v[3:4]
	v_add_co_ci_u32_e64 v3, s0, 0, v10, s0
	s_delay_alu instid0(VALU_DEP_1)
	v_lshlrev_b32_e32 v10, 2, v3
	ds_bpermute_b32 v3, v10, v1
	ds_bpermute_b32 v4, v10, v2
	v_cmpx_eq_u32_e32 0, v11
	s_cbranch_execz .LBB647_8
; %bb.7:
	s_waitcnt lgkmcnt(0)
	v_add_f64 v[1:2], v[1:2], v[3:4]
	v_lshrrev_b32_e32 v3, 2, v0
	s_delay_alu instid0(VALU_DEP_1)
	v_and_b32_e32 v3, 0xf8, v3
	ds_store_b64 v3, v[1:2]
.LBB647_8:
	s_or_b32 exec_lo, exec_lo, s1
	v_mov_b32_e32 v1, 0
	v_mov_b32_e32 v2, 0
	s_waitcnt lgkmcnt(0)
	s_barrier
	buffer_gl0_inv
	s_and_saveexec_b32 s0, vcc_lo
	s_cbranch_execz .LBB647_10
; %bb.9:
	ds_load_b64 v[1:2], v5
.LBB647_10:
	s_or_b32 exec_lo, exec_lo, s0
	s_and_saveexec_b32 s0, vcc_lo
	s_cbranch_execz .LBB647_12
; %bb.11:
	s_waitcnt lgkmcnt(0)
	ds_bpermute_b32 v3, v6, v1
	ds_bpermute_b32 v4, v6, v2
	s_waitcnt lgkmcnt(0)
	v_add_f64 v[1:2], v[1:2], v[3:4]
	ds_bpermute_b32 v3, v7, v1
	ds_bpermute_b32 v4, v7, v2
	s_waitcnt lgkmcnt(0)
	v_add_f64 v[1:2], v[1:2], v[3:4]
	;; [unrolled: 4-line block ×5, first 2 shown]
.LBB647_12:
	s_or_b32 exec_lo, exec_lo, s0
	s_delay_alu instid0(SALU_CYCLE_1)
	s_mov_b32 s0, exec_lo
	v_cmpx_eq_u32_e32 0, v0
	s_cbranch_execz .LBB647_14
; %bb.13:
	s_lshl_b64 s[0:1], s[8:9], 3
	v_mov_b32_e32 v0, 0
	s_add_u32 s0, s2, s0
	s_addc_u32 s1, s3, s1
	s_waitcnt lgkmcnt(0)
	global_store_b64 v0, v[1:2], s[0:1]
.LBB647_14:
	s_nop 0
	s_sendmsg sendmsg(MSG_DEALLOC_VGPRS)
	s_endpgm
	.section	.rodata,"a",@progbits
	.p2align	6, 0x0
	.amdhsa_kernel _ZL24rocblas_dot_kernel_magsqIlLb1ELi1024ELi32ELb1EdPKPKddEviT5_lT_liPT6_PT4_
		.amdhsa_group_segment_fixed_size 256
		.amdhsa_private_segment_fixed_size 0
		.amdhsa_kernarg_size 320
		.amdhsa_user_sgpr_count 14
		.amdhsa_user_sgpr_dispatch_ptr 0
		.amdhsa_user_sgpr_queue_ptr 0
		.amdhsa_user_sgpr_kernarg_segment_ptr 1
		.amdhsa_user_sgpr_dispatch_id 0
		.amdhsa_user_sgpr_private_segment_size 0
		.amdhsa_wavefront_size32 1
		.amdhsa_uses_dynamic_stack 0
		.amdhsa_enable_private_segment 0
		.amdhsa_system_sgpr_workgroup_id_x 1
		.amdhsa_system_sgpr_workgroup_id_y 0
		.amdhsa_system_sgpr_workgroup_id_z 1
		.amdhsa_system_sgpr_workgroup_info 0
		.amdhsa_system_vgpr_workitem_id 0
		.amdhsa_next_free_vgpr 12
		.amdhsa_next_free_sgpr 17
		.amdhsa_reserve_vcc 1
		.amdhsa_float_round_mode_32 0
		.amdhsa_float_round_mode_16_64 0
		.amdhsa_float_denorm_mode_32 3
		.amdhsa_float_denorm_mode_16_64 3
		.amdhsa_dx10_clamp 1
		.amdhsa_ieee_mode 1
		.amdhsa_fp16_overflow 0
		.amdhsa_workgroup_processor_mode 1
		.amdhsa_memory_ordered 1
		.amdhsa_forward_progress 0
		.amdhsa_shared_vgpr_count 0
		.amdhsa_exception_fp_ieee_invalid_op 0
		.amdhsa_exception_fp_denorm_src 0
		.amdhsa_exception_fp_ieee_div_zero 0
		.amdhsa_exception_fp_ieee_overflow 0
		.amdhsa_exception_fp_ieee_underflow 0
		.amdhsa_exception_fp_ieee_inexact 0
		.amdhsa_exception_int_div_zero 0
	.end_amdhsa_kernel
	.section	.text._ZL24rocblas_dot_kernel_magsqIlLb1ELi1024ELi32ELb1EdPKPKddEviT5_lT_liPT6_PT4_,"axG",@progbits,_ZL24rocblas_dot_kernel_magsqIlLb1ELi1024ELi32ELb1EdPKPKddEviT5_lT_liPT6_PT4_,comdat
.Lfunc_end647:
	.size	_ZL24rocblas_dot_kernel_magsqIlLb1ELi1024ELi32ELb1EdPKPKddEviT5_lT_liPT6_PT4_, .Lfunc_end647-_ZL24rocblas_dot_kernel_magsqIlLb1ELi1024ELi32ELb1EdPKPKddEviT5_lT_liPT6_PT4_
                                        ; -- End function
	.section	.AMDGPU.csdata,"",@progbits
; Kernel info:
; codeLenInByte = 984
; NumSgprs: 19
; NumVgprs: 12
; ScratchSize: 0
; MemoryBound: 0
; FloatMode: 240
; IeeeMode: 1
; LDSByteSize: 256 bytes/workgroup (compile time only)
; SGPRBlocks: 2
; VGPRBlocks: 1
; NumSGPRsForWavesPerEU: 19
; NumVGPRsForWavesPerEU: 12
; Occupancy: 16
; WaveLimiterHint : 0
; COMPUTE_PGM_RSRC2:SCRATCH_EN: 0
; COMPUTE_PGM_RSRC2:USER_SGPR: 14
; COMPUTE_PGM_RSRC2:TRAP_HANDLER: 0
; COMPUTE_PGM_RSRC2:TGID_X_EN: 1
; COMPUTE_PGM_RSRC2:TGID_Y_EN: 0
; COMPUTE_PGM_RSRC2:TGID_Z_EN: 1
; COMPUTE_PGM_RSRC2:TIDIG_COMP_CNT: 0
	.section	.text._ZL18rocblas_dot_kernelIlLb0ELi512ELi2ELb1EdPKPKddEviT5_lT_lS4_lS5_liPT6_PT4_,"axG",@progbits,_ZL18rocblas_dot_kernelIlLb0ELi512ELi2ELb1EdPKPKddEviT5_lT_lS4_lS5_liPT6_PT4_,comdat
	.globl	_ZL18rocblas_dot_kernelIlLb0ELi512ELi2ELb1EdPKPKddEviT5_lT_lS4_lS5_liPT6_PT4_ ; -- Begin function _ZL18rocblas_dot_kernelIlLb0ELi512ELi2ELb1EdPKPKddEviT5_lT_lS4_lS5_liPT6_PT4_
	.p2align	8
	.type	_ZL18rocblas_dot_kernelIlLb0ELi512ELi2ELb1EdPKPKddEviT5_lT_lS4_lS5_liPT6_PT4_,@function
_ZL18rocblas_dot_kernelIlLb0ELi512ELi2ELb1EdPKPKddEviT5_lT_lS4_lS5_liPT6_PT4_: ; @_ZL18rocblas_dot_kernelIlLb0ELi512ELi2ELb1EdPKPKddEviT5_lT_lS4_lS5_liPT6_PT4_
; %bb.0:
	s_mov_b32 s12, s15
	s_clause 0x1
	s_load_b32 s15, s[0:1], 0x0
	s_load_b32 s3, s[0:1], 0x60
	v_mov_b32_e32 v1, 0
	v_lshl_or_b32 v3, s14, 9, v0
	v_mov_b32_e32 v2, 0
	s_mov_b32 s13, 0
	s_mov_b32 s2, exec_lo
	s_waitcnt lgkmcnt(0)
	v_cmpx_gt_i32_e64 s15, v3
	s_cbranch_execz .LBB648_4
; %bb.1:
	s_clause 0x1
	s_load_b64 s[8:9], s[0:1], 0x8
	s_load_b128 s[4:7], s[0:1], 0x10
	s_lshl_b64 s[16:17], s[12:13], 3
	v_ashrrev_i32_e32 v4, 31, v3
	s_waitcnt lgkmcnt(0)
	s_add_u32 s18, s8, s16
	s_addc_u32 s19, s9, s17
	s_load_b128 s[8:11], s[0:1], 0x30
	s_load_b64 s[18:19], s[18:19], 0x0
	s_load_b64 s[20:21], s[0:1], 0x28
	s_lshl_b64 s[4:5], s[4:5], 3
	v_mul_lo_u32 v8, v3, s7
	v_mul_lo_u32 v9, v4, s6
	s_waitcnt lgkmcnt(0)
	v_mul_lo_u32 v6, v3, s11
	s_add_u32 s4, s18, s4
	s_addc_u32 s5, s19, s5
	s_add_u32 s16, s20, s16
	s_addc_u32 s17, s21, s17
	v_mul_lo_u32 v7, v4, s10
	s_load_b64 s[16:17], s[16:17], 0x0
	v_mad_u64_u32 v[1:2], null, v3, s10, 0
	v_mad_u64_u32 v[4:5], null, v3, s6, 0
	s_lshl_b64 s[8:9], s[8:9], 3
	s_delay_alu instid0(VALU_DEP_2) | instskip(NEXT) | instid1(VALU_DEP_2)
	v_add3_u32 v2, v2, v6, v7
	v_add3_u32 v5, v5, v8, v9
	s_delay_alu instid0(VALU_DEP_2) | instskip(NEXT) | instid1(VALU_DEP_2)
	v_lshlrev_b64 v[1:2], 3, v[1:2]
	v_lshlrev_b64 v[3:4], 3, v[4:5]
	s_waitcnt lgkmcnt(0)
	s_add_u32 s8, s16, s8
	s_addc_u32 s9, s17, s9
	s_delay_alu instid0(VALU_DEP_2)
	v_add_co_u32 v1, vcc_lo, s8, v1
	v_add_co_ci_u32_e32 v2, vcc_lo, s9, v2, vcc_lo
	v_add_co_u32 v3, vcc_lo, s4, v3
	v_add_co_ci_u32_e32 v4, vcc_lo, s5, v4, vcc_lo
	s_add_i32 s16, s14, s3
	global_load_b64 v[1:2], v[1:2], off
	global_load_b64 v[3:4], v[3:4], off
	s_waitcnt vmcnt(0)
	v_fma_f64 v[1:2], v[1:2], v[3:4], 0
	v_lshl_or_b32 v3, s16, 9, v0
	s_delay_alu instid0(VALU_DEP_1)
	v_cmp_gt_i32_e32 vcc_lo, s15, v3
	s_and_saveexec_b32 s15, vcc_lo
	s_cbranch_execz .LBB648_3
; %bb.2:
	v_ashrrev_i32_e32 v8, 31, v3
	v_mul_lo_u32 v9, v3, s11
	v_mad_u64_u32 v[4:5], null, v3, s10, 0
	v_mul_lo_u32 v11, v3, s7
	s_delay_alu instid0(VALU_DEP_4) | instskip(SKIP_2) | instid1(VALU_DEP_3)
	v_mul_lo_u32 v10, v8, s10
	v_mad_u64_u32 v[6:7], null, v3, s6, 0
	v_mul_lo_u32 v3, v8, s6
	v_add3_u32 v5, v5, v9, v10
	s_delay_alu instid0(VALU_DEP_2) | instskip(NEXT) | instid1(VALU_DEP_2)
	v_add3_u32 v7, v7, v11, v3
	v_lshlrev_b64 v[3:4], 3, v[4:5]
	s_delay_alu instid0(VALU_DEP_2) | instskip(NEXT) | instid1(VALU_DEP_2)
	v_lshlrev_b64 v[5:6], 3, v[6:7]
	v_add_co_u32 v3, vcc_lo, s8, v3
	s_delay_alu instid0(VALU_DEP_3) | instskip(NEXT) | instid1(VALU_DEP_3)
	v_add_co_ci_u32_e32 v4, vcc_lo, s9, v4, vcc_lo
	v_add_co_u32 v5, vcc_lo, s4, v5
	s_delay_alu instid0(VALU_DEP_4)
	v_add_co_ci_u32_e32 v6, vcc_lo, s5, v6, vcc_lo
	global_load_b64 v[3:4], v[3:4], off
	global_load_b64 v[5:6], v[5:6], off
	s_waitcnt vmcnt(0)
	v_fma_f64 v[1:2], v[3:4], v[5:6], v[1:2]
.LBB648_3:
	s_or_b32 exec_lo, exec_lo, s15
.LBB648_4:
	s_delay_alu instid0(SALU_CYCLE_1) | instskip(SKIP_2) | instid1(VALU_DEP_2)
	s_or_b32 exec_lo, exec_lo, s2
	v_and_b32_e32 v10, 31, v0
	v_cmp_gt_u32_e32 vcc_lo, 32, v0
	v_lshlrev_b32_e32 v5, 3, v10
	s_and_saveexec_b32 s2, vcc_lo
	s_cbranch_execz .LBB648_6
; %bb.5:
	v_mov_b32_e32 v3, 0
	s_delay_alu instid0(VALU_DEP_1)
	v_mov_b32_e32 v4, v3
	ds_store_b64 v5, v[3:4]
.LBB648_6:
	s_or_b32 exec_lo, exec_lo, s2
	v_mbcnt_lo_u32_b32 v9, -1, 0
	s_mov_b32 s4, exec_lo
	s_waitcnt lgkmcnt(0)
	s_barrier
	buffer_gl0_inv
	v_cmp_gt_u32_e64 s2, 16, v9
	s_delay_alu instid0(VALU_DEP_1) | instskip(SKIP_1) | instid1(VALU_DEP_2)
	v_cndmask_b32_e64 v3, 0, 1, s2
	v_cmp_gt_u32_e64 s2, 24, v9
	v_lshlrev_b32_e32 v3, 4, v3
	s_delay_alu instid0(VALU_DEP_1)
	v_add_lshl_u32 v4, v3, v9, 2
	ds_bpermute_b32 v3, v4, v1
	ds_bpermute_b32 v4, v4, v2
	s_waitcnt lgkmcnt(0)
	v_add_f64 v[1:2], v[1:2], v[3:4]
	v_cndmask_b32_e64 v3, 0, 1, s2
	v_cmp_gt_u32_e64 s2, 28, v9
	s_delay_alu instid0(VALU_DEP_2) | instskip(NEXT) | instid1(VALU_DEP_1)
	v_lshlrev_b32_e32 v3, 3, v3
	v_add_lshl_u32 v6, v3, v9, 2
	ds_bpermute_b32 v3, v6, v1
	ds_bpermute_b32 v4, v6, v2
	s_waitcnt lgkmcnt(0)
	v_add_f64 v[1:2], v[1:2], v[3:4]
	v_cndmask_b32_e64 v3, 0, 1, s2
	v_cmp_gt_u32_e64 s2, 30, v9
	s_delay_alu instid0(VALU_DEP_2) | instskip(NEXT) | instid1(VALU_DEP_1)
	v_lshlrev_b32_e32 v3, 2, v3
	v_add_lshl_u32 v7, v3, v9, 2
	ds_bpermute_b32 v3, v7, v1
	ds_bpermute_b32 v4, v7, v2
	s_waitcnt lgkmcnt(0)
	v_add_f64 v[1:2], v[1:2], v[3:4]
	v_cndmask_b32_e64 v3, 0, 1, s2
	v_cmp_ne_u32_e64 s2, 31, v9
	s_delay_alu instid0(VALU_DEP_2) | instskip(NEXT) | instid1(VALU_DEP_1)
	v_lshlrev_b32_e32 v3, 1, v3
	v_add_lshl_u32 v8, v3, v9, 2
	ds_bpermute_b32 v3, v8, v1
	ds_bpermute_b32 v4, v8, v2
	s_waitcnt lgkmcnt(0)
	v_add_f64 v[1:2], v[1:2], v[3:4]
	v_add_co_ci_u32_e64 v3, s2, 0, v9, s2
	s_delay_alu instid0(VALU_DEP_1)
	v_lshlrev_b32_e32 v9, 2, v3
	ds_bpermute_b32 v3, v9, v1
	ds_bpermute_b32 v4, v9, v2
	v_cmpx_eq_u32_e32 0, v10
	s_cbranch_execz .LBB648_8
; %bb.7:
	s_waitcnt lgkmcnt(0)
	v_add_f64 v[1:2], v[1:2], v[3:4]
	v_lshrrev_b32_e32 v3, 2, v0
	s_delay_alu instid0(VALU_DEP_1)
	v_and_b32_e32 v3, 0x78, v3
	ds_store_b64 v3, v[1:2]
.LBB648_8:
	s_or_b32 exec_lo, exec_lo, s4
	v_mov_b32_e32 v1, 0
	v_mov_b32_e32 v2, 0
	s_mov_b32 s4, exec_lo
	s_waitcnt lgkmcnt(0)
	s_barrier
	buffer_gl0_inv
	v_cmpx_gt_u32_e32 16, v0
	s_cbranch_execz .LBB648_10
; %bb.9:
	ds_load_b64 v[1:2], v5
.LBB648_10:
	s_or_b32 exec_lo, exec_lo, s4
	s_and_saveexec_b32 s2, vcc_lo
	s_cbranch_execz .LBB648_12
; %bb.11:
	s_waitcnt lgkmcnt(0)
	ds_bpermute_b32 v3, v6, v1
	ds_bpermute_b32 v4, v6, v2
	s_waitcnt lgkmcnt(0)
	v_add_f64 v[1:2], v[1:2], v[3:4]
	ds_bpermute_b32 v3, v7, v1
	ds_bpermute_b32 v4, v7, v2
	s_waitcnt lgkmcnt(0)
	v_add_f64 v[1:2], v[1:2], v[3:4]
	ds_bpermute_b32 v3, v8, v1
	ds_bpermute_b32 v4, v8, v2
	s_waitcnt lgkmcnt(0)
	v_add_f64 v[1:2], v[1:2], v[3:4]
	ds_bpermute_b32 v3, v9, v1
	ds_bpermute_b32 v4, v9, v2
	s_waitcnt lgkmcnt(0)
	v_add_f64 v[1:2], v[1:2], v[3:4]
.LBB648_12:
	s_or_b32 exec_lo, exec_lo, s2
	s_delay_alu instid0(SALU_CYCLE_1)
	s_mov_b32 s2, exec_lo
	v_cmpx_eq_u32_e32 0, v0
	s_cbranch_execz .LBB648_18
; %bb.13:
	s_cmp_lg_u32 s3, 1
	s_cbranch_scc0 .LBB648_15
; %bb.14:
	s_load_b64 s[4:5], s[0:1], 0x50
	s_mul_hi_u32 s7, s3, s12
	s_mul_i32 s6, s3, s12
	s_mov_b32 s15, 0
	s_lshl_b64 s[2:3], s[6:7], 3
	s_waitcnt lgkmcnt(0)
	s_add_u32 s4, s4, s2
	s_addc_u32 s5, s5, s3
	s_lshl_b64 s[2:3], s[14:15], 3
	s_delay_alu instid0(SALU_CYCLE_1)
	s_add_u32 s2, s4, s2
	s_addc_u32 s3, s5, s3
	s_cbranch_execz .LBB648_16
	s_branch .LBB648_17
.LBB648_15:
                                        ; implicit-def: $sgpr2_sgpr3
.LBB648_16:
	s_load_b64 s[0:1], s[0:1], 0x58
	s_lshl_b64 s[2:3], s[12:13], 3
	s_waitcnt lgkmcnt(0)
	s_add_u32 s2, s0, s2
	s_addc_u32 s3, s1, s3
.LBB648_17:
	v_mov_b32_e32 v0, 0
	s_waitcnt lgkmcnt(0)
	global_store_b64 v0, v[1:2], s[2:3]
.LBB648_18:
	s_nop 0
	s_sendmsg sendmsg(MSG_DEALLOC_VGPRS)
	s_endpgm
	.section	.rodata,"a",@progbits
	.p2align	6, 0x0
	.amdhsa_kernel _ZL18rocblas_dot_kernelIlLb0ELi512ELi2ELb1EdPKPKddEviT5_lT_lS4_lS5_liPT6_PT4_
		.amdhsa_group_segment_fixed_size 256
		.amdhsa_private_segment_fixed_size 0
		.amdhsa_kernarg_size 352
		.amdhsa_user_sgpr_count 14
		.amdhsa_user_sgpr_dispatch_ptr 0
		.amdhsa_user_sgpr_queue_ptr 0
		.amdhsa_user_sgpr_kernarg_segment_ptr 1
		.amdhsa_user_sgpr_dispatch_id 0
		.amdhsa_user_sgpr_private_segment_size 0
		.amdhsa_wavefront_size32 1
		.amdhsa_uses_dynamic_stack 0
		.amdhsa_enable_private_segment 0
		.amdhsa_system_sgpr_workgroup_id_x 1
		.amdhsa_system_sgpr_workgroup_id_y 0
		.amdhsa_system_sgpr_workgroup_id_z 1
		.amdhsa_system_sgpr_workgroup_info 0
		.amdhsa_system_vgpr_workitem_id 0
		.amdhsa_next_free_vgpr 12
		.amdhsa_next_free_sgpr 22
		.amdhsa_reserve_vcc 1
		.amdhsa_float_round_mode_32 0
		.amdhsa_float_round_mode_16_64 0
		.amdhsa_float_denorm_mode_32 3
		.amdhsa_float_denorm_mode_16_64 3
		.amdhsa_dx10_clamp 1
		.amdhsa_ieee_mode 1
		.amdhsa_fp16_overflow 0
		.amdhsa_workgroup_processor_mode 1
		.amdhsa_memory_ordered 1
		.amdhsa_forward_progress 0
		.amdhsa_shared_vgpr_count 0
		.amdhsa_exception_fp_ieee_invalid_op 0
		.amdhsa_exception_fp_denorm_src 0
		.amdhsa_exception_fp_ieee_div_zero 0
		.amdhsa_exception_fp_ieee_overflow 0
		.amdhsa_exception_fp_ieee_underflow 0
		.amdhsa_exception_fp_ieee_inexact 0
		.amdhsa_exception_int_div_zero 0
	.end_amdhsa_kernel
	.section	.text._ZL18rocblas_dot_kernelIlLb0ELi512ELi2ELb1EdPKPKddEviT5_lT_lS4_lS5_liPT6_PT4_,"axG",@progbits,_ZL18rocblas_dot_kernelIlLb0ELi512ELi2ELb1EdPKPKddEviT5_lT_lS4_lS5_liPT6_PT4_,comdat
.Lfunc_end648:
	.size	_ZL18rocblas_dot_kernelIlLb0ELi512ELi2ELb1EdPKPKddEviT5_lT_lS4_lS5_liPT6_PT4_, .Lfunc_end648-_ZL18rocblas_dot_kernelIlLb0ELi512ELi2ELb1EdPKPKddEviT5_lT_lS4_lS5_liPT6_PT4_
                                        ; -- End function
	.section	.AMDGPU.csdata,"",@progbits
; Kernel info:
; codeLenInByte = 1232
; NumSgprs: 24
; NumVgprs: 12
; ScratchSize: 0
; MemoryBound: 0
; FloatMode: 240
; IeeeMode: 1
; LDSByteSize: 256 bytes/workgroup (compile time only)
; SGPRBlocks: 2
; VGPRBlocks: 1
; NumSGPRsForWavesPerEU: 24
; NumVGPRsForWavesPerEU: 12
; Occupancy: 16
; WaveLimiterHint : 1
; COMPUTE_PGM_RSRC2:SCRATCH_EN: 0
; COMPUTE_PGM_RSRC2:USER_SGPR: 14
; COMPUTE_PGM_RSRC2:TRAP_HANDLER: 0
; COMPUTE_PGM_RSRC2:TGID_X_EN: 1
; COMPUTE_PGM_RSRC2:TGID_Y_EN: 0
; COMPUTE_PGM_RSRC2:TGID_Z_EN: 1
; COMPUTE_PGM_RSRC2:TIDIG_COMP_CNT: 0
	.section	.text._ZL24rocblas_dot_kernel_magsqIlLb0ELi512ELi2ELb1EdPKPKddEviT5_lT_liPT6_PT4_,"axG",@progbits,_ZL24rocblas_dot_kernel_magsqIlLb0ELi512ELi2ELb1EdPKPKddEviT5_lT_liPT6_PT4_,comdat
	.globl	_ZL24rocblas_dot_kernel_magsqIlLb0ELi512ELi2ELb1EdPKPKddEviT5_lT_liPT6_PT4_ ; -- Begin function _ZL24rocblas_dot_kernel_magsqIlLb0ELi512ELi2ELb1EdPKPKddEviT5_lT_liPT6_PT4_
	.p2align	8
	.type	_ZL24rocblas_dot_kernel_magsqIlLb0ELi512ELi2ELb1EdPKPKddEviT5_lT_liPT6_PT4_,@function
_ZL24rocblas_dot_kernel_magsqIlLb0ELi512ELi2ELb1EdPKPKddEviT5_lT_liPT6_PT4_: ; @_ZL24rocblas_dot_kernel_magsqIlLb0ELi512ELi2ELb1EdPKPKddEviT5_lT_liPT6_PT4_
; %bb.0:
	s_clause 0x1
	s_load_b32 s10, s[0:1], 0x0
	s_load_b32 s3, s[0:1], 0x40
	v_mov_b32_e32 v1, 0
	v_lshl_or_b32 v3, s14, 9, v0
	v_mov_b32_e32 v2, 0
	s_mov_b32 s8, s15
	s_mov_b32 s9, 0
	s_mov_b32 s2, exec_lo
	s_waitcnt lgkmcnt(0)
	v_cmpx_gt_i32_e64 s10, v3
	s_cbranch_execz .LBB649_4
; %bb.1:
	s_clause 0x1
	s_load_b64 s[12:13], s[0:1], 0x8
	s_load_b128 s[4:7], s[0:1], 0x10
	s_lshl_b64 s[16:17], s[8:9], 3
	v_ashrrev_i32_e32 v1, 31, v3
	s_waitcnt lgkmcnt(0)
	s_add_u32 s12, s12, s16
	s_addc_u32 s13, s13, s17
	v_mul_lo_u32 v4, v3, s7
	s_load_b64 s[12:13], s[12:13], 0x0
	v_mul_lo_u32 v5, v1, s6
	v_mad_u64_u32 v[1:2], null, v3, s6, 0
	s_lshl_b64 s[4:5], s[4:5], 3
	s_delay_alu instid0(VALU_DEP_1) | instskip(NEXT) | instid1(VALU_DEP_1)
	v_add3_u32 v2, v2, v4, v5
	v_lshlrev_b64 v[1:2], 3, v[1:2]
	s_waitcnt lgkmcnt(0)
	s_add_u32 s4, s12, s4
	s_addc_u32 s5, s13, s5
	s_delay_alu instid0(VALU_DEP_1) | instskip(NEXT) | instid1(VALU_DEP_2)
	v_add_co_u32 v1, vcc_lo, s4, v1
	v_add_co_ci_u32_e32 v2, vcc_lo, s5, v2, vcc_lo
	s_add_i32 s11, s14, s3
	s_delay_alu instid0(SALU_CYCLE_1)
	v_lshl_or_b32 v3, s11, 9, v0
	global_load_b64 v[1:2], v[1:2], off
	v_cmp_gt_i32_e32 vcc_lo, s10, v3
	s_waitcnt vmcnt(0)
	v_mul_f64 v[1:2], v[1:2], v[1:2]
	s_and_saveexec_b32 s10, vcc_lo
	s_cbranch_execz .LBB649_3
; %bb.2:
	v_ashrrev_i32_e32 v6, 31, v3
	v_mul_lo_u32 v7, v3, s7
	v_mad_u64_u32 v[4:5], null, v3, s6, 0
	s_delay_alu instid0(VALU_DEP_3) | instskip(NEXT) | instid1(VALU_DEP_1)
	v_mul_lo_u32 v3, v6, s6
	v_add3_u32 v5, v5, v7, v3
	s_delay_alu instid0(VALU_DEP_1) | instskip(NEXT) | instid1(VALU_DEP_1)
	v_lshlrev_b64 v[3:4], 3, v[4:5]
	v_add_co_u32 v3, vcc_lo, s4, v3
	s_delay_alu instid0(VALU_DEP_2)
	v_add_co_ci_u32_e32 v4, vcc_lo, s5, v4, vcc_lo
	global_load_b64 v[3:4], v[3:4], off
	s_waitcnt vmcnt(0)
	v_fma_f64 v[1:2], v[3:4], v[3:4], v[1:2]
.LBB649_3:
	s_or_b32 exec_lo, exec_lo, s10
.LBB649_4:
	s_delay_alu instid0(SALU_CYCLE_1) | instskip(SKIP_2) | instid1(VALU_DEP_2)
	s_or_b32 exec_lo, exec_lo, s2
	v_and_b32_e32 v10, 31, v0
	v_cmp_gt_u32_e32 vcc_lo, 32, v0
	v_lshlrev_b32_e32 v5, 3, v10
	s_and_saveexec_b32 s2, vcc_lo
	s_cbranch_execz .LBB649_6
; %bb.5:
	v_mov_b32_e32 v3, 0
	s_delay_alu instid0(VALU_DEP_1)
	v_mov_b32_e32 v4, v3
	ds_store_b64 v5, v[3:4]
.LBB649_6:
	s_or_b32 exec_lo, exec_lo, s2
	v_mbcnt_lo_u32_b32 v9, -1, 0
	s_mov_b32 s4, exec_lo
	s_waitcnt lgkmcnt(0)
	s_barrier
	buffer_gl0_inv
	v_cmp_gt_u32_e64 s2, 16, v9
	s_delay_alu instid0(VALU_DEP_1) | instskip(SKIP_1) | instid1(VALU_DEP_2)
	v_cndmask_b32_e64 v3, 0, 1, s2
	v_cmp_gt_u32_e64 s2, 24, v9
	v_lshlrev_b32_e32 v3, 4, v3
	s_delay_alu instid0(VALU_DEP_1)
	v_add_lshl_u32 v4, v3, v9, 2
	ds_bpermute_b32 v3, v4, v1
	ds_bpermute_b32 v4, v4, v2
	s_waitcnt lgkmcnt(0)
	v_add_f64 v[1:2], v[1:2], v[3:4]
	v_cndmask_b32_e64 v3, 0, 1, s2
	v_cmp_gt_u32_e64 s2, 28, v9
	s_delay_alu instid0(VALU_DEP_2) | instskip(NEXT) | instid1(VALU_DEP_1)
	v_lshlrev_b32_e32 v3, 3, v3
	v_add_lshl_u32 v6, v3, v9, 2
	ds_bpermute_b32 v3, v6, v1
	ds_bpermute_b32 v4, v6, v2
	s_waitcnt lgkmcnt(0)
	v_add_f64 v[1:2], v[1:2], v[3:4]
	v_cndmask_b32_e64 v3, 0, 1, s2
	v_cmp_gt_u32_e64 s2, 30, v9
	s_delay_alu instid0(VALU_DEP_2) | instskip(NEXT) | instid1(VALU_DEP_1)
	v_lshlrev_b32_e32 v3, 2, v3
	v_add_lshl_u32 v7, v3, v9, 2
	ds_bpermute_b32 v3, v7, v1
	ds_bpermute_b32 v4, v7, v2
	s_waitcnt lgkmcnt(0)
	v_add_f64 v[1:2], v[1:2], v[3:4]
	v_cndmask_b32_e64 v3, 0, 1, s2
	v_cmp_ne_u32_e64 s2, 31, v9
	s_delay_alu instid0(VALU_DEP_2) | instskip(NEXT) | instid1(VALU_DEP_1)
	v_lshlrev_b32_e32 v3, 1, v3
	v_add_lshl_u32 v8, v3, v9, 2
	ds_bpermute_b32 v3, v8, v1
	ds_bpermute_b32 v4, v8, v2
	s_waitcnt lgkmcnt(0)
	v_add_f64 v[1:2], v[1:2], v[3:4]
	v_add_co_ci_u32_e64 v3, s2, 0, v9, s2
	s_delay_alu instid0(VALU_DEP_1)
	v_lshlrev_b32_e32 v9, 2, v3
	ds_bpermute_b32 v3, v9, v1
	ds_bpermute_b32 v4, v9, v2
	v_cmpx_eq_u32_e32 0, v10
	s_cbranch_execz .LBB649_8
; %bb.7:
	s_waitcnt lgkmcnt(0)
	v_add_f64 v[1:2], v[1:2], v[3:4]
	v_lshrrev_b32_e32 v3, 2, v0
	s_delay_alu instid0(VALU_DEP_1)
	v_and_b32_e32 v3, 0x78, v3
	ds_store_b64 v3, v[1:2]
.LBB649_8:
	s_or_b32 exec_lo, exec_lo, s4
	v_mov_b32_e32 v1, 0
	v_mov_b32_e32 v2, 0
	s_mov_b32 s4, exec_lo
	s_waitcnt lgkmcnt(0)
	s_barrier
	buffer_gl0_inv
	v_cmpx_gt_u32_e32 16, v0
	s_cbranch_execz .LBB649_10
; %bb.9:
	ds_load_b64 v[1:2], v5
.LBB649_10:
	s_or_b32 exec_lo, exec_lo, s4
	s_and_saveexec_b32 s2, vcc_lo
	s_cbranch_execz .LBB649_12
; %bb.11:
	s_waitcnt lgkmcnt(0)
	ds_bpermute_b32 v3, v6, v1
	ds_bpermute_b32 v4, v6, v2
	s_waitcnt lgkmcnt(0)
	v_add_f64 v[1:2], v[1:2], v[3:4]
	ds_bpermute_b32 v3, v7, v1
	ds_bpermute_b32 v4, v7, v2
	s_waitcnt lgkmcnt(0)
	v_add_f64 v[1:2], v[1:2], v[3:4]
	;; [unrolled: 4-line block ×4, first 2 shown]
.LBB649_12:
	s_or_b32 exec_lo, exec_lo, s2
	s_delay_alu instid0(SALU_CYCLE_1)
	s_mov_b32 s2, exec_lo
	v_cmpx_eq_u32_e32 0, v0
	s_cbranch_execz .LBB649_18
; %bb.13:
	s_cmp_lg_u32 s3, 1
	s_cbranch_scc0 .LBB649_15
; %bb.14:
	s_load_b64 s[4:5], s[0:1], 0x30
	s_mul_hi_u32 s7, s3, s8
	s_mul_i32 s6, s3, s8
	s_mov_b32 s15, 0
	s_lshl_b64 s[2:3], s[6:7], 3
	s_waitcnt lgkmcnt(0)
	s_add_u32 s4, s4, s2
	s_addc_u32 s5, s5, s3
	s_lshl_b64 s[2:3], s[14:15], 3
	s_delay_alu instid0(SALU_CYCLE_1)
	s_add_u32 s2, s4, s2
	s_addc_u32 s3, s5, s3
	s_cbranch_execz .LBB649_16
	s_branch .LBB649_17
.LBB649_15:
                                        ; implicit-def: $sgpr2_sgpr3
.LBB649_16:
	s_load_b64 s[0:1], s[0:1], 0x38
	s_lshl_b64 s[2:3], s[8:9], 3
	s_waitcnt lgkmcnt(0)
	s_add_u32 s2, s0, s2
	s_addc_u32 s3, s1, s3
.LBB649_17:
	v_mov_b32_e32 v0, 0
	s_waitcnt lgkmcnt(0)
	global_store_b64 v0, v[1:2], s[2:3]
.LBB649_18:
	s_nop 0
	s_sendmsg sendmsg(MSG_DEALLOC_VGPRS)
	s_endpgm
	.section	.rodata,"a",@progbits
	.p2align	6, 0x0
	.amdhsa_kernel _ZL24rocblas_dot_kernel_magsqIlLb0ELi512ELi2ELb1EdPKPKddEviT5_lT_liPT6_PT4_
		.amdhsa_group_segment_fixed_size 256
		.amdhsa_private_segment_fixed_size 0
		.amdhsa_kernarg_size 320
		.amdhsa_user_sgpr_count 14
		.amdhsa_user_sgpr_dispatch_ptr 0
		.amdhsa_user_sgpr_queue_ptr 0
		.amdhsa_user_sgpr_kernarg_segment_ptr 1
		.amdhsa_user_sgpr_dispatch_id 0
		.amdhsa_user_sgpr_private_segment_size 0
		.amdhsa_wavefront_size32 1
		.amdhsa_uses_dynamic_stack 0
		.amdhsa_enable_private_segment 0
		.amdhsa_system_sgpr_workgroup_id_x 1
		.amdhsa_system_sgpr_workgroup_id_y 0
		.amdhsa_system_sgpr_workgroup_id_z 1
		.amdhsa_system_sgpr_workgroup_info 0
		.amdhsa_system_vgpr_workitem_id 0
		.amdhsa_next_free_vgpr 11
		.amdhsa_next_free_sgpr 18
		.amdhsa_reserve_vcc 1
		.amdhsa_float_round_mode_32 0
		.amdhsa_float_round_mode_16_64 0
		.amdhsa_float_denorm_mode_32 3
		.amdhsa_float_denorm_mode_16_64 3
		.amdhsa_dx10_clamp 1
		.amdhsa_ieee_mode 1
		.amdhsa_fp16_overflow 0
		.amdhsa_workgroup_processor_mode 1
		.amdhsa_memory_ordered 1
		.amdhsa_forward_progress 0
		.amdhsa_shared_vgpr_count 0
		.amdhsa_exception_fp_ieee_invalid_op 0
		.amdhsa_exception_fp_denorm_src 0
		.amdhsa_exception_fp_ieee_div_zero 0
		.amdhsa_exception_fp_ieee_overflow 0
		.amdhsa_exception_fp_ieee_underflow 0
		.amdhsa_exception_fp_ieee_inexact 0
		.amdhsa_exception_int_div_zero 0
	.end_amdhsa_kernel
	.section	.text._ZL24rocblas_dot_kernel_magsqIlLb0ELi512ELi2ELb1EdPKPKddEviT5_lT_liPT6_PT4_,"axG",@progbits,_ZL24rocblas_dot_kernel_magsqIlLb0ELi512ELi2ELb1EdPKPKddEviT5_lT_liPT6_PT4_,comdat
.Lfunc_end649:
	.size	_ZL24rocblas_dot_kernel_magsqIlLb0ELi512ELi2ELb1EdPKPKddEviT5_lT_liPT6_PT4_, .Lfunc_end649-_ZL24rocblas_dot_kernel_magsqIlLb0ELi512ELi2ELb1EdPKPKddEviT5_lT_liPT6_PT4_
                                        ; -- End function
	.section	.AMDGPU.csdata,"",@progbits
; Kernel info:
; codeLenInByte = 1052
; NumSgprs: 20
; NumVgprs: 11
; ScratchSize: 0
; MemoryBound: 0
; FloatMode: 240
; IeeeMode: 1
; LDSByteSize: 256 bytes/workgroup (compile time only)
; SGPRBlocks: 2
; VGPRBlocks: 1
; NumSGPRsForWavesPerEU: 20
; NumVGPRsForWavesPerEU: 11
; Occupancy: 16
; WaveLimiterHint : 1
; COMPUTE_PGM_RSRC2:SCRATCH_EN: 0
; COMPUTE_PGM_RSRC2:USER_SGPR: 14
; COMPUTE_PGM_RSRC2:TRAP_HANDLER: 0
; COMPUTE_PGM_RSRC2:TGID_X_EN: 1
; COMPUTE_PGM_RSRC2:TGID_Y_EN: 0
; COMPUTE_PGM_RSRC2:TGID_Z_EN: 1
; COMPUTE_PGM_RSRC2:TIDIG_COMP_CNT: 0
	.text
	.p2alignl 7, 3214868480
	.fill 96, 4, 3214868480
	.type	__hip_cuid_3c10324a3c746dae,@object ; @__hip_cuid_3c10324a3c746dae
	.section	.bss,"aw",@nobits
	.globl	__hip_cuid_3c10324a3c746dae
__hip_cuid_3c10324a3c746dae:
	.byte	0                               ; 0x0
	.size	__hip_cuid_3c10324a3c746dae, 1

	.ident	"AMD clang version 19.0.0git (https://github.com/RadeonOpenCompute/llvm-project roc-6.4.0 25133 c7fe45cf4b819c5991fe208aaa96edf142730f1d)"
	.section	".note.GNU-stack","",@progbits
	.addrsig
	.addrsig_sym __hip_cuid_3c10324a3c746dae
	.amdgpu_metadata
---
amdhsa.kernels:
  - .args:
      - .offset:         0
        .size:           4
        .value_kind:     by_value
      - .actual_access:  read_only
        .address_space:  global
        .offset:         8
        .size:           8
        .value_kind:     global_buffer
      - .offset:         16
        .size:           8
        .value_kind:     by_value
      - .offset:         24
        .size:           4
        .value_kind:     by_value
      - .offset:         32
        .size:           8
        .value_kind:     by_value
      - .actual_access:  read_only
        .address_space:  global
        .offset:         40
        .size:           8
        .value_kind:     global_buffer
      - .offset:         48
        .size:           8
        .value_kind:     by_value
      - .offset:         56
        .size:           4
        .value_kind:     by_value
      - .offset:         64
        .size:           8
        .value_kind:     by_value
      - .offset:         72
        .size:           4
        .value_kind:     by_value
      - .actual_access:  write_only
        .address_space:  global
        .offset:         80
        .size:           8
        .value_kind:     global_buffer
    .group_segment_fixed_size: 0
    .kernarg_segment_align: 8
    .kernarg_segment_size: 88
    .language:       OpenCL C
    .language_version:
      - 2
      - 0
    .max_flat_workgroup_size: 128
    .name:           _ZL28rocblas_dot_batched_4_kernelIiLi32ELi4ELb0EDF16_DF16_PKDF16_EviT5_lT_lS2_lS3_liPT4_
    .private_segment_fixed_size: 0
    .sgpr_count:     22
    .sgpr_spill_count: 0
    .symbol:         _ZL28rocblas_dot_batched_4_kernelIiLi32ELi4ELb0EDF16_DF16_PKDF16_EviT5_lT_lS2_lS3_liPT4_.kd
    .uniform_work_group_size: 1
    .uses_dynamic_stack: false
    .vgpr_count:     14
    .vgpr_spill_count: 0
    .wavefront_size: 32
    .workgroup_processor_mode: 1
  - .args:
      - .offset:         0
        .size:           4
        .value_kind:     by_value
      - .actual_access:  read_only
        .address_space:  global
        .offset:         8
        .size:           8
        .value_kind:     global_buffer
      - .offset:         16
        .size:           8
        .value_kind:     by_value
      - .offset:         24
        .size:           4
        .value_kind:     by_value
      - .offset:         32
        .size:           8
        .value_kind:     by_value
      - .actual_access:  read_only
        .address_space:  global
        .offset:         40
        .size:           8
        .value_kind:     global_buffer
      - .offset:         48
        .size:           8
        .value_kind:     by_value
      - .offset:         56
        .size:           4
        .value_kind:     by_value
      - .offset:         64
        .size:           8
        .value_kind:     by_value
      - .offset:         72
        .size:           4
        .value_kind:     by_value
      - .actual_access:  write_only
        .address_space:  global
        .offset:         80
        .size:           8
        .value_kind:     global_buffer
    .group_segment_fixed_size: 0
    .kernarg_segment_align: 8
    .kernarg_segment_size: 88
    .language:       OpenCL C
    .language_version:
      - 2
      - 0
    .max_flat_workgroup_size: 256
    .name:           _ZL28rocblas_dot_batched_4_kernelIiLi64ELi4ELb0EDF16_DF16_PKDF16_EviT5_lT_lS2_lS3_liPT4_
    .private_segment_fixed_size: 0
    .sgpr_count:     22
    .sgpr_spill_count: 0
    .symbol:         _ZL28rocblas_dot_batched_4_kernelIiLi64ELi4ELb0EDF16_DF16_PKDF16_EviT5_lT_lS2_lS3_liPT4_.kd
    .uniform_work_group_size: 1
    .uses_dynamic_stack: false
    .vgpr_count:     14
    .vgpr_spill_count: 0
    .wavefront_size: 32
    .workgroup_processor_mode: 1
  - .args:
      - .offset:         0
        .size:           4
        .value_kind:     by_value
      - .actual_access:  read_only
        .address_space:  global
        .offset:         8
        .size:           8
        .value_kind:     global_buffer
      - .offset:         16
        .size:           8
        .value_kind:     by_value
      - .offset:         24
        .size:           8
        .value_kind:     by_value
      - .actual_access:  read_only
        .address_space:  global
        .offset:         32
        .size:           8
        .value_kind:     global_buffer
      - .offset:         40
        .size:           8
        .value_kind:     by_value
      - .offset:         48
        .size:           8
        .value_kind:     by_value
      - .offset:         56
        .size:           4
        .value_kind:     by_value
      - .actual_access:  read_only
        .address_space:  global
        .offset:         64
        .size:           8
        .value_kind:     global_buffer
      - .actual_access:  write_only
        .address_space:  global
        .offset:         72
        .size:           8
        .value_kind:     global_buffer
    .group_segment_fixed_size: 64
    .kernarg_segment_align: 8
    .kernarg_segment_size: 80
    .language:       OpenCL C
    .language_version:
      - 2
      - 0
    .max_flat_workgroup_size: 1024
    .name:           _ZL26rocblas_dot_kernel_inc1by2ILb1ELi1024ELi32ELb0EDF16_PKDF16_DF16_EviT4_llS2_lliPT5_PT3_
    .private_segment_fixed_size: 0
    .sgpr_count:     26
    .sgpr_spill_count: 0
    .symbol:         _ZL26rocblas_dot_kernel_inc1by2ILb1ELi1024ELi32ELb0EDF16_PKDF16_DF16_EviT4_llS2_lliPT5_PT3_.kd
    .uniform_work_group_size: 1
    .uses_dynamic_stack: false
    .vgpr_count:     11
    .vgpr_spill_count: 0
    .wavefront_size: 32
    .workgroup_processor_mode: 1
  - .args:
      - .offset:         0
        .size:           4
        .value_kind:     by_value
      - .actual_access:  read_only
        .address_space:  global
        .offset:         8
        .size:           8
        .value_kind:     global_buffer
      - .offset:         16
        .size:           8
        .value_kind:     by_value
      - .offset:         24
        .size:           4
        .value_kind:     by_value
      - .offset:         32
        .size:           8
        .value_kind:     by_value
      - .actual_access:  read_only
        .address_space:  global
        .offset:         40
        .size:           8
        .value_kind:     global_buffer
      - .offset:         48
        .size:           8
        .value_kind:     by_value
      - .offset:         56
        .size:           4
        .value_kind:     by_value
      - .offset:         64
        .size:           8
        .value_kind:     by_value
      - .offset:         72
        .size:           4
        .value_kind:     by_value
      - .actual_access:  read_only
        .address_space:  global
        .offset:         80
        .size:           8
        .value_kind:     global_buffer
      - .actual_access:  write_only
        .address_space:  global
        .offset:         88
        .size:           8
        .value_kind:     global_buffer
      - .offset:         96
        .size:           4
        .value_kind:     hidden_block_count_x
      - .offset:         100
        .size:           4
        .value_kind:     hidden_block_count_y
      - .offset:         104
        .size:           4
        .value_kind:     hidden_block_count_z
      - .offset:         108
        .size:           2
        .value_kind:     hidden_group_size_x
      - .offset:         110
        .size:           2
        .value_kind:     hidden_group_size_y
      - .offset:         112
        .size:           2
        .value_kind:     hidden_group_size_z
      - .offset:         114
        .size:           2
        .value_kind:     hidden_remainder_x
      - .offset:         116
        .size:           2
        .value_kind:     hidden_remainder_y
      - .offset:         118
        .size:           2
        .value_kind:     hidden_remainder_z
      - .offset:         136
        .size:           8
        .value_kind:     hidden_global_offset_x
      - .offset:         144
        .size:           8
        .value_kind:     hidden_global_offset_y
      - .offset:         152
        .size:           8
        .value_kind:     hidden_global_offset_z
      - .offset:         160
        .size:           2
        .value_kind:     hidden_grid_dims
    .group_segment_fixed_size: 64
    .kernarg_segment_align: 8
    .kernarg_segment_size: 352
    .language:       OpenCL C
    .language_version:
      - 2
      - 0
    .max_flat_workgroup_size: 1024
    .name:           _ZL18rocblas_dot_kernelIiLb1ELi1024ELi32ELb0EDF16_PKDF16_DF16_EviT5_lT_lS2_lS3_liPT6_PT4_
    .private_segment_fixed_size: 0
    .sgpr_count:     27
    .sgpr_spill_count: 0
    .symbol:         _ZL18rocblas_dot_kernelIiLb1ELi1024ELi32ELb0EDF16_PKDF16_DF16_EviT5_lT_lS2_lS3_liPT6_PT4_.kd
    .uniform_work_group_size: 1
    .uses_dynamic_stack: false
    .vgpr_count:     11
    .vgpr_spill_count: 0
    .wavefront_size: 32
    .workgroup_processor_mode: 1
  - .args:
      - .offset:         0
        .size:           4
        .value_kind:     by_value
      - .actual_access:  read_only
        .address_space:  global
        .offset:         8
        .size:           8
        .value_kind:     global_buffer
      - .offset:         16
        .size:           8
        .value_kind:     by_value
      - .offset:         24
        .size:           4
        .value_kind:     by_value
      - .offset:         32
        .size:           8
        .value_kind:     by_value
      - .offset:         40
        .size:           4
        .value_kind:     by_value
      - .actual_access:  read_only
        .address_space:  global
        .offset:         48
        .size:           8
        .value_kind:     global_buffer
      - .actual_access:  write_only
        .address_space:  global
        .offset:         56
        .size:           8
        .value_kind:     global_buffer
      - .offset:         64
        .size:           4
        .value_kind:     hidden_block_count_x
      - .offset:         68
        .size:           4
        .value_kind:     hidden_block_count_y
      - .offset:         72
        .size:           4
        .value_kind:     hidden_block_count_z
      - .offset:         76
        .size:           2
        .value_kind:     hidden_group_size_x
      - .offset:         78
        .size:           2
        .value_kind:     hidden_group_size_y
      - .offset:         80
        .size:           2
        .value_kind:     hidden_group_size_z
      - .offset:         82
        .size:           2
        .value_kind:     hidden_remainder_x
      - .offset:         84
        .size:           2
        .value_kind:     hidden_remainder_y
      - .offset:         86
        .size:           2
        .value_kind:     hidden_remainder_z
      - .offset:         104
        .size:           8
        .value_kind:     hidden_global_offset_x
      - .offset:         112
        .size:           8
        .value_kind:     hidden_global_offset_y
      - .offset:         120
        .size:           8
        .value_kind:     hidden_global_offset_z
      - .offset:         128
        .size:           2
        .value_kind:     hidden_grid_dims
    .group_segment_fixed_size: 64
    .kernarg_segment_align: 8
    .kernarg_segment_size: 320
    .language:       OpenCL C
    .language_version:
      - 2
      - 0
    .max_flat_workgroup_size: 1024
    .name:           _ZL24rocblas_dot_kernel_magsqIiLb1ELi1024ELi32ELb0EDF16_PKDF16_DF16_EviT5_lT_liPT6_PT4_
    .private_segment_fixed_size: 0
    .sgpr_count:     19
    .sgpr_spill_count: 0
    .symbol:         _ZL24rocblas_dot_kernel_magsqIiLb1ELi1024ELi32ELb0EDF16_PKDF16_DF16_EviT5_lT_liPT6_PT4_.kd
    .uniform_work_group_size: 1
    .uses_dynamic_stack: false
    .vgpr_count:     11
    .vgpr_spill_count: 0
    .wavefront_size: 32
    .workgroup_processor_mode: 1
  - .args:
      - .offset:         0
        .size:           4
        .value_kind:     by_value
      - .actual_access:  read_only
        .address_space:  global
        .offset:         8
        .size:           8
        .value_kind:     global_buffer
      - .offset:         16
        .size:           8
        .value_kind:     by_value
      - .offset:         24
        .size:           4
        .value_kind:     by_value
      - .offset:         32
        .size:           8
        .value_kind:     by_value
      - .actual_access:  read_only
        .address_space:  global
        .offset:         40
        .size:           8
        .value_kind:     global_buffer
      - .offset:         48
        .size:           8
        .value_kind:     by_value
      - .offset:         56
        .size:           4
        .value_kind:     by_value
      - .offset:         64
        .size:           8
        .value_kind:     by_value
      - .actual_access:  read_only
        .address_space:  global
        .offset:         72
        .size:           8
        .value_kind:     global_buffer
      - .actual_access:  read_only
        .address_space:  global
        .offset:         80
        .size:           8
        .value_kind:     global_buffer
    .group_segment_fixed_size: 0
    .kernarg_segment_align: 8
    .kernarg_segment_size: 88
    .language:       OpenCL C
    .language_version:
      - 2
      - 0
    .max_flat_workgroup_size: 1024
    .name:           _ZL38rocblas_dot_kernel_gfx942_float_doubleIiLi1024EDF16_PKDF16_DF16_EviT2_lT_lS2_lS3_lPT3_PT1_
    .private_segment_fixed_size: 0
    .sgpr_count:     0
    .sgpr_spill_count: 0
    .symbol:         _ZL38rocblas_dot_kernel_gfx942_float_doubleIiLi1024EDF16_PKDF16_DF16_EviT2_lT_lS2_lS3_lPT3_PT1_.kd
    .uniform_work_group_size: 1
    .uses_dynamic_stack: false
    .vgpr_count:     0
    .vgpr_spill_count: 0
    .wavefront_size: 32
    .workgroup_processor_mode: 1
  - .args:
      - .offset:         0
        .size:           4
        .value_kind:     by_value
      - .actual_access:  read_only
        .address_space:  global
        .offset:         8
        .size:           8
        .value_kind:     global_buffer
      - .actual_access:  write_only
        .address_space:  global
        .offset:         16
        .size:           8
        .value_kind:     global_buffer
    .group_segment_fixed_size: 64
    .kernarg_segment_align: 8
    .kernarg_segment_size: 24
    .language:       OpenCL C
    .language_version:
      - 2
      - 0
    .max_flat_workgroup_size: 1024
    .name:           _ZL30rocblas_reduction_kernel_part2ILi1024ELi4E25rocblas_finalize_identityDF16_DF16_EviPT2_PT3_
    .private_segment_fixed_size: 0
    .sgpr_count:     18
    .sgpr_spill_count: 0
    .symbol:         _ZL30rocblas_reduction_kernel_part2ILi1024ELi4E25rocblas_finalize_identityDF16_DF16_EviPT2_PT3_.kd
    .uniform_work_group_size: 1
    .uses_dynamic_stack: false
    .vgpr_count:     11
    .vgpr_spill_count: 0
    .wavefront_size: 32
    .workgroup_processor_mode: 1
  - .args:
      - .offset:         0
        .size:           4
        .value_kind:     by_value
      - .actual_access:  read_only
        .address_space:  global
        .offset:         8
        .size:           8
        .value_kind:     global_buffer
      - .offset:         16
        .size:           8
        .value_kind:     by_value
      - .offset:         24
        .size:           8
        .value_kind:     by_value
      - .actual_access:  read_only
        .address_space:  global
        .offset:         32
        .size:           8
        .value_kind:     global_buffer
      - .offset:         40
        .size:           8
        .value_kind:     by_value
      - .offset:         48
        .size:           8
        .value_kind:     by_value
      - .offset:         56
        .size:           4
        .value_kind:     by_value
      - .actual_access:  write_only
        .address_space:  global
        .offset:         64
        .size:           8
        .value_kind:     global_buffer
      - .actual_access:  write_only
        .address_space:  global
        .offset:         72
        .size:           8
        .value_kind:     global_buffer
      - .offset:         80
        .size:           4
        .value_kind:     hidden_block_count_x
      - .offset:         84
        .size:           4
        .value_kind:     hidden_block_count_y
      - .offset:         88
        .size:           4
        .value_kind:     hidden_block_count_z
      - .offset:         92
        .size:           2
        .value_kind:     hidden_group_size_x
      - .offset:         94
        .size:           2
        .value_kind:     hidden_group_size_y
      - .offset:         96
        .size:           2
        .value_kind:     hidden_group_size_z
      - .offset:         98
        .size:           2
        .value_kind:     hidden_remainder_x
      - .offset:         100
        .size:           2
        .value_kind:     hidden_remainder_y
      - .offset:         102
        .size:           2
        .value_kind:     hidden_remainder_z
      - .offset:         120
        .size:           8
        .value_kind:     hidden_global_offset_x
      - .offset:         128
        .size:           8
        .value_kind:     hidden_global_offset_y
      - .offset:         136
        .size:           8
        .value_kind:     hidden_global_offset_z
      - .offset:         144
        .size:           2
        .value_kind:     hidden_grid_dims
    .group_segment_fixed_size: 64
    .kernarg_segment_align: 8
    .kernarg_segment_size: 336
    .language:       OpenCL C
    .language_version:
      - 2
      - 0
    .max_flat_workgroup_size: 512
    .name:           _ZL23rocblas_dot_kernel_inc1ILb0ELi512ELi8ELb0EDF16_PKDF16_DF16_EviT4_llS2_lliPT5_PT3_
    .private_segment_fixed_size: 0
    .sgpr_count:     26
    .sgpr_spill_count: 0
    .symbol:         _ZL23rocblas_dot_kernel_inc1ILb0ELi512ELi8ELb0EDF16_PKDF16_DF16_EviT4_llS2_lliPT5_PT3_.kd
    .uniform_work_group_size: 1
    .uses_dynamic_stack: false
    .vgpr_count:     10
    .vgpr_spill_count: 0
    .wavefront_size: 32
    .workgroup_processor_mode: 1
  - .args:
      - .offset:         0
        .size:           4
        .value_kind:     by_value
      - .actual_access:  read_only
        .address_space:  global
        .offset:         8
        .size:           8
        .value_kind:     global_buffer
      - .offset:         16
        .size:           8
        .value_kind:     by_value
      - .offset:         24
        .size:           4
        .value_kind:     by_value
      - .offset:         32
        .size:           8
        .value_kind:     by_value
      - .actual_access:  read_only
        .address_space:  global
        .offset:         40
        .size:           8
        .value_kind:     global_buffer
      - .offset:         48
        .size:           8
        .value_kind:     by_value
      - .offset:         56
        .size:           4
        .value_kind:     by_value
      - .offset:         64
        .size:           8
        .value_kind:     by_value
      - .offset:         72
        .size:           4
        .value_kind:     by_value
      - .actual_access:  write_only
        .address_space:  global
        .offset:         80
        .size:           8
        .value_kind:     global_buffer
      - .actual_access:  write_only
        .address_space:  global
        .offset:         88
        .size:           8
        .value_kind:     global_buffer
      - .offset:         96
        .size:           4
        .value_kind:     hidden_block_count_x
      - .offset:         100
        .size:           4
        .value_kind:     hidden_block_count_y
      - .offset:         104
        .size:           4
        .value_kind:     hidden_block_count_z
      - .offset:         108
        .size:           2
        .value_kind:     hidden_group_size_x
      - .offset:         110
        .size:           2
        .value_kind:     hidden_group_size_y
      - .offset:         112
        .size:           2
        .value_kind:     hidden_group_size_z
      - .offset:         114
        .size:           2
        .value_kind:     hidden_remainder_x
      - .offset:         116
        .size:           2
        .value_kind:     hidden_remainder_y
      - .offset:         118
        .size:           2
        .value_kind:     hidden_remainder_z
      - .offset:         136
        .size:           8
        .value_kind:     hidden_global_offset_x
      - .offset:         144
        .size:           8
        .value_kind:     hidden_global_offset_y
      - .offset:         152
        .size:           8
        .value_kind:     hidden_global_offset_z
      - .offset:         160
        .size:           2
        .value_kind:     hidden_grid_dims
    .group_segment_fixed_size: 64
    .kernarg_segment_align: 8
    .kernarg_segment_size: 352
    .language:       OpenCL C
    .language_version:
      - 2
      - 0
    .max_flat_workgroup_size: 512
    .name:           _ZL18rocblas_dot_kernelIiLb0ELi512ELi8ELb0EDF16_PKDF16_DF16_EviT5_lT_lS2_lS3_liPT6_PT4_
    .private_segment_fixed_size: 0
    .sgpr_count:     30
    .sgpr_spill_count: 0
    .symbol:         _ZL18rocblas_dot_kernelIiLb0ELi512ELi8ELb0EDF16_PKDF16_DF16_EviT5_lT_lS2_lS3_liPT6_PT4_.kd
    .uniform_work_group_size: 1
    .uses_dynamic_stack: false
    .vgpr_count:     10
    .vgpr_spill_count: 0
    .wavefront_size: 32
    .workgroup_processor_mode: 1
  - .args:
      - .offset:         0
        .size:           4
        .value_kind:     by_value
      - .actual_access:  read_only
        .address_space:  global
        .offset:         8
        .size:           8
        .value_kind:     global_buffer
      - .offset:         16
        .size:           8
        .value_kind:     by_value
      - .offset:         24
        .size:           4
        .value_kind:     by_value
      - .offset:         32
        .size:           8
        .value_kind:     by_value
      - .offset:         40
        .size:           4
        .value_kind:     by_value
      - .actual_access:  write_only
        .address_space:  global
        .offset:         48
        .size:           8
        .value_kind:     global_buffer
      - .actual_access:  write_only
        .address_space:  global
        .offset:         56
        .size:           8
        .value_kind:     global_buffer
      - .offset:         64
        .size:           4
        .value_kind:     hidden_block_count_x
      - .offset:         68
        .size:           4
        .value_kind:     hidden_block_count_y
      - .offset:         72
        .size:           4
        .value_kind:     hidden_block_count_z
      - .offset:         76
        .size:           2
        .value_kind:     hidden_group_size_x
      - .offset:         78
        .size:           2
        .value_kind:     hidden_group_size_y
      - .offset:         80
        .size:           2
        .value_kind:     hidden_group_size_z
      - .offset:         82
        .size:           2
        .value_kind:     hidden_remainder_x
      - .offset:         84
        .size:           2
        .value_kind:     hidden_remainder_y
      - .offset:         86
        .size:           2
        .value_kind:     hidden_remainder_z
      - .offset:         104
        .size:           8
        .value_kind:     hidden_global_offset_x
      - .offset:         112
        .size:           8
        .value_kind:     hidden_global_offset_y
      - .offset:         120
        .size:           8
        .value_kind:     hidden_global_offset_z
      - .offset:         128
        .size:           2
        .value_kind:     hidden_grid_dims
    .group_segment_fixed_size: 64
    .kernarg_segment_align: 8
    .kernarg_segment_size: 320
    .language:       OpenCL C
    .language_version:
      - 2
      - 0
    .max_flat_workgroup_size: 512
    .name:           _ZL24rocblas_dot_kernel_magsqIiLb0ELi512ELi8ELb0EDF16_PKDF16_DF16_EviT5_lT_liPT6_PT4_
    .private_segment_fixed_size: 0
    .sgpr_count:     24
    .sgpr_spill_count: 0
    .symbol:         _ZL24rocblas_dot_kernel_magsqIiLb0ELi512ELi8ELb0EDF16_PKDF16_DF16_EviT5_lT_liPT6_PT4_.kd
    .uniform_work_group_size: 1
    .uses_dynamic_stack: false
    .vgpr_count:     10
    .vgpr_spill_count: 0
    .wavefront_size: 32
    .workgroup_processor_mode: 1
  - .args:
      - .offset:         0
        .size:           4
        .value_kind:     by_value
      - .actual_access:  read_only
        .address_space:  global
        .offset:         8
        .size:           8
        .value_kind:     global_buffer
      - .offset:         16
        .size:           8
        .value_kind:     by_value
      - .offset:         24
        .size:           8
        .value_kind:     by_value
      - .offset:         32
        .size:           8
        .value_kind:     by_value
      - .actual_access:  read_only
        .address_space:  global
        .offset:         40
        .size:           8
        .value_kind:     global_buffer
      - .offset:         48
        .size:           8
        .value_kind:     by_value
      - .offset:         56
        .size:           8
        .value_kind:     by_value
      - .offset:         64
        .size:           8
        .value_kind:     by_value
      - .offset:         72
        .size:           4
        .value_kind:     by_value
      - .actual_access:  write_only
        .address_space:  global
        .offset:         80
        .size:           8
        .value_kind:     global_buffer
    .group_segment_fixed_size: 0
    .kernarg_segment_align: 8
    .kernarg_segment_size: 88
    .language:       OpenCL C
    .language_version:
      - 2
      - 0
    .max_flat_workgroup_size: 128
    .name:           _ZL28rocblas_dot_batched_4_kernelIlLi32ELi4ELb0EDF16_DF16_PKDF16_EviT5_lT_lS2_lS3_liPT4_
    .private_segment_fixed_size: 0
    .sgpr_count:     22
    .sgpr_spill_count: 0
    .symbol:         _ZL28rocblas_dot_batched_4_kernelIlLi32ELi4ELb0EDF16_DF16_PKDF16_EviT5_lT_lS2_lS3_liPT4_.kd
    .uniform_work_group_size: 1
    .uses_dynamic_stack: false
    .vgpr_count:     17
    .vgpr_spill_count: 0
    .wavefront_size: 32
    .workgroup_processor_mode: 1
  - .args:
      - .offset:         0
        .size:           4
        .value_kind:     by_value
      - .actual_access:  read_only
        .address_space:  global
        .offset:         8
        .size:           8
        .value_kind:     global_buffer
      - .offset:         16
        .size:           8
        .value_kind:     by_value
      - .offset:         24
        .size:           8
        .value_kind:     by_value
      - .offset:         32
        .size:           8
        .value_kind:     by_value
      - .actual_access:  read_only
        .address_space:  global
        .offset:         40
        .size:           8
        .value_kind:     global_buffer
      - .offset:         48
        .size:           8
        .value_kind:     by_value
      - .offset:         56
        .size:           8
        .value_kind:     by_value
      - .offset:         64
        .size:           8
        .value_kind:     by_value
      - .offset:         72
        .size:           4
        .value_kind:     by_value
      - .actual_access:  write_only
        .address_space:  global
        .offset:         80
        .size:           8
        .value_kind:     global_buffer
    .group_segment_fixed_size: 0
    .kernarg_segment_align: 8
    .kernarg_segment_size: 88
    .language:       OpenCL C
    .language_version:
      - 2
      - 0
    .max_flat_workgroup_size: 256
    .name:           _ZL28rocblas_dot_batched_4_kernelIlLi64ELi4ELb0EDF16_DF16_PKDF16_EviT5_lT_lS2_lS3_liPT4_
    .private_segment_fixed_size: 0
    .sgpr_count:     22
    .sgpr_spill_count: 0
    .symbol:         _ZL28rocblas_dot_batched_4_kernelIlLi64ELi4ELb0EDF16_DF16_PKDF16_EviT5_lT_lS2_lS3_liPT4_.kd
    .uniform_work_group_size: 1
    .uses_dynamic_stack: false
    .vgpr_count:     17
    .vgpr_spill_count: 0
    .wavefront_size: 32
    .workgroup_processor_mode: 1
  - .args:
      - .offset:         0
        .size:           4
        .value_kind:     by_value
      - .actual_access:  read_only
        .address_space:  global
        .offset:         8
        .size:           8
        .value_kind:     global_buffer
      - .offset:         16
        .size:           8
        .value_kind:     by_value
      - .offset:         24
        .size:           8
        .value_kind:     by_value
      - .offset:         32
        .size:           8
        .value_kind:     by_value
      - .actual_access:  read_only
        .address_space:  global
        .offset:         40
        .size:           8
        .value_kind:     global_buffer
      - .offset:         48
        .size:           8
        .value_kind:     by_value
      - .offset:         56
        .size:           8
        .value_kind:     by_value
      - .offset:         64
        .size:           8
        .value_kind:     by_value
      - .offset:         72
        .size:           4
        .value_kind:     by_value
      - .actual_access:  read_only
        .address_space:  global
        .offset:         80
        .size:           8
        .value_kind:     global_buffer
      - .actual_access:  write_only
        .address_space:  global
        .offset:         88
        .size:           8
        .value_kind:     global_buffer
      - .offset:         96
        .size:           4
        .value_kind:     hidden_block_count_x
      - .offset:         100
        .size:           4
        .value_kind:     hidden_block_count_y
      - .offset:         104
        .size:           4
        .value_kind:     hidden_block_count_z
      - .offset:         108
        .size:           2
        .value_kind:     hidden_group_size_x
      - .offset:         110
        .size:           2
        .value_kind:     hidden_group_size_y
      - .offset:         112
        .size:           2
        .value_kind:     hidden_group_size_z
      - .offset:         114
        .size:           2
        .value_kind:     hidden_remainder_x
      - .offset:         116
        .size:           2
        .value_kind:     hidden_remainder_y
      - .offset:         118
        .size:           2
        .value_kind:     hidden_remainder_z
      - .offset:         136
        .size:           8
        .value_kind:     hidden_global_offset_x
      - .offset:         144
        .size:           8
        .value_kind:     hidden_global_offset_y
      - .offset:         152
        .size:           8
        .value_kind:     hidden_global_offset_z
      - .offset:         160
        .size:           2
        .value_kind:     hidden_grid_dims
    .group_segment_fixed_size: 64
    .kernarg_segment_align: 8
    .kernarg_segment_size: 352
    .language:       OpenCL C
    .language_version:
      - 2
      - 0
    .max_flat_workgroup_size: 1024
    .name:           _ZL18rocblas_dot_kernelIlLb1ELi1024ELi32ELb0EDF16_PKDF16_DF16_EviT5_lT_lS2_lS3_liPT6_PT4_
    .private_segment_fixed_size: 0
    .sgpr_count:     29
    .sgpr_spill_count: 0
    .symbol:         _ZL18rocblas_dot_kernelIlLb1ELi1024ELi32ELb0EDF16_PKDF16_DF16_EviT5_lT_lS2_lS3_liPT6_PT4_.kd
    .uniform_work_group_size: 1
    .uses_dynamic_stack: false
    .vgpr_count:     11
    .vgpr_spill_count: 0
    .wavefront_size: 32
    .workgroup_processor_mode: 1
  - .args:
      - .offset:         0
        .size:           4
        .value_kind:     by_value
      - .actual_access:  read_only
        .address_space:  global
        .offset:         8
        .size:           8
        .value_kind:     global_buffer
      - .offset:         16
        .size:           8
        .value_kind:     by_value
      - .offset:         24
        .size:           8
        .value_kind:     by_value
      - .offset:         32
        .size:           8
        .value_kind:     by_value
      - .offset:         40
        .size:           4
        .value_kind:     by_value
      - .actual_access:  read_only
        .address_space:  global
        .offset:         48
        .size:           8
        .value_kind:     global_buffer
      - .actual_access:  write_only
        .address_space:  global
        .offset:         56
        .size:           8
        .value_kind:     global_buffer
      - .offset:         64
        .size:           4
        .value_kind:     hidden_block_count_x
      - .offset:         68
        .size:           4
        .value_kind:     hidden_block_count_y
      - .offset:         72
        .size:           4
        .value_kind:     hidden_block_count_z
      - .offset:         76
        .size:           2
        .value_kind:     hidden_group_size_x
      - .offset:         78
        .size:           2
        .value_kind:     hidden_group_size_y
      - .offset:         80
        .size:           2
        .value_kind:     hidden_group_size_z
      - .offset:         82
        .size:           2
        .value_kind:     hidden_remainder_x
      - .offset:         84
        .size:           2
        .value_kind:     hidden_remainder_y
      - .offset:         86
        .size:           2
        .value_kind:     hidden_remainder_z
      - .offset:         104
        .size:           8
        .value_kind:     hidden_global_offset_x
      - .offset:         112
        .size:           8
        .value_kind:     hidden_global_offset_y
      - .offset:         120
        .size:           8
        .value_kind:     hidden_global_offset_z
      - .offset:         128
        .size:           2
        .value_kind:     hidden_grid_dims
    .group_segment_fixed_size: 64
    .kernarg_segment_align: 8
    .kernarg_segment_size: 320
    .language:       OpenCL C
    .language_version:
      - 2
      - 0
    .max_flat_workgroup_size: 1024
    .name:           _ZL24rocblas_dot_kernel_magsqIlLb1ELi1024ELi32ELb0EDF16_PKDF16_DF16_EviT5_lT_liPT6_PT4_
    .private_segment_fixed_size: 0
    .sgpr_count:     19
    .sgpr_spill_count: 0
    .symbol:         _ZL24rocblas_dot_kernel_magsqIlLb1ELi1024ELi32ELb0EDF16_PKDF16_DF16_EviT5_lT_liPT6_PT4_.kd
    .uniform_work_group_size: 1
    .uses_dynamic_stack: false
    .vgpr_count:     11
    .vgpr_spill_count: 0
    .wavefront_size: 32
    .workgroup_processor_mode: 1
  - .args:
      - .offset:         0
        .size:           4
        .value_kind:     by_value
      - .actual_access:  read_only
        .address_space:  global
        .offset:         8
        .size:           8
        .value_kind:     global_buffer
      - .offset:         16
        .size:           8
        .value_kind:     by_value
      - .offset:         24
        .size:           8
        .value_kind:     by_value
      - .offset:         32
        .size:           8
        .value_kind:     by_value
      - .actual_access:  read_only
        .address_space:  global
        .offset:         40
        .size:           8
        .value_kind:     global_buffer
      - .offset:         48
        .size:           8
        .value_kind:     by_value
      - .offset:         56
        .size:           8
        .value_kind:     by_value
      - .offset:         64
        .size:           8
        .value_kind:     by_value
      - .actual_access:  read_only
        .address_space:  global
        .offset:         72
        .size:           8
        .value_kind:     global_buffer
      - .actual_access:  read_only
        .address_space:  global
        .offset:         80
        .size:           8
        .value_kind:     global_buffer
    .group_segment_fixed_size: 0
    .kernarg_segment_align: 8
    .kernarg_segment_size: 88
    .language:       OpenCL C
    .language_version:
      - 2
      - 0
    .max_flat_workgroup_size: 1024
    .name:           _ZL38rocblas_dot_kernel_gfx942_float_doubleIlLi1024EDF16_PKDF16_DF16_EviT2_lT_lS2_lS3_lPT3_PT1_
    .private_segment_fixed_size: 0
    .sgpr_count:     0
    .sgpr_spill_count: 0
    .symbol:         _ZL38rocblas_dot_kernel_gfx942_float_doubleIlLi1024EDF16_PKDF16_DF16_EviT2_lT_lS2_lS3_lPT3_PT1_.kd
    .uniform_work_group_size: 1
    .uses_dynamic_stack: false
    .vgpr_count:     0
    .vgpr_spill_count: 0
    .wavefront_size: 32
    .workgroup_processor_mode: 1
  - .args:
      - .offset:         0
        .size:           4
        .value_kind:     by_value
      - .actual_access:  read_only
        .address_space:  global
        .offset:         8
        .size:           8
        .value_kind:     global_buffer
      - .offset:         16
        .size:           8
        .value_kind:     by_value
      - .offset:         24
        .size:           8
        .value_kind:     by_value
      - .offset:         32
        .size:           8
        .value_kind:     by_value
      - .actual_access:  read_only
        .address_space:  global
        .offset:         40
        .size:           8
        .value_kind:     global_buffer
      - .offset:         48
        .size:           8
        .value_kind:     by_value
      - .offset:         56
        .size:           8
        .value_kind:     by_value
      - .offset:         64
        .size:           8
        .value_kind:     by_value
      - .offset:         72
        .size:           4
        .value_kind:     by_value
      - .actual_access:  write_only
        .address_space:  global
        .offset:         80
        .size:           8
        .value_kind:     global_buffer
      - .actual_access:  write_only
        .address_space:  global
        .offset:         88
        .size:           8
        .value_kind:     global_buffer
      - .offset:         96
        .size:           4
        .value_kind:     hidden_block_count_x
      - .offset:         100
        .size:           4
        .value_kind:     hidden_block_count_y
      - .offset:         104
        .size:           4
        .value_kind:     hidden_block_count_z
      - .offset:         108
        .size:           2
        .value_kind:     hidden_group_size_x
      - .offset:         110
        .size:           2
        .value_kind:     hidden_group_size_y
      - .offset:         112
        .size:           2
        .value_kind:     hidden_group_size_z
      - .offset:         114
        .size:           2
        .value_kind:     hidden_remainder_x
      - .offset:         116
        .size:           2
        .value_kind:     hidden_remainder_y
      - .offset:         118
        .size:           2
        .value_kind:     hidden_remainder_z
      - .offset:         136
        .size:           8
        .value_kind:     hidden_global_offset_x
      - .offset:         144
        .size:           8
        .value_kind:     hidden_global_offset_y
      - .offset:         152
        .size:           8
        .value_kind:     hidden_global_offset_z
      - .offset:         160
        .size:           2
        .value_kind:     hidden_grid_dims
    .group_segment_fixed_size: 64
    .kernarg_segment_align: 8
    .kernarg_segment_size: 352
    .language:       OpenCL C
    .language_version:
      - 2
      - 0
    .max_flat_workgroup_size: 512
    .name:           _ZL18rocblas_dot_kernelIlLb0ELi512ELi8ELb0EDF16_PKDF16_DF16_EviT5_lT_lS2_lS3_liPT6_PT4_
    .private_segment_fixed_size: 0
    .sgpr_count:     30
    .sgpr_spill_count: 0
    .symbol:         _ZL18rocblas_dot_kernelIlLb0ELi512ELi8ELb0EDF16_PKDF16_DF16_EviT5_lT_lS2_lS3_liPT6_PT4_.kd
    .uniform_work_group_size: 1
    .uses_dynamic_stack: false
    .vgpr_count:     11
    .vgpr_spill_count: 0
    .wavefront_size: 32
    .workgroup_processor_mode: 1
  - .args:
      - .offset:         0
        .size:           4
        .value_kind:     by_value
      - .actual_access:  read_only
        .address_space:  global
        .offset:         8
        .size:           8
        .value_kind:     global_buffer
      - .offset:         16
        .size:           8
        .value_kind:     by_value
      - .offset:         24
        .size:           8
        .value_kind:     by_value
      - .offset:         32
        .size:           8
        .value_kind:     by_value
      - .offset:         40
        .size:           4
        .value_kind:     by_value
      - .actual_access:  write_only
        .address_space:  global
        .offset:         48
        .size:           8
        .value_kind:     global_buffer
      - .actual_access:  write_only
        .address_space:  global
        .offset:         56
        .size:           8
        .value_kind:     global_buffer
      - .offset:         64
        .size:           4
        .value_kind:     hidden_block_count_x
      - .offset:         68
        .size:           4
        .value_kind:     hidden_block_count_y
      - .offset:         72
        .size:           4
        .value_kind:     hidden_block_count_z
      - .offset:         76
        .size:           2
        .value_kind:     hidden_group_size_x
      - .offset:         78
        .size:           2
        .value_kind:     hidden_group_size_y
      - .offset:         80
        .size:           2
        .value_kind:     hidden_group_size_z
      - .offset:         82
        .size:           2
        .value_kind:     hidden_remainder_x
      - .offset:         84
        .size:           2
        .value_kind:     hidden_remainder_y
      - .offset:         86
        .size:           2
        .value_kind:     hidden_remainder_z
      - .offset:         104
        .size:           8
        .value_kind:     hidden_global_offset_x
      - .offset:         112
        .size:           8
        .value_kind:     hidden_global_offset_y
      - .offset:         120
        .size:           8
        .value_kind:     hidden_global_offset_z
      - .offset:         128
        .size:           2
        .value_kind:     hidden_grid_dims
    .group_segment_fixed_size: 64
    .kernarg_segment_align: 8
    .kernarg_segment_size: 320
    .language:       OpenCL C
    .language_version:
      - 2
      - 0
    .max_flat_workgroup_size: 512
    .name:           _ZL24rocblas_dot_kernel_magsqIlLb0ELi512ELi8ELb0EDF16_PKDF16_DF16_EviT5_lT_liPT6_PT4_
    .private_segment_fixed_size: 0
    .sgpr_count:     24
    .sgpr_spill_count: 0
    .symbol:         _ZL24rocblas_dot_kernel_magsqIlLb0ELi512ELi8ELb0EDF16_PKDF16_DF16_EviT5_lT_liPT6_PT4_.kd
    .uniform_work_group_size: 1
    .uses_dynamic_stack: false
    .vgpr_count:     10
    .vgpr_spill_count: 0
    .wavefront_size: 32
    .workgroup_processor_mode: 1
  - .args:
      - .offset:         0
        .size:           4
        .value_kind:     by_value
      - .actual_access:  read_only
        .address_space:  global
        .offset:         8
        .size:           8
        .value_kind:     global_buffer
      - .offset:         16
        .size:           8
        .value_kind:     by_value
      - .offset:         24
        .size:           4
        .value_kind:     by_value
      - .offset:         32
        .size:           8
        .value_kind:     by_value
      - .actual_access:  read_only
        .address_space:  global
        .offset:         40
        .size:           8
        .value_kind:     global_buffer
      - .offset:         48
        .size:           8
        .value_kind:     by_value
      - .offset:         56
        .size:           4
        .value_kind:     by_value
      - .offset:         64
        .size:           8
        .value_kind:     by_value
      - .offset:         72
        .size:           4
        .value_kind:     by_value
      - .actual_access:  write_only
        .address_space:  global
        .offset:         80
        .size:           8
        .value_kind:     global_buffer
    .group_segment_fixed_size: 0
    .kernarg_segment_align: 8
    .kernarg_segment_size: 88
    .language:       OpenCL C
    .language_version:
      - 2
      - 0
    .max_flat_workgroup_size: 128
    .name:           _ZL28rocblas_dot_batched_4_kernelIiLi32ELi4ELb0Ef16rocblas_bfloat16PKS0_EviT5_lT_lS3_lS4_liPT4_
    .private_segment_fixed_size: 0
    .sgpr_count:     22
    .sgpr_spill_count: 0
    .symbol:         _ZL28rocblas_dot_batched_4_kernelIiLi32ELi4ELb0Ef16rocblas_bfloat16PKS0_EviT5_lT_lS3_lS4_liPT4_.kd
    .uniform_work_group_size: 1
    .uses_dynamic_stack: false
    .vgpr_count:     14
    .vgpr_spill_count: 0
    .wavefront_size: 32
    .workgroup_processor_mode: 1
  - .args:
      - .offset:         0
        .size:           4
        .value_kind:     by_value
      - .actual_access:  read_only
        .address_space:  global
        .offset:         8
        .size:           8
        .value_kind:     global_buffer
      - .offset:         16
        .size:           8
        .value_kind:     by_value
      - .offset:         24
        .size:           4
        .value_kind:     by_value
      - .offset:         32
        .size:           8
        .value_kind:     by_value
      - .actual_access:  read_only
        .address_space:  global
        .offset:         40
        .size:           8
        .value_kind:     global_buffer
      - .offset:         48
        .size:           8
        .value_kind:     by_value
      - .offset:         56
        .size:           4
        .value_kind:     by_value
      - .offset:         64
        .size:           8
        .value_kind:     by_value
      - .offset:         72
        .size:           4
        .value_kind:     by_value
      - .actual_access:  write_only
        .address_space:  global
        .offset:         80
        .size:           8
        .value_kind:     global_buffer
    .group_segment_fixed_size: 0
    .kernarg_segment_align: 8
    .kernarg_segment_size: 88
    .language:       OpenCL C
    .language_version:
      - 2
      - 0
    .max_flat_workgroup_size: 256
    .name:           _ZL28rocblas_dot_batched_4_kernelIiLi64ELi4ELb0Ef16rocblas_bfloat16PKS0_EviT5_lT_lS3_lS4_liPT4_
    .private_segment_fixed_size: 0
    .sgpr_count:     22
    .sgpr_spill_count: 0
    .symbol:         _ZL28rocblas_dot_batched_4_kernelIiLi64ELi4ELb0Ef16rocblas_bfloat16PKS0_EviT5_lT_lS3_lS4_liPT4_.kd
    .uniform_work_group_size: 1
    .uses_dynamic_stack: false
    .vgpr_count:     14
    .vgpr_spill_count: 0
    .wavefront_size: 32
    .workgroup_processor_mode: 1
  - .args:
      - .offset:         0
        .size:           4
        .value_kind:     by_value
      - .actual_access:  read_only
        .address_space:  global
        .offset:         8
        .size:           8
        .value_kind:     global_buffer
      - .offset:         16
        .size:           8
        .value_kind:     by_value
      - .offset:         24
        .size:           8
        .value_kind:     by_value
      - .actual_access:  read_only
        .address_space:  global
        .offset:         32
        .size:           8
        .value_kind:     global_buffer
      - .offset:         40
        .size:           8
        .value_kind:     by_value
      - .offset:         48
        .size:           8
        .value_kind:     by_value
      - .offset:         56
        .size:           4
        .value_kind:     by_value
      - .actual_access:  read_only
        .address_space:  global
        .offset:         64
        .size:           8
        .value_kind:     global_buffer
      - .actual_access:  write_only
        .address_space:  global
        .offset:         72
        .size:           8
        .value_kind:     global_buffer
    .group_segment_fixed_size: 128
    .kernarg_segment_align: 8
    .kernarg_segment_size: 80
    .language:       OpenCL C
    .language_version:
      - 2
      - 0
    .max_flat_workgroup_size: 1024
    .name:           _ZL26rocblas_dot_kernel_inc1by2ILb1ELi1024ELi32ELb0E16rocblas_bfloat16PKS0_fEviT4_llS3_lliPT5_PT3_
    .private_segment_fixed_size: 0
    .sgpr_count:     26
    .sgpr_spill_count: 0
    .symbol:         _ZL26rocblas_dot_kernel_inc1by2ILb1ELi1024ELi32ELb0E16rocblas_bfloat16PKS0_fEviT4_llS3_lliPT5_PT3_.kd
    .uniform_work_group_size: 1
    .uses_dynamic_stack: false
    .vgpr_count:     11
    .vgpr_spill_count: 0
    .wavefront_size: 32
    .workgroup_processor_mode: 1
  - .args:
      - .offset:         0
        .size:           4
        .value_kind:     by_value
      - .actual_access:  read_only
        .address_space:  global
        .offset:         8
        .size:           8
        .value_kind:     global_buffer
      - .offset:         16
        .size:           8
        .value_kind:     by_value
      - .offset:         24
        .size:           4
        .value_kind:     by_value
      - .offset:         32
        .size:           8
        .value_kind:     by_value
      - .actual_access:  read_only
        .address_space:  global
        .offset:         40
        .size:           8
        .value_kind:     global_buffer
      - .offset:         48
        .size:           8
        .value_kind:     by_value
      - .offset:         56
        .size:           4
        .value_kind:     by_value
      - .offset:         64
        .size:           8
        .value_kind:     by_value
      - .offset:         72
        .size:           4
        .value_kind:     by_value
      - .actual_access:  read_only
        .address_space:  global
        .offset:         80
        .size:           8
        .value_kind:     global_buffer
      - .actual_access:  write_only
        .address_space:  global
        .offset:         88
        .size:           8
        .value_kind:     global_buffer
      - .offset:         96
        .size:           4
        .value_kind:     hidden_block_count_x
      - .offset:         100
        .size:           4
        .value_kind:     hidden_block_count_y
      - .offset:         104
        .size:           4
        .value_kind:     hidden_block_count_z
      - .offset:         108
        .size:           2
        .value_kind:     hidden_group_size_x
      - .offset:         110
        .size:           2
        .value_kind:     hidden_group_size_y
      - .offset:         112
        .size:           2
        .value_kind:     hidden_group_size_z
      - .offset:         114
        .size:           2
        .value_kind:     hidden_remainder_x
      - .offset:         116
        .size:           2
        .value_kind:     hidden_remainder_y
      - .offset:         118
        .size:           2
        .value_kind:     hidden_remainder_z
      - .offset:         136
        .size:           8
        .value_kind:     hidden_global_offset_x
      - .offset:         144
        .size:           8
        .value_kind:     hidden_global_offset_y
      - .offset:         152
        .size:           8
        .value_kind:     hidden_global_offset_z
      - .offset:         160
        .size:           2
        .value_kind:     hidden_grid_dims
    .group_segment_fixed_size: 128
    .kernarg_segment_align: 8
    .kernarg_segment_size: 352
    .language:       OpenCL C
    .language_version:
      - 2
      - 0
    .max_flat_workgroup_size: 1024
    .name:           _ZL18rocblas_dot_kernelIiLb1ELi1024ELi32ELb0E16rocblas_bfloat16PKS0_fEviT5_lT_lS3_lS4_liPT6_PT4_
    .private_segment_fixed_size: 0
    .sgpr_count:     27
    .sgpr_spill_count: 0
    .symbol:         _ZL18rocblas_dot_kernelIiLb1ELi1024ELi32ELb0E16rocblas_bfloat16PKS0_fEviT5_lT_lS3_lS4_liPT6_PT4_.kd
    .uniform_work_group_size: 1
    .uses_dynamic_stack: false
    .vgpr_count:     10
    .vgpr_spill_count: 0
    .wavefront_size: 32
    .workgroup_processor_mode: 1
  - .args:
      - .offset:         0
        .size:           4
        .value_kind:     by_value
      - .actual_access:  read_only
        .address_space:  global
        .offset:         8
        .size:           8
        .value_kind:     global_buffer
      - .offset:         16
        .size:           8
        .value_kind:     by_value
      - .offset:         24
        .size:           4
        .value_kind:     by_value
      - .offset:         32
        .size:           8
        .value_kind:     by_value
      - .offset:         40
        .size:           4
        .value_kind:     by_value
      - .actual_access:  read_only
        .address_space:  global
        .offset:         48
        .size:           8
        .value_kind:     global_buffer
      - .actual_access:  write_only
        .address_space:  global
        .offset:         56
        .size:           8
        .value_kind:     global_buffer
      - .offset:         64
        .size:           4
        .value_kind:     hidden_block_count_x
      - .offset:         68
        .size:           4
        .value_kind:     hidden_block_count_y
      - .offset:         72
        .size:           4
        .value_kind:     hidden_block_count_z
      - .offset:         76
        .size:           2
        .value_kind:     hidden_group_size_x
      - .offset:         78
        .size:           2
        .value_kind:     hidden_group_size_y
      - .offset:         80
        .size:           2
        .value_kind:     hidden_group_size_z
      - .offset:         82
        .size:           2
        .value_kind:     hidden_remainder_x
      - .offset:         84
        .size:           2
        .value_kind:     hidden_remainder_y
      - .offset:         86
        .size:           2
        .value_kind:     hidden_remainder_z
      - .offset:         104
        .size:           8
        .value_kind:     hidden_global_offset_x
      - .offset:         112
        .size:           8
        .value_kind:     hidden_global_offset_y
      - .offset:         120
        .size:           8
        .value_kind:     hidden_global_offset_z
      - .offset:         128
        .size:           2
        .value_kind:     hidden_grid_dims
    .group_segment_fixed_size: 128
    .kernarg_segment_align: 8
    .kernarg_segment_size: 320
    .language:       OpenCL C
    .language_version:
      - 2
      - 0
    .max_flat_workgroup_size: 1024
    .name:           _ZL24rocblas_dot_kernel_magsqIiLb1ELi1024ELi32ELb0E16rocblas_bfloat16PKS0_fEviT5_lT_liPT6_PT4_
    .private_segment_fixed_size: 0
    .sgpr_count:     19
    .sgpr_spill_count: 0
    .symbol:         _ZL24rocblas_dot_kernel_magsqIiLb1ELi1024ELi32ELb0E16rocblas_bfloat16PKS0_fEviT5_lT_liPT6_PT4_.kd
    .uniform_work_group_size: 1
    .uses_dynamic_stack: false
    .vgpr_count:     10
    .vgpr_spill_count: 0
    .wavefront_size: 32
    .workgroup_processor_mode: 1
  - .args:
      - .offset:         0
        .size:           4
        .value_kind:     by_value
      - .actual_access:  read_only
        .address_space:  global
        .offset:         8
        .size:           8
        .value_kind:     global_buffer
      - .offset:         16
        .size:           8
        .value_kind:     by_value
      - .offset:         24
        .size:           4
        .value_kind:     by_value
      - .offset:         32
        .size:           8
        .value_kind:     by_value
      - .actual_access:  read_only
        .address_space:  global
        .offset:         40
        .size:           8
        .value_kind:     global_buffer
      - .offset:         48
        .size:           8
        .value_kind:     by_value
      - .offset:         56
        .size:           4
        .value_kind:     by_value
      - .offset:         64
        .size:           8
        .value_kind:     by_value
      - .actual_access:  read_only
        .address_space:  global
        .offset:         72
        .size:           8
        .value_kind:     global_buffer
      - .actual_access:  read_only
        .address_space:  global
        .offset:         80
        .size:           8
        .value_kind:     global_buffer
    .group_segment_fixed_size: 0
    .kernarg_segment_align: 8
    .kernarg_segment_size: 88
    .language:       OpenCL C
    .language_version:
      - 2
      - 0
    .max_flat_workgroup_size: 1024
    .name:           _ZL38rocblas_dot_kernel_gfx942_float_doubleIiLi1024E16rocblas_bfloat16PKS0_fEviT2_lT_lS3_lS4_lPT3_PT1_
    .private_segment_fixed_size: 0
    .sgpr_count:     0
    .sgpr_spill_count: 0
    .symbol:         _ZL38rocblas_dot_kernel_gfx942_float_doubleIiLi1024E16rocblas_bfloat16PKS0_fEviT2_lT_lS3_lS4_lPT3_PT1_.kd
    .uniform_work_group_size: 1
    .uses_dynamic_stack: false
    .vgpr_count:     0
    .vgpr_spill_count: 0
    .wavefront_size: 32
    .workgroup_processor_mode: 1
  - .args:
      - .offset:         0
        .size:           4
        .value_kind:     by_value
      - .actual_access:  read_only
        .address_space:  global
        .offset:         8
        .size:           8
        .value_kind:     global_buffer
      - .actual_access:  write_only
        .address_space:  global
        .offset:         16
        .size:           8
        .value_kind:     global_buffer
    .group_segment_fixed_size: 128
    .kernarg_segment_align: 8
    .kernarg_segment_size: 24
    .language:       OpenCL C
    .language_version:
      - 2
      - 0
    .max_flat_workgroup_size: 1024
    .name:           _ZL30rocblas_reduction_kernel_part2ILi1024ELi4E25rocblas_finalize_identityf16rocblas_bfloat16EviPT2_PT3_
    .private_segment_fixed_size: 0
    .sgpr_count:     18
    .sgpr_spill_count: 0
    .symbol:         _ZL30rocblas_reduction_kernel_part2ILi1024ELi4E25rocblas_finalize_identityf16rocblas_bfloat16EviPT2_PT3_.kd
    .uniform_work_group_size: 1
    .uses_dynamic_stack: false
    .vgpr_count:     10
    .vgpr_spill_count: 0
    .wavefront_size: 32
    .workgroup_processor_mode: 1
  - .args:
      - .offset:         0
        .size:           4
        .value_kind:     by_value
      - .actual_access:  read_only
        .address_space:  global
        .offset:         8
        .size:           8
        .value_kind:     global_buffer
      - .offset:         16
        .size:           8
        .value_kind:     by_value
      - .offset:         24
        .size:           8
        .value_kind:     by_value
      - .actual_access:  read_only
        .address_space:  global
        .offset:         32
        .size:           8
        .value_kind:     global_buffer
      - .offset:         40
        .size:           8
        .value_kind:     by_value
      - .offset:         48
        .size:           8
        .value_kind:     by_value
      - .offset:         56
        .size:           4
        .value_kind:     by_value
      - .actual_access:  write_only
        .address_space:  global
        .offset:         64
        .size:           8
        .value_kind:     global_buffer
      - .actual_access:  write_only
        .address_space:  global
        .offset:         72
        .size:           8
        .value_kind:     global_buffer
      - .offset:         80
        .size:           4
        .value_kind:     hidden_block_count_x
      - .offset:         84
        .size:           4
        .value_kind:     hidden_block_count_y
      - .offset:         88
        .size:           4
        .value_kind:     hidden_block_count_z
      - .offset:         92
        .size:           2
        .value_kind:     hidden_group_size_x
      - .offset:         94
        .size:           2
        .value_kind:     hidden_group_size_y
      - .offset:         96
        .size:           2
        .value_kind:     hidden_group_size_z
      - .offset:         98
        .size:           2
        .value_kind:     hidden_remainder_x
      - .offset:         100
        .size:           2
        .value_kind:     hidden_remainder_y
      - .offset:         102
        .size:           2
        .value_kind:     hidden_remainder_z
      - .offset:         120
        .size:           8
        .value_kind:     hidden_global_offset_x
      - .offset:         128
        .size:           8
        .value_kind:     hidden_global_offset_y
      - .offset:         136
        .size:           8
        .value_kind:     hidden_global_offset_z
      - .offset:         144
        .size:           2
        .value_kind:     hidden_grid_dims
    .group_segment_fixed_size: 128
    .kernarg_segment_align: 8
    .kernarg_segment_size: 336
    .language:       OpenCL C
    .language_version:
      - 2
      - 0
    .max_flat_workgroup_size: 512
    .name:           _ZL23rocblas_dot_kernel_inc1ILb0ELi512ELi8ELb0E16rocblas_bfloat16PKS0_fEviT4_llS3_lliPT5_PT3_
    .private_segment_fixed_size: 0
    .sgpr_count:     26
    .sgpr_spill_count: 0
    .symbol:         _ZL23rocblas_dot_kernel_inc1ILb0ELi512ELi8ELb0E16rocblas_bfloat16PKS0_fEviT4_llS3_lliPT5_PT3_.kd
    .uniform_work_group_size: 1
    .uses_dynamic_stack: false
    .vgpr_count:     9
    .vgpr_spill_count: 0
    .wavefront_size: 32
    .workgroup_processor_mode: 1
  - .args:
      - .offset:         0
        .size:           4
        .value_kind:     by_value
      - .actual_access:  read_only
        .address_space:  global
        .offset:         8
        .size:           8
        .value_kind:     global_buffer
      - .offset:         16
        .size:           8
        .value_kind:     by_value
      - .offset:         24
        .size:           4
        .value_kind:     by_value
      - .offset:         32
        .size:           8
        .value_kind:     by_value
      - .actual_access:  read_only
        .address_space:  global
        .offset:         40
        .size:           8
        .value_kind:     global_buffer
      - .offset:         48
        .size:           8
        .value_kind:     by_value
      - .offset:         56
        .size:           4
        .value_kind:     by_value
      - .offset:         64
        .size:           8
        .value_kind:     by_value
      - .offset:         72
        .size:           4
        .value_kind:     by_value
      - .actual_access:  write_only
        .address_space:  global
        .offset:         80
        .size:           8
        .value_kind:     global_buffer
      - .actual_access:  write_only
        .address_space:  global
        .offset:         88
        .size:           8
        .value_kind:     global_buffer
      - .offset:         96
        .size:           4
        .value_kind:     hidden_block_count_x
      - .offset:         100
        .size:           4
        .value_kind:     hidden_block_count_y
      - .offset:         104
        .size:           4
        .value_kind:     hidden_block_count_z
      - .offset:         108
        .size:           2
        .value_kind:     hidden_group_size_x
      - .offset:         110
        .size:           2
        .value_kind:     hidden_group_size_y
      - .offset:         112
        .size:           2
        .value_kind:     hidden_group_size_z
      - .offset:         114
        .size:           2
        .value_kind:     hidden_remainder_x
      - .offset:         116
        .size:           2
        .value_kind:     hidden_remainder_y
      - .offset:         118
        .size:           2
        .value_kind:     hidden_remainder_z
      - .offset:         136
        .size:           8
        .value_kind:     hidden_global_offset_x
      - .offset:         144
        .size:           8
        .value_kind:     hidden_global_offset_y
      - .offset:         152
        .size:           8
        .value_kind:     hidden_global_offset_z
      - .offset:         160
        .size:           2
        .value_kind:     hidden_grid_dims
    .group_segment_fixed_size: 128
    .kernarg_segment_align: 8
    .kernarg_segment_size: 352
    .language:       OpenCL C
    .language_version:
      - 2
      - 0
    .max_flat_workgroup_size: 512
    .name:           _ZL18rocblas_dot_kernelIiLb0ELi512ELi8ELb0E16rocblas_bfloat16PKS0_fEviT5_lT_lS3_lS4_liPT6_PT4_
    .private_segment_fixed_size: 0
    .sgpr_count:     30
    .sgpr_spill_count: 0
    .symbol:         _ZL18rocblas_dot_kernelIiLb0ELi512ELi8ELb0E16rocblas_bfloat16PKS0_fEviT5_lT_lS3_lS4_liPT6_PT4_.kd
    .uniform_work_group_size: 1
    .uses_dynamic_stack: false
    .vgpr_count:     10
    .vgpr_spill_count: 0
    .wavefront_size: 32
    .workgroup_processor_mode: 1
  - .args:
      - .offset:         0
        .size:           4
        .value_kind:     by_value
      - .actual_access:  read_only
        .address_space:  global
        .offset:         8
        .size:           8
        .value_kind:     global_buffer
      - .offset:         16
        .size:           8
        .value_kind:     by_value
      - .offset:         24
        .size:           4
        .value_kind:     by_value
      - .offset:         32
        .size:           8
        .value_kind:     by_value
      - .offset:         40
        .size:           4
        .value_kind:     by_value
      - .actual_access:  write_only
        .address_space:  global
        .offset:         48
        .size:           8
        .value_kind:     global_buffer
      - .actual_access:  write_only
        .address_space:  global
        .offset:         56
        .size:           8
        .value_kind:     global_buffer
      - .offset:         64
        .size:           4
        .value_kind:     hidden_block_count_x
      - .offset:         68
        .size:           4
        .value_kind:     hidden_block_count_y
      - .offset:         72
        .size:           4
        .value_kind:     hidden_block_count_z
      - .offset:         76
        .size:           2
        .value_kind:     hidden_group_size_x
      - .offset:         78
        .size:           2
        .value_kind:     hidden_group_size_y
      - .offset:         80
        .size:           2
        .value_kind:     hidden_group_size_z
      - .offset:         82
        .size:           2
        .value_kind:     hidden_remainder_x
      - .offset:         84
        .size:           2
        .value_kind:     hidden_remainder_y
      - .offset:         86
        .size:           2
        .value_kind:     hidden_remainder_z
      - .offset:         104
        .size:           8
        .value_kind:     hidden_global_offset_x
      - .offset:         112
        .size:           8
        .value_kind:     hidden_global_offset_y
      - .offset:         120
        .size:           8
        .value_kind:     hidden_global_offset_z
      - .offset:         128
        .size:           2
        .value_kind:     hidden_grid_dims
    .group_segment_fixed_size: 128
    .kernarg_segment_align: 8
    .kernarg_segment_size: 320
    .language:       OpenCL C
    .language_version:
      - 2
      - 0
    .max_flat_workgroup_size: 512
    .name:           _ZL24rocblas_dot_kernel_magsqIiLb0ELi512ELi8ELb0E16rocblas_bfloat16PKS0_fEviT5_lT_liPT6_PT4_
    .private_segment_fixed_size: 0
    .sgpr_count:     24
    .sgpr_spill_count: 0
    .symbol:         _ZL24rocblas_dot_kernel_magsqIiLb0ELi512ELi8ELb0E16rocblas_bfloat16PKS0_fEviT5_lT_liPT6_PT4_.kd
    .uniform_work_group_size: 1
    .uses_dynamic_stack: false
    .vgpr_count:     9
    .vgpr_spill_count: 0
    .wavefront_size: 32
    .workgroup_processor_mode: 1
  - .args:
      - .offset:         0
        .size:           4
        .value_kind:     by_value
      - .actual_access:  read_only
        .address_space:  global
        .offset:         8
        .size:           8
        .value_kind:     global_buffer
      - .offset:         16
        .size:           8
        .value_kind:     by_value
      - .offset:         24
        .size:           4
        .value_kind:     by_value
      - .offset:         32
        .size:           8
        .value_kind:     by_value
      - .actual_access:  read_only
        .address_space:  global
        .offset:         40
        .size:           8
        .value_kind:     global_buffer
      - .offset:         48
        .size:           8
        .value_kind:     by_value
      - .offset:         56
        .size:           4
        .value_kind:     by_value
      - .offset:         64
        .size:           8
        .value_kind:     by_value
      - .offset:         72
        .size:           4
        .value_kind:     by_value
      - .actual_access:  write_only
        .address_space:  global
        .offset:         80
        .size:           8
        .value_kind:     global_buffer
    .group_segment_fixed_size: 0
    .kernarg_segment_align: 8
    .kernarg_segment_size: 88
    .language:       OpenCL C
    .language_version:
      - 2
      - 0
    .max_flat_workgroup_size: 128
    .name:           _ZL28rocblas_dot_batched_4_kernelIiLi32ELi4ELb0EffPK16rocblas_bfloat16EviT5_lT_lS3_lS4_liPT4_
    .private_segment_fixed_size: 0
    .sgpr_count:     22
    .sgpr_spill_count: 0
    .symbol:         _ZL28rocblas_dot_batched_4_kernelIiLi32ELi4ELb0EffPK16rocblas_bfloat16EviT5_lT_lS3_lS4_liPT4_.kd
    .uniform_work_group_size: 1
    .uses_dynamic_stack: false
    .vgpr_count:     14
    .vgpr_spill_count: 0
    .wavefront_size: 32
    .workgroup_processor_mode: 1
  - .args:
      - .offset:         0
        .size:           4
        .value_kind:     by_value
      - .actual_access:  read_only
        .address_space:  global
        .offset:         8
        .size:           8
        .value_kind:     global_buffer
      - .offset:         16
        .size:           8
        .value_kind:     by_value
      - .offset:         24
        .size:           4
        .value_kind:     by_value
      - .offset:         32
        .size:           8
        .value_kind:     by_value
      - .actual_access:  read_only
        .address_space:  global
        .offset:         40
        .size:           8
        .value_kind:     global_buffer
      - .offset:         48
        .size:           8
        .value_kind:     by_value
      - .offset:         56
        .size:           4
        .value_kind:     by_value
      - .offset:         64
        .size:           8
        .value_kind:     by_value
      - .offset:         72
        .size:           4
        .value_kind:     by_value
      - .actual_access:  write_only
        .address_space:  global
        .offset:         80
        .size:           8
        .value_kind:     global_buffer
    .group_segment_fixed_size: 0
    .kernarg_segment_align: 8
    .kernarg_segment_size: 88
    .language:       OpenCL C
    .language_version:
      - 2
      - 0
    .max_flat_workgroup_size: 256
    .name:           _ZL28rocblas_dot_batched_4_kernelIiLi64ELi4ELb0EffPK16rocblas_bfloat16EviT5_lT_lS3_lS4_liPT4_
    .private_segment_fixed_size: 0
    .sgpr_count:     22
    .sgpr_spill_count: 0
    .symbol:         _ZL28rocblas_dot_batched_4_kernelIiLi64ELi4ELb0EffPK16rocblas_bfloat16EviT5_lT_lS3_lS4_liPT4_.kd
    .uniform_work_group_size: 1
    .uses_dynamic_stack: false
    .vgpr_count:     14
    .vgpr_spill_count: 0
    .wavefront_size: 32
    .workgroup_processor_mode: 1
  - .args:
      - .offset:         0
        .size:           4
        .value_kind:     by_value
      - .actual_access:  read_only
        .address_space:  global
        .offset:         8
        .size:           8
        .value_kind:     global_buffer
      - .offset:         16
        .size:           8
        .value_kind:     by_value
      - .offset:         24
        .size:           4
        .value_kind:     by_value
      - .offset:         32
        .size:           8
        .value_kind:     by_value
      - .actual_access:  read_only
        .address_space:  global
        .offset:         40
        .size:           8
        .value_kind:     global_buffer
      - .offset:         48
        .size:           8
        .value_kind:     by_value
      - .offset:         56
        .size:           4
        .value_kind:     by_value
      - .offset:         64
        .size:           8
        .value_kind:     by_value
      - .offset:         72
        .size:           4
        .value_kind:     by_value
      - .actual_access:  read_only
        .address_space:  global
        .offset:         80
        .size:           8
        .value_kind:     global_buffer
      - .actual_access:  write_only
        .address_space:  global
        .offset:         88
        .size:           8
        .value_kind:     global_buffer
      - .offset:         96
        .size:           4
        .value_kind:     hidden_block_count_x
      - .offset:         100
        .size:           4
        .value_kind:     hidden_block_count_y
      - .offset:         104
        .size:           4
        .value_kind:     hidden_block_count_z
      - .offset:         108
        .size:           2
        .value_kind:     hidden_group_size_x
      - .offset:         110
        .size:           2
        .value_kind:     hidden_group_size_y
      - .offset:         112
        .size:           2
        .value_kind:     hidden_group_size_z
      - .offset:         114
        .size:           2
        .value_kind:     hidden_remainder_x
      - .offset:         116
        .size:           2
        .value_kind:     hidden_remainder_y
      - .offset:         118
        .size:           2
        .value_kind:     hidden_remainder_z
      - .offset:         136
        .size:           8
        .value_kind:     hidden_global_offset_x
      - .offset:         144
        .size:           8
        .value_kind:     hidden_global_offset_y
      - .offset:         152
        .size:           8
        .value_kind:     hidden_global_offset_z
      - .offset:         160
        .size:           2
        .value_kind:     hidden_grid_dims
    .group_segment_fixed_size: 128
    .kernarg_segment_align: 8
    .kernarg_segment_size: 352
    .language:       OpenCL C
    .language_version:
      - 2
      - 0
    .max_flat_workgroup_size: 1024
    .name:           _ZL18rocblas_dot_kernelIiLb1ELi1024ELi32ELb0EfPK16rocblas_bfloat16fEviT5_lT_lS3_lS4_liPT6_PT4_
    .private_segment_fixed_size: 0
    .sgpr_count:     27
    .sgpr_spill_count: 0
    .symbol:         _ZL18rocblas_dot_kernelIiLb1ELi1024ELi32ELb0EfPK16rocblas_bfloat16fEviT5_lT_lS3_lS4_liPT6_PT4_.kd
    .uniform_work_group_size: 1
    .uses_dynamic_stack: false
    .vgpr_count:     10
    .vgpr_spill_count: 0
    .wavefront_size: 32
    .workgroup_processor_mode: 1
  - .args:
      - .offset:         0
        .size:           4
        .value_kind:     by_value
      - .actual_access:  read_only
        .address_space:  global
        .offset:         8
        .size:           8
        .value_kind:     global_buffer
      - .offset:         16
        .size:           8
        .value_kind:     by_value
      - .offset:         24
        .size:           4
        .value_kind:     by_value
      - .offset:         32
        .size:           8
        .value_kind:     by_value
      - .offset:         40
        .size:           4
        .value_kind:     by_value
      - .actual_access:  read_only
        .address_space:  global
        .offset:         48
        .size:           8
        .value_kind:     global_buffer
      - .actual_access:  write_only
        .address_space:  global
        .offset:         56
        .size:           8
        .value_kind:     global_buffer
      - .offset:         64
        .size:           4
        .value_kind:     hidden_block_count_x
      - .offset:         68
        .size:           4
        .value_kind:     hidden_block_count_y
      - .offset:         72
        .size:           4
        .value_kind:     hidden_block_count_z
      - .offset:         76
        .size:           2
        .value_kind:     hidden_group_size_x
      - .offset:         78
        .size:           2
        .value_kind:     hidden_group_size_y
      - .offset:         80
        .size:           2
        .value_kind:     hidden_group_size_z
      - .offset:         82
        .size:           2
        .value_kind:     hidden_remainder_x
      - .offset:         84
        .size:           2
        .value_kind:     hidden_remainder_y
      - .offset:         86
        .size:           2
        .value_kind:     hidden_remainder_z
      - .offset:         104
        .size:           8
        .value_kind:     hidden_global_offset_x
      - .offset:         112
        .size:           8
        .value_kind:     hidden_global_offset_y
      - .offset:         120
        .size:           8
        .value_kind:     hidden_global_offset_z
      - .offset:         128
        .size:           2
        .value_kind:     hidden_grid_dims
    .group_segment_fixed_size: 128
    .kernarg_segment_align: 8
    .kernarg_segment_size: 320
    .language:       OpenCL C
    .language_version:
      - 2
      - 0
    .max_flat_workgroup_size: 1024
    .name:           _ZL24rocblas_dot_kernel_magsqIiLb1ELi1024ELi32ELb0EfPK16rocblas_bfloat16fEviT5_lT_liPT6_PT4_
    .private_segment_fixed_size: 0
    .sgpr_count:     19
    .sgpr_spill_count: 0
    .symbol:         _ZL24rocblas_dot_kernel_magsqIiLb1ELi1024ELi32ELb0EfPK16rocblas_bfloat16fEviT5_lT_liPT6_PT4_.kd
    .uniform_work_group_size: 1
    .uses_dynamic_stack: false
    .vgpr_count:     10
    .vgpr_spill_count: 0
    .wavefront_size: 32
    .workgroup_processor_mode: 1
  - .args:
      - .offset:         0
        .size:           4
        .value_kind:     by_value
      - .actual_access:  read_only
        .address_space:  global
        .offset:         8
        .size:           8
        .value_kind:     global_buffer
      - .offset:         16
        .size:           8
        .value_kind:     by_value
      - .offset:         24
        .size:           4
        .value_kind:     by_value
      - .offset:         32
        .size:           8
        .value_kind:     by_value
      - .actual_access:  read_only
        .address_space:  global
        .offset:         40
        .size:           8
        .value_kind:     global_buffer
      - .offset:         48
        .size:           8
        .value_kind:     by_value
      - .offset:         56
        .size:           4
        .value_kind:     by_value
      - .offset:         64
        .size:           8
        .value_kind:     by_value
      - .actual_access:  read_only
        .address_space:  global
        .offset:         72
        .size:           8
        .value_kind:     global_buffer
      - .actual_access:  read_only
        .address_space:  global
        .offset:         80
        .size:           8
        .value_kind:     global_buffer
    .group_segment_fixed_size: 0
    .kernarg_segment_align: 8
    .kernarg_segment_size: 88
    .language:       OpenCL C
    .language_version:
      - 2
      - 0
    .max_flat_workgroup_size: 1024
    .name:           _ZL38rocblas_dot_kernel_gfx942_float_doubleIiLi1024EfPK16rocblas_bfloat16fEviT2_lT_lS3_lS4_lPT3_PT1_
    .private_segment_fixed_size: 0
    .sgpr_count:     0
    .sgpr_spill_count: 0
    .symbol:         _ZL38rocblas_dot_kernel_gfx942_float_doubleIiLi1024EfPK16rocblas_bfloat16fEviT2_lT_lS3_lS4_lPT3_PT1_.kd
    .uniform_work_group_size: 1
    .uses_dynamic_stack: false
    .vgpr_count:     0
    .vgpr_spill_count: 0
    .wavefront_size: 32
    .workgroup_processor_mode: 1
  - .args:
      - .offset:         0
        .size:           4
        .value_kind:     by_value
      - .actual_access:  read_only
        .address_space:  global
        .offset:         8
        .size:           8
        .value_kind:     global_buffer
      - .offset:         16
        .size:           8
        .value_kind:     by_value
      - .offset:         24
        .size:           4
        .value_kind:     by_value
      - .offset:         32
        .size:           8
        .value_kind:     by_value
      - .actual_access:  read_only
        .address_space:  global
        .offset:         40
        .size:           8
        .value_kind:     global_buffer
      - .offset:         48
        .size:           8
        .value_kind:     by_value
      - .offset:         56
        .size:           4
        .value_kind:     by_value
      - .offset:         64
        .size:           8
        .value_kind:     by_value
      - .offset:         72
        .size:           4
        .value_kind:     by_value
      - .actual_access:  write_only
        .address_space:  global
        .offset:         80
        .size:           8
        .value_kind:     global_buffer
      - .actual_access:  write_only
        .address_space:  global
        .offset:         88
        .size:           8
        .value_kind:     global_buffer
      - .offset:         96
        .size:           4
        .value_kind:     hidden_block_count_x
      - .offset:         100
        .size:           4
        .value_kind:     hidden_block_count_y
      - .offset:         104
        .size:           4
        .value_kind:     hidden_block_count_z
      - .offset:         108
        .size:           2
        .value_kind:     hidden_group_size_x
      - .offset:         110
        .size:           2
        .value_kind:     hidden_group_size_y
      - .offset:         112
        .size:           2
        .value_kind:     hidden_group_size_z
      - .offset:         114
        .size:           2
        .value_kind:     hidden_remainder_x
      - .offset:         116
        .size:           2
        .value_kind:     hidden_remainder_y
      - .offset:         118
        .size:           2
        .value_kind:     hidden_remainder_z
      - .offset:         136
        .size:           8
        .value_kind:     hidden_global_offset_x
      - .offset:         144
        .size:           8
        .value_kind:     hidden_global_offset_y
      - .offset:         152
        .size:           8
        .value_kind:     hidden_global_offset_z
      - .offset:         160
        .size:           2
        .value_kind:     hidden_grid_dims
    .group_segment_fixed_size: 128
    .kernarg_segment_align: 8
    .kernarg_segment_size: 352
    .language:       OpenCL C
    .language_version:
      - 2
      - 0
    .max_flat_workgroup_size: 512
    .name:           _ZL18rocblas_dot_kernelIiLb0ELi512ELi4ELb0EfPK16rocblas_bfloat16fEviT5_lT_lS3_lS4_liPT6_PT4_
    .private_segment_fixed_size: 0
    .sgpr_count:     30
    .sgpr_spill_count: 0
    .symbol:         _ZL18rocblas_dot_kernelIiLb0ELi512ELi4ELb0EfPK16rocblas_bfloat16fEviT5_lT_lS3_lS4_liPT6_PT4_.kd
    .uniform_work_group_size: 1
    .uses_dynamic_stack: false
    .vgpr_count:     10
    .vgpr_spill_count: 0
    .wavefront_size: 32
    .workgroup_processor_mode: 1
  - .args:
      - .offset:         0
        .size:           4
        .value_kind:     by_value
      - .actual_access:  read_only
        .address_space:  global
        .offset:         8
        .size:           8
        .value_kind:     global_buffer
      - .offset:         16
        .size:           8
        .value_kind:     by_value
      - .offset:         24
        .size:           4
        .value_kind:     by_value
      - .offset:         32
        .size:           8
        .value_kind:     by_value
      - .offset:         40
        .size:           4
        .value_kind:     by_value
      - .actual_access:  write_only
        .address_space:  global
        .offset:         48
        .size:           8
        .value_kind:     global_buffer
      - .actual_access:  write_only
        .address_space:  global
        .offset:         56
        .size:           8
        .value_kind:     global_buffer
      - .offset:         64
        .size:           4
        .value_kind:     hidden_block_count_x
      - .offset:         68
        .size:           4
        .value_kind:     hidden_block_count_y
      - .offset:         72
        .size:           4
        .value_kind:     hidden_block_count_z
      - .offset:         76
        .size:           2
        .value_kind:     hidden_group_size_x
      - .offset:         78
        .size:           2
        .value_kind:     hidden_group_size_y
      - .offset:         80
        .size:           2
        .value_kind:     hidden_group_size_z
      - .offset:         82
        .size:           2
        .value_kind:     hidden_remainder_x
      - .offset:         84
        .size:           2
        .value_kind:     hidden_remainder_y
      - .offset:         86
        .size:           2
        .value_kind:     hidden_remainder_z
      - .offset:         104
        .size:           8
        .value_kind:     hidden_global_offset_x
      - .offset:         112
        .size:           8
        .value_kind:     hidden_global_offset_y
      - .offset:         120
        .size:           8
        .value_kind:     hidden_global_offset_z
      - .offset:         128
        .size:           2
        .value_kind:     hidden_grid_dims
    .group_segment_fixed_size: 128
    .kernarg_segment_align: 8
    .kernarg_segment_size: 320
    .language:       OpenCL C
    .language_version:
      - 2
      - 0
    .max_flat_workgroup_size: 512
    .name:           _ZL24rocblas_dot_kernel_magsqIiLb0ELi512ELi4ELb0EfPK16rocblas_bfloat16fEviT5_lT_liPT6_PT4_
    .private_segment_fixed_size: 0
    .sgpr_count:     24
    .sgpr_spill_count: 0
    .symbol:         _ZL24rocblas_dot_kernel_magsqIiLb0ELi512ELi4ELb0EfPK16rocblas_bfloat16fEviT5_lT_liPT6_PT4_.kd
    .uniform_work_group_size: 1
    .uses_dynamic_stack: false
    .vgpr_count:     9
    .vgpr_spill_count: 0
    .wavefront_size: 32
    .workgroup_processor_mode: 1
  - .args:
      - .offset:         0
        .size:           4
        .value_kind:     by_value
      - .actual_access:  read_only
        .address_space:  global
        .offset:         8
        .size:           8
        .value_kind:     global_buffer
      - .offset:         16
        .size:           8
        .value_kind:     by_value
      - .offset:         24
        .size:           8
        .value_kind:     by_value
      - .offset:         32
        .size:           8
        .value_kind:     by_value
      - .actual_access:  read_only
        .address_space:  global
        .offset:         40
        .size:           8
        .value_kind:     global_buffer
      - .offset:         48
        .size:           8
        .value_kind:     by_value
      - .offset:         56
        .size:           8
        .value_kind:     by_value
      - .offset:         64
        .size:           8
        .value_kind:     by_value
      - .offset:         72
        .size:           4
        .value_kind:     by_value
      - .actual_access:  write_only
        .address_space:  global
        .offset:         80
        .size:           8
        .value_kind:     global_buffer
    .group_segment_fixed_size: 0
    .kernarg_segment_align: 8
    .kernarg_segment_size: 88
    .language:       OpenCL C
    .language_version:
      - 2
      - 0
    .max_flat_workgroup_size: 128
    .name:           _ZL28rocblas_dot_batched_4_kernelIlLi32ELi4ELb0Ef16rocblas_bfloat16PKS0_EviT5_lT_lS3_lS4_liPT4_
    .private_segment_fixed_size: 0
    .sgpr_count:     22
    .sgpr_spill_count: 0
    .symbol:         _ZL28rocblas_dot_batched_4_kernelIlLi32ELi4ELb0Ef16rocblas_bfloat16PKS0_EviT5_lT_lS3_lS4_liPT4_.kd
    .uniform_work_group_size: 1
    .uses_dynamic_stack: false
    .vgpr_count:     17
    .vgpr_spill_count: 0
    .wavefront_size: 32
    .workgroup_processor_mode: 1
  - .args:
      - .offset:         0
        .size:           4
        .value_kind:     by_value
      - .actual_access:  read_only
        .address_space:  global
        .offset:         8
        .size:           8
        .value_kind:     global_buffer
      - .offset:         16
        .size:           8
        .value_kind:     by_value
      - .offset:         24
        .size:           8
        .value_kind:     by_value
      - .offset:         32
        .size:           8
        .value_kind:     by_value
      - .actual_access:  read_only
        .address_space:  global
        .offset:         40
        .size:           8
        .value_kind:     global_buffer
      - .offset:         48
        .size:           8
        .value_kind:     by_value
      - .offset:         56
        .size:           8
        .value_kind:     by_value
      - .offset:         64
        .size:           8
        .value_kind:     by_value
      - .offset:         72
        .size:           4
        .value_kind:     by_value
      - .actual_access:  write_only
        .address_space:  global
        .offset:         80
        .size:           8
        .value_kind:     global_buffer
    .group_segment_fixed_size: 0
    .kernarg_segment_align: 8
    .kernarg_segment_size: 88
    .language:       OpenCL C
    .language_version:
      - 2
      - 0
    .max_flat_workgroup_size: 256
    .name:           _ZL28rocblas_dot_batched_4_kernelIlLi64ELi4ELb0Ef16rocblas_bfloat16PKS0_EviT5_lT_lS3_lS4_liPT4_
    .private_segment_fixed_size: 0
    .sgpr_count:     22
    .sgpr_spill_count: 0
    .symbol:         _ZL28rocblas_dot_batched_4_kernelIlLi64ELi4ELb0Ef16rocblas_bfloat16PKS0_EviT5_lT_lS3_lS4_liPT4_.kd
    .uniform_work_group_size: 1
    .uses_dynamic_stack: false
    .vgpr_count:     17
    .vgpr_spill_count: 0
    .wavefront_size: 32
    .workgroup_processor_mode: 1
  - .args:
      - .offset:         0
        .size:           4
        .value_kind:     by_value
      - .actual_access:  read_only
        .address_space:  global
        .offset:         8
        .size:           8
        .value_kind:     global_buffer
      - .offset:         16
        .size:           8
        .value_kind:     by_value
      - .offset:         24
        .size:           8
        .value_kind:     by_value
      - .offset:         32
        .size:           8
        .value_kind:     by_value
      - .actual_access:  read_only
        .address_space:  global
        .offset:         40
        .size:           8
        .value_kind:     global_buffer
      - .offset:         48
        .size:           8
        .value_kind:     by_value
      - .offset:         56
        .size:           8
        .value_kind:     by_value
      - .offset:         64
        .size:           8
        .value_kind:     by_value
      - .offset:         72
        .size:           4
        .value_kind:     by_value
      - .actual_access:  read_only
        .address_space:  global
        .offset:         80
        .size:           8
        .value_kind:     global_buffer
      - .actual_access:  write_only
        .address_space:  global
        .offset:         88
        .size:           8
        .value_kind:     global_buffer
      - .offset:         96
        .size:           4
        .value_kind:     hidden_block_count_x
      - .offset:         100
        .size:           4
        .value_kind:     hidden_block_count_y
      - .offset:         104
        .size:           4
        .value_kind:     hidden_block_count_z
      - .offset:         108
        .size:           2
        .value_kind:     hidden_group_size_x
      - .offset:         110
        .size:           2
        .value_kind:     hidden_group_size_y
      - .offset:         112
        .size:           2
        .value_kind:     hidden_group_size_z
      - .offset:         114
        .size:           2
        .value_kind:     hidden_remainder_x
      - .offset:         116
        .size:           2
        .value_kind:     hidden_remainder_y
      - .offset:         118
        .size:           2
        .value_kind:     hidden_remainder_z
      - .offset:         136
        .size:           8
        .value_kind:     hidden_global_offset_x
      - .offset:         144
        .size:           8
        .value_kind:     hidden_global_offset_y
      - .offset:         152
        .size:           8
        .value_kind:     hidden_global_offset_z
      - .offset:         160
        .size:           2
        .value_kind:     hidden_grid_dims
    .group_segment_fixed_size: 128
    .kernarg_segment_align: 8
    .kernarg_segment_size: 352
    .language:       OpenCL C
    .language_version:
      - 2
      - 0
    .max_flat_workgroup_size: 1024
    .name:           _ZL18rocblas_dot_kernelIlLb1ELi1024ELi32ELb0E16rocblas_bfloat16PKS0_fEviT5_lT_lS3_lS4_liPT6_PT4_
    .private_segment_fixed_size: 0
    .sgpr_count:     29
    .sgpr_spill_count: 0
    .symbol:         _ZL18rocblas_dot_kernelIlLb1ELi1024ELi32ELb0E16rocblas_bfloat16PKS0_fEviT5_lT_lS3_lS4_liPT6_PT4_.kd
    .uniform_work_group_size: 1
    .uses_dynamic_stack: false
    .vgpr_count:     10
    .vgpr_spill_count: 0
    .wavefront_size: 32
    .workgroup_processor_mode: 1
  - .args:
      - .offset:         0
        .size:           4
        .value_kind:     by_value
      - .actual_access:  read_only
        .address_space:  global
        .offset:         8
        .size:           8
        .value_kind:     global_buffer
      - .offset:         16
        .size:           8
        .value_kind:     by_value
      - .offset:         24
        .size:           8
        .value_kind:     by_value
      - .offset:         32
        .size:           8
        .value_kind:     by_value
      - .offset:         40
        .size:           4
        .value_kind:     by_value
      - .actual_access:  read_only
        .address_space:  global
        .offset:         48
        .size:           8
        .value_kind:     global_buffer
      - .actual_access:  write_only
        .address_space:  global
        .offset:         56
        .size:           8
        .value_kind:     global_buffer
      - .offset:         64
        .size:           4
        .value_kind:     hidden_block_count_x
      - .offset:         68
        .size:           4
        .value_kind:     hidden_block_count_y
      - .offset:         72
        .size:           4
        .value_kind:     hidden_block_count_z
      - .offset:         76
        .size:           2
        .value_kind:     hidden_group_size_x
      - .offset:         78
        .size:           2
        .value_kind:     hidden_group_size_y
      - .offset:         80
        .size:           2
        .value_kind:     hidden_group_size_z
      - .offset:         82
        .size:           2
        .value_kind:     hidden_remainder_x
      - .offset:         84
        .size:           2
        .value_kind:     hidden_remainder_y
      - .offset:         86
        .size:           2
        .value_kind:     hidden_remainder_z
      - .offset:         104
        .size:           8
        .value_kind:     hidden_global_offset_x
      - .offset:         112
        .size:           8
        .value_kind:     hidden_global_offset_y
      - .offset:         120
        .size:           8
        .value_kind:     hidden_global_offset_z
      - .offset:         128
        .size:           2
        .value_kind:     hidden_grid_dims
    .group_segment_fixed_size: 128
    .kernarg_segment_align: 8
    .kernarg_segment_size: 320
    .language:       OpenCL C
    .language_version:
      - 2
      - 0
    .max_flat_workgroup_size: 1024
    .name:           _ZL24rocblas_dot_kernel_magsqIlLb1ELi1024ELi32ELb0E16rocblas_bfloat16PKS0_fEviT5_lT_liPT6_PT4_
    .private_segment_fixed_size: 0
    .sgpr_count:     19
    .sgpr_spill_count: 0
    .symbol:         _ZL24rocblas_dot_kernel_magsqIlLb1ELi1024ELi32ELb0E16rocblas_bfloat16PKS0_fEviT5_lT_liPT6_PT4_.kd
    .uniform_work_group_size: 1
    .uses_dynamic_stack: false
    .vgpr_count:     10
    .vgpr_spill_count: 0
    .wavefront_size: 32
    .workgroup_processor_mode: 1
  - .args:
      - .offset:         0
        .size:           4
        .value_kind:     by_value
      - .actual_access:  read_only
        .address_space:  global
        .offset:         8
        .size:           8
        .value_kind:     global_buffer
      - .offset:         16
        .size:           8
        .value_kind:     by_value
      - .offset:         24
        .size:           8
        .value_kind:     by_value
      - .offset:         32
        .size:           8
        .value_kind:     by_value
      - .actual_access:  read_only
        .address_space:  global
        .offset:         40
        .size:           8
        .value_kind:     global_buffer
      - .offset:         48
        .size:           8
        .value_kind:     by_value
      - .offset:         56
        .size:           8
        .value_kind:     by_value
      - .offset:         64
        .size:           8
        .value_kind:     by_value
      - .actual_access:  read_only
        .address_space:  global
        .offset:         72
        .size:           8
        .value_kind:     global_buffer
      - .actual_access:  read_only
        .address_space:  global
        .offset:         80
        .size:           8
        .value_kind:     global_buffer
    .group_segment_fixed_size: 0
    .kernarg_segment_align: 8
    .kernarg_segment_size: 88
    .language:       OpenCL C
    .language_version:
      - 2
      - 0
    .max_flat_workgroup_size: 1024
    .name:           _ZL38rocblas_dot_kernel_gfx942_float_doubleIlLi1024E16rocblas_bfloat16PKS0_fEviT2_lT_lS3_lS4_lPT3_PT1_
    .private_segment_fixed_size: 0
    .sgpr_count:     0
    .sgpr_spill_count: 0
    .symbol:         _ZL38rocblas_dot_kernel_gfx942_float_doubleIlLi1024E16rocblas_bfloat16PKS0_fEviT2_lT_lS3_lS4_lPT3_PT1_.kd
    .uniform_work_group_size: 1
    .uses_dynamic_stack: false
    .vgpr_count:     0
    .vgpr_spill_count: 0
    .wavefront_size: 32
    .workgroup_processor_mode: 1
  - .args:
      - .offset:         0
        .size:           4
        .value_kind:     by_value
      - .actual_access:  read_only
        .address_space:  global
        .offset:         8
        .size:           8
        .value_kind:     global_buffer
      - .offset:         16
        .size:           8
        .value_kind:     by_value
      - .offset:         24
        .size:           8
        .value_kind:     by_value
      - .offset:         32
        .size:           8
        .value_kind:     by_value
      - .actual_access:  read_only
        .address_space:  global
        .offset:         40
        .size:           8
        .value_kind:     global_buffer
      - .offset:         48
        .size:           8
        .value_kind:     by_value
      - .offset:         56
        .size:           8
        .value_kind:     by_value
      - .offset:         64
        .size:           8
        .value_kind:     by_value
      - .offset:         72
        .size:           4
        .value_kind:     by_value
      - .actual_access:  write_only
        .address_space:  global
        .offset:         80
        .size:           8
        .value_kind:     global_buffer
      - .actual_access:  write_only
        .address_space:  global
        .offset:         88
        .size:           8
        .value_kind:     global_buffer
      - .offset:         96
        .size:           4
        .value_kind:     hidden_block_count_x
      - .offset:         100
        .size:           4
        .value_kind:     hidden_block_count_y
      - .offset:         104
        .size:           4
        .value_kind:     hidden_block_count_z
      - .offset:         108
        .size:           2
        .value_kind:     hidden_group_size_x
      - .offset:         110
        .size:           2
        .value_kind:     hidden_group_size_y
      - .offset:         112
        .size:           2
        .value_kind:     hidden_group_size_z
      - .offset:         114
        .size:           2
        .value_kind:     hidden_remainder_x
      - .offset:         116
        .size:           2
        .value_kind:     hidden_remainder_y
      - .offset:         118
        .size:           2
        .value_kind:     hidden_remainder_z
      - .offset:         136
        .size:           8
        .value_kind:     hidden_global_offset_x
      - .offset:         144
        .size:           8
        .value_kind:     hidden_global_offset_y
      - .offset:         152
        .size:           8
        .value_kind:     hidden_global_offset_z
      - .offset:         160
        .size:           2
        .value_kind:     hidden_grid_dims
    .group_segment_fixed_size: 128
    .kernarg_segment_align: 8
    .kernarg_segment_size: 352
    .language:       OpenCL C
    .language_version:
      - 2
      - 0
    .max_flat_workgroup_size: 512
    .name:           _ZL18rocblas_dot_kernelIlLb0ELi512ELi8ELb0E16rocblas_bfloat16PKS0_fEviT5_lT_lS3_lS4_liPT6_PT4_
    .private_segment_fixed_size: 0
    .sgpr_count:     30
    .sgpr_spill_count: 0
    .symbol:         _ZL18rocblas_dot_kernelIlLb0ELi512ELi8ELb0E16rocblas_bfloat16PKS0_fEviT5_lT_lS3_lS4_liPT6_PT4_.kd
    .uniform_work_group_size: 1
    .uses_dynamic_stack: false
    .vgpr_count:     11
    .vgpr_spill_count: 0
    .wavefront_size: 32
    .workgroup_processor_mode: 1
  - .args:
      - .offset:         0
        .size:           4
        .value_kind:     by_value
      - .actual_access:  read_only
        .address_space:  global
        .offset:         8
        .size:           8
        .value_kind:     global_buffer
      - .offset:         16
        .size:           8
        .value_kind:     by_value
      - .offset:         24
        .size:           8
        .value_kind:     by_value
      - .offset:         32
        .size:           8
        .value_kind:     by_value
      - .offset:         40
        .size:           4
        .value_kind:     by_value
      - .actual_access:  write_only
        .address_space:  global
        .offset:         48
        .size:           8
        .value_kind:     global_buffer
      - .actual_access:  write_only
        .address_space:  global
        .offset:         56
        .size:           8
        .value_kind:     global_buffer
      - .offset:         64
        .size:           4
        .value_kind:     hidden_block_count_x
      - .offset:         68
        .size:           4
        .value_kind:     hidden_block_count_y
      - .offset:         72
        .size:           4
        .value_kind:     hidden_block_count_z
      - .offset:         76
        .size:           2
        .value_kind:     hidden_group_size_x
      - .offset:         78
        .size:           2
        .value_kind:     hidden_group_size_y
      - .offset:         80
        .size:           2
        .value_kind:     hidden_group_size_z
      - .offset:         82
        .size:           2
        .value_kind:     hidden_remainder_x
      - .offset:         84
        .size:           2
        .value_kind:     hidden_remainder_y
      - .offset:         86
        .size:           2
        .value_kind:     hidden_remainder_z
      - .offset:         104
        .size:           8
        .value_kind:     hidden_global_offset_x
      - .offset:         112
        .size:           8
        .value_kind:     hidden_global_offset_y
      - .offset:         120
        .size:           8
        .value_kind:     hidden_global_offset_z
      - .offset:         128
        .size:           2
        .value_kind:     hidden_grid_dims
    .group_segment_fixed_size: 128
    .kernarg_segment_align: 8
    .kernarg_segment_size: 320
    .language:       OpenCL C
    .language_version:
      - 2
      - 0
    .max_flat_workgroup_size: 512
    .name:           _ZL24rocblas_dot_kernel_magsqIlLb0ELi512ELi8ELb0E16rocblas_bfloat16PKS0_fEviT5_lT_liPT6_PT4_
    .private_segment_fixed_size: 0
    .sgpr_count:     24
    .sgpr_spill_count: 0
    .symbol:         _ZL24rocblas_dot_kernel_magsqIlLb0ELi512ELi8ELb0E16rocblas_bfloat16PKS0_fEviT5_lT_liPT6_PT4_.kd
    .uniform_work_group_size: 1
    .uses_dynamic_stack: false
    .vgpr_count:     9
    .vgpr_spill_count: 0
    .wavefront_size: 32
    .workgroup_processor_mode: 1
  - .args:
      - .offset:         0
        .size:           4
        .value_kind:     by_value
      - .actual_access:  read_only
        .address_space:  global
        .offset:         8
        .size:           8
        .value_kind:     global_buffer
      - .offset:         16
        .size:           8
        .value_kind:     by_value
      - .offset:         24
        .size:           4
        .value_kind:     by_value
      - .offset:         32
        .size:           8
        .value_kind:     by_value
      - .actual_access:  read_only
        .address_space:  global
        .offset:         40
        .size:           8
        .value_kind:     global_buffer
      - .offset:         48
        .size:           8
        .value_kind:     by_value
      - .offset:         56
        .size:           4
        .value_kind:     by_value
      - .offset:         64
        .size:           8
        .value_kind:     by_value
      - .offset:         72
        .size:           4
        .value_kind:     by_value
      - .actual_access:  write_only
        .address_space:  global
        .offset:         80
        .size:           8
        .value_kind:     global_buffer
    .group_segment_fixed_size: 0
    .kernarg_segment_align: 8
    .kernarg_segment_size: 88
    .language:       OpenCL C
    .language_version:
      - 2
      - 0
    .max_flat_workgroup_size: 128
    .name:           _ZL28rocblas_dot_batched_4_kernelIiLi32ELi4ELb0EffPKfEviT5_lT_lS2_lS3_liPT4_
    .private_segment_fixed_size: 0
    .sgpr_count:     22
    .sgpr_spill_count: 0
    .symbol:         _ZL28rocblas_dot_batched_4_kernelIiLi32ELi4ELb0EffPKfEviT5_lT_lS2_lS3_liPT4_.kd
    .uniform_work_group_size: 1
    .uses_dynamic_stack: false
    .vgpr_count:     14
    .vgpr_spill_count: 0
    .wavefront_size: 32
    .workgroup_processor_mode: 1
  - .args:
      - .offset:         0
        .size:           4
        .value_kind:     by_value
      - .actual_access:  read_only
        .address_space:  global
        .offset:         8
        .size:           8
        .value_kind:     global_buffer
      - .offset:         16
        .size:           8
        .value_kind:     by_value
      - .offset:         24
        .size:           4
        .value_kind:     by_value
      - .offset:         32
        .size:           8
        .value_kind:     by_value
      - .actual_access:  read_only
        .address_space:  global
        .offset:         40
        .size:           8
        .value_kind:     global_buffer
      - .offset:         48
        .size:           8
        .value_kind:     by_value
      - .offset:         56
        .size:           4
        .value_kind:     by_value
      - .offset:         64
        .size:           8
        .value_kind:     by_value
      - .offset:         72
        .size:           4
        .value_kind:     by_value
      - .actual_access:  write_only
        .address_space:  global
        .offset:         80
        .size:           8
        .value_kind:     global_buffer
    .group_segment_fixed_size: 0
    .kernarg_segment_align: 8
    .kernarg_segment_size: 88
    .language:       OpenCL C
    .language_version:
      - 2
      - 0
    .max_flat_workgroup_size: 256
    .name:           _ZL28rocblas_dot_batched_4_kernelIiLi64ELi4ELb0EffPKfEviT5_lT_lS2_lS3_liPT4_
    .private_segment_fixed_size: 0
    .sgpr_count:     22
    .sgpr_spill_count: 0
    .symbol:         _ZL28rocblas_dot_batched_4_kernelIiLi64ELi4ELb0EffPKfEviT5_lT_lS2_lS3_liPT4_.kd
    .uniform_work_group_size: 1
    .uses_dynamic_stack: false
    .vgpr_count:     14
    .vgpr_spill_count: 0
    .wavefront_size: 32
    .workgroup_processor_mode: 1
  - .args:
      - .offset:         0
        .size:           4
        .value_kind:     by_value
      - .actual_access:  read_only
        .address_space:  global
        .offset:         8
        .size:           8
        .value_kind:     global_buffer
      - .offset:         16
        .size:           8
        .value_kind:     by_value
      - .offset:         24
        .size:           8
        .value_kind:     by_value
      - .actual_access:  read_only
        .address_space:  global
        .offset:         32
        .size:           8
        .value_kind:     global_buffer
      - .offset:         40
        .size:           8
        .value_kind:     by_value
      - .offset:         48
        .size:           8
        .value_kind:     by_value
      - .offset:         56
        .size:           4
        .value_kind:     by_value
      - .actual_access:  read_only
        .address_space:  global
        .offset:         64
        .size:           8
        .value_kind:     global_buffer
      - .actual_access:  write_only
        .address_space:  global
        .offset:         72
        .size:           8
        .value_kind:     global_buffer
    .group_segment_fixed_size: 128
    .kernarg_segment_align: 8
    .kernarg_segment_size: 80
    .language:       OpenCL C
    .language_version:
      - 2
      - 0
    .max_flat_workgroup_size: 1024
    .name:           _ZL26rocblas_dot_kernel_inc1by2ILb1ELi1024ELi32ELb0EfPKffEviT4_llS2_lliPT5_PT3_
    .private_segment_fixed_size: 0
    .sgpr_count:     26
    .sgpr_spill_count: 0
    .symbol:         _ZL26rocblas_dot_kernel_inc1by2ILb1ELi1024ELi32ELb0EfPKffEviT4_llS2_lliPT5_PT3_.kd
    .uniform_work_group_size: 1
    .uses_dynamic_stack: false
    .vgpr_count:     11
    .vgpr_spill_count: 0
    .wavefront_size: 32
    .workgroup_processor_mode: 1
  - .args:
      - .offset:         0
        .size:           4
        .value_kind:     by_value
      - .actual_access:  read_only
        .address_space:  global
        .offset:         8
        .size:           8
        .value_kind:     global_buffer
      - .offset:         16
        .size:           8
        .value_kind:     by_value
      - .offset:         24
        .size:           4
        .value_kind:     by_value
      - .offset:         32
        .size:           8
        .value_kind:     by_value
      - .actual_access:  read_only
        .address_space:  global
        .offset:         40
        .size:           8
        .value_kind:     global_buffer
      - .offset:         48
        .size:           8
        .value_kind:     by_value
      - .offset:         56
        .size:           4
        .value_kind:     by_value
      - .offset:         64
        .size:           8
        .value_kind:     by_value
      - .offset:         72
        .size:           4
        .value_kind:     by_value
      - .actual_access:  read_only
        .address_space:  global
        .offset:         80
        .size:           8
        .value_kind:     global_buffer
      - .actual_access:  write_only
        .address_space:  global
        .offset:         88
        .size:           8
        .value_kind:     global_buffer
      - .offset:         96
        .size:           4
        .value_kind:     hidden_block_count_x
      - .offset:         100
        .size:           4
        .value_kind:     hidden_block_count_y
      - .offset:         104
        .size:           4
        .value_kind:     hidden_block_count_z
      - .offset:         108
        .size:           2
        .value_kind:     hidden_group_size_x
      - .offset:         110
        .size:           2
        .value_kind:     hidden_group_size_y
      - .offset:         112
        .size:           2
        .value_kind:     hidden_group_size_z
      - .offset:         114
        .size:           2
        .value_kind:     hidden_remainder_x
      - .offset:         116
        .size:           2
        .value_kind:     hidden_remainder_y
      - .offset:         118
        .size:           2
        .value_kind:     hidden_remainder_z
      - .offset:         136
        .size:           8
        .value_kind:     hidden_global_offset_x
      - .offset:         144
        .size:           8
        .value_kind:     hidden_global_offset_y
      - .offset:         152
        .size:           8
        .value_kind:     hidden_global_offset_z
      - .offset:         160
        .size:           2
        .value_kind:     hidden_grid_dims
    .group_segment_fixed_size: 128
    .kernarg_segment_align: 8
    .kernarg_segment_size: 352
    .language:       OpenCL C
    .language_version:
      - 2
      - 0
    .max_flat_workgroup_size: 1024
    .name:           _ZL18rocblas_dot_kernelIiLb1ELi1024ELi32ELb0EfPKffEviT5_lT_lS2_lS3_liPT6_PT4_
    .private_segment_fixed_size: 0
    .sgpr_count:     27
    .sgpr_spill_count: 0
    .symbol:         _ZL18rocblas_dot_kernelIiLb1ELi1024ELi32ELb0EfPKffEviT5_lT_lS2_lS3_liPT6_PT4_.kd
    .uniform_work_group_size: 1
    .uses_dynamic_stack: false
    .vgpr_count:     10
    .vgpr_spill_count: 0
    .wavefront_size: 32
    .workgroup_processor_mode: 1
  - .args:
      - .offset:         0
        .size:           4
        .value_kind:     by_value
      - .actual_access:  read_only
        .address_space:  global
        .offset:         8
        .size:           8
        .value_kind:     global_buffer
      - .offset:         16
        .size:           8
        .value_kind:     by_value
      - .offset:         24
        .size:           4
        .value_kind:     by_value
      - .offset:         32
        .size:           8
        .value_kind:     by_value
      - .offset:         40
        .size:           4
        .value_kind:     by_value
      - .actual_access:  read_only
        .address_space:  global
        .offset:         48
        .size:           8
        .value_kind:     global_buffer
      - .actual_access:  write_only
        .address_space:  global
        .offset:         56
        .size:           8
        .value_kind:     global_buffer
      - .offset:         64
        .size:           4
        .value_kind:     hidden_block_count_x
      - .offset:         68
        .size:           4
        .value_kind:     hidden_block_count_y
      - .offset:         72
        .size:           4
        .value_kind:     hidden_block_count_z
      - .offset:         76
        .size:           2
        .value_kind:     hidden_group_size_x
      - .offset:         78
        .size:           2
        .value_kind:     hidden_group_size_y
      - .offset:         80
        .size:           2
        .value_kind:     hidden_group_size_z
      - .offset:         82
        .size:           2
        .value_kind:     hidden_remainder_x
      - .offset:         84
        .size:           2
        .value_kind:     hidden_remainder_y
      - .offset:         86
        .size:           2
        .value_kind:     hidden_remainder_z
      - .offset:         104
        .size:           8
        .value_kind:     hidden_global_offset_x
      - .offset:         112
        .size:           8
        .value_kind:     hidden_global_offset_y
      - .offset:         120
        .size:           8
        .value_kind:     hidden_global_offset_z
      - .offset:         128
        .size:           2
        .value_kind:     hidden_grid_dims
    .group_segment_fixed_size: 128
    .kernarg_segment_align: 8
    .kernarg_segment_size: 320
    .language:       OpenCL C
    .language_version:
      - 2
      - 0
    .max_flat_workgroup_size: 1024
    .name:           _ZL24rocblas_dot_kernel_magsqIiLb1ELi1024ELi32ELb0EfPKffEviT5_lT_liPT6_PT4_
    .private_segment_fixed_size: 0
    .sgpr_count:     19
    .sgpr_spill_count: 0
    .symbol:         _ZL24rocblas_dot_kernel_magsqIiLb1ELi1024ELi32ELb0EfPKffEviT5_lT_liPT6_PT4_.kd
    .uniform_work_group_size: 1
    .uses_dynamic_stack: false
    .vgpr_count:     10
    .vgpr_spill_count: 0
    .wavefront_size: 32
    .workgroup_processor_mode: 1
  - .args:
      - .offset:         0
        .size:           4
        .value_kind:     by_value
      - .actual_access:  read_only
        .address_space:  global
        .offset:         8
        .size:           8
        .value_kind:     global_buffer
      - .offset:         16
        .size:           8
        .value_kind:     by_value
      - .offset:         24
        .size:           4
        .value_kind:     by_value
      - .offset:         32
        .size:           8
        .value_kind:     by_value
      - .actual_access:  read_only
        .address_space:  global
        .offset:         40
        .size:           8
        .value_kind:     global_buffer
      - .offset:         48
        .size:           8
        .value_kind:     by_value
      - .offset:         56
        .size:           4
        .value_kind:     by_value
      - .offset:         64
        .size:           8
        .value_kind:     by_value
      - .actual_access:  read_only
        .address_space:  global
        .offset:         72
        .size:           8
        .value_kind:     global_buffer
      - .actual_access:  read_only
        .address_space:  global
        .offset:         80
        .size:           8
        .value_kind:     global_buffer
    .group_segment_fixed_size: 0
    .kernarg_segment_align: 8
    .kernarg_segment_size: 88
    .language:       OpenCL C
    .language_version:
      - 2
      - 0
    .max_flat_workgroup_size: 1024
    .name:           _ZL38rocblas_dot_kernel_gfx942_float_doubleIiLi1024EfPKffEviT2_lT_lS2_lS3_lPT3_PT1_
    .private_segment_fixed_size: 0
    .sgpr_count:     0
    .sgpr_spill_count: 0
    .symbol:         _ZL38rocblas_dot_kernel_gfx942_float_doubleIiLi1024EfPKffEviT2_lT_lS2_lS3_lPT3_PT1_.kd
    .uniform_work_group_size: 1
    .uses_dynamic_stack: false
    .vgpr_count:     0
    .vgpr_spill_count: 0
    .wavefront_size: 32
    .workgroup_processor_mode: 1
  - .args:
      - .offset:         0
        .size:           4
        .value_kind:     by_value
      - .actual_access:  read_only
        .address_space:  global
        .offset:         8
        .size:           8
        .value_kind:     global_buffer
      - .offset:         16
        .size:           8
        .value_kind:     by_value
      - .offset:         24
        .size:           8
        .value_kind:     by_value
      - .actual_access:  read_only
        .address_space:  global
        .offset:         32
        .size:           8
        .value_kind:     global_buffer
      - .offset:         40
        .size:           8
        .value_kind:     by_value
      - .offset:         48
        .size:           8
        .value_kind:     by_value
      - .offset:         56
        .size:           4
        .value_kind:     by_value
      - .actual_access:  write_only
        .address_space:  global
        .offset:         64
        .size:           8
        .value_kind:     global_buffer
      - .actual_access:  write_only
        .address_space:  global
        .offset:         72
        .size:           8
        .value_kind:     global_buffer
      - .offset:         80
        .size:           4
        .value_kind:     hidden_block_count_x
      - .offset:         84
        .size:           4
        .value_kind:     hidden_block_count_y
      - .offset:         88
        .size:           4
        .value_kind:     hidden_block_count_z
      - .offset:         92
        .size:           2
        .value_kind:     hidden_group_size_x
      - .offset:         94
        .size:           2
        .value_kind:     hidden_group_size_y
      - .offset:         96
        .size:           2
        .value_kind:     hidden_group_size_z
      - .offset:         98
        .size:           2
        .value_kind:     hidden_remainder_x
      - .offset:         100
        .size:           2
        .value_kind:     hidden_remainder_y
      - .offset:         102
        .size:           2
        .value_kind:     hidden_remainder_z
      - .offset:         120
        .size:           8
        .value_kind:     hidden_global_offset_x
      - .offset:         128
        .size:           8
        .value_kind:     hidden_global_offset_y
      - .offset:         136
        .size:           8
        .value_kind:     hidden_global_offset_z
      - .offset:         144
        .size:           2
        .value_kind:     hidden_grid_dims
    .group_segment_fixed_size: 128
    .kernarg_segment_align: 8
    .kernarg_segment_size: 336
    .language:       OpenCL C
    .language_version:
      - 2
      - 0
    .max_flat_workgroup_size: 512
    .name:           _ZL23rocblas_dot_kernel_inc1ILb0ELi512ELi4ELb0EfPKffEviT4_llS2_lliPT5_PT3_
    .private_segment_fixed_size: 0
    .sgpr_count:     26
    .sgpr_spill_count: 0
    .symbol:         _ZL23rocblas_dot_kernel_inc1ILb0ELi512ELi4ELb0EfPKffEviT4_llS2_lliPT5_PT3_.kd
    .uniform_work_group_size: 1
    .uses_dynamic_stack: false
    .vgpr_count:     9
    .vgpr_spill_count: 0
    .wavefront_size: 32
    .workgroup_processor_mode: 1
  - .args:
      - .offset:         0
        .size:           4
        .value_kind:     by_value
      - .actual_access:  read_only
        .address_space:  global
        .offset:         8
        .size:           8
        .value_kind:     global_buffer
      - .offset:         16
        .size:           8
        .value_kind:     by_value
      - .offset:         24
        .size:           4
        .value_kind:     by_value
      - .offset:         32
        .size:           8
        .value_kind:     by_value
      - .actual_access:  read_only
        .address_space:  global
        .offset:         40
        .size:           8
        .value_kind:     global_buffer
      - .offset:         48
        .size:           8
        .value_kind:     by_value
      - .offset:         56
        .size:           4
        .value_kind:     by_value
      - .offset:         64
        .size:           8
        .value_kind:     by_value
      - .offset:         72
        .size:           4
        .value_kind:     by_value
      - .actual_access:  write_only
        .address_space:  global
        .offset:         80
        .size:           8
        .value_kind:     global_buffer
      - .actual_access:  write_only
        .address_space:  global
        .offset:         88
        .size:           8
        .value_kind:     global_buffer
      - .offset:         96
        .size:           4
        .value_kind:     hidden_block_count_x
      - .offset:         100
        .size:           4
        .value_kind:     hidden_block_count_y
      - .offset:         104
        .size:           4
        .value_kind:     hidden_block_count_z
      - .offset:         108
        .size:           2
        .value_kind:     hidden_group_size_x
      - .offset:         110
        .size:           2
        .value_kind:     hidden_group_size_y
      - .offset:         112
        .size:           2
        .value_kind:     hidden_group_size_z
      - .offset:         114
        .size:           2
        .value_kind:     hidden_remainder_x
      - .offset:         116
        .size:           2
        .value_kind:     hidden_remainder_y
      - .offset:         118
        .size:           2
        .value_kind:     hidden_remainder_z
      - .offset:         136
        .size:           8
        .value_kind:     hidden_global_offset_x
      - .offset:         144
        .size:           8
        .value_kind:     hidden_global_offset_y
      - .offset:         152
        .size:           8
        .value_kind:     hidden_global_offset_z
      - .offset:         160
        .size:           2
        .value_kind:     hidden_grid_dims
    .group_segment_fixed_size: 128
    .kernarg_segment_align: 8
    .kernarg_segment_size: 352
    .language:       OpenCL C
    .language_version:
      - 2
      - 0
    .max_flat_workgroup_size: 512
    .name:           _ZL18rocblas_dot_kernelIiLb0ELi512ELi4ELb0EfPKffEviT5_lT_lS2_lS3_liPT6_PT4_
    .private_segment_fixed_size: 0
    .sgpr_count:     30
    .sgpr_spill_count: 0
    .symbol:         _ZL18rocblas_dot_kernelIiLb0ELi512ELi4ELb0EfPKffEviT5_lT_lS2_lS3_liPT6_PT4_.kd
    .uniform_work_group_size: 1
    .uses_dynamic_stack: false
    .vgpr_count:     10
    .vgpr_spill_count: 0
    .wavefront_size: 32
    .workgroup_processor_mode: 1
  - .args:
      - .offset:         0
        .size:           4
        .value_kind:     by_value
      - .actual_access:  read_only
        .address_space:  global
        .offset:         8
        .size:           8
        .value_kind:     global_buffer
      - .offset:         16
        .size:           8
        .value_kind:     by_value
      - .offset:         24
        .size:           4
        .value_kind:     by_value
      - .offset:         32
        .size:           8
        .value_kind:     by_value
      - .offset:         40
        .size:           4
        .value_kind:     by_value
      - .actual_access:  write_only
        .address_space:  global
        .offset:         48
        .size:           8
        .value_kind:     global_buffer
      - .actual_access:  write_only
        .address_space:  global
        .offset:         56
        .size:           8
        .value_kind:     global_buffer
      - .offset:         64
        .size:           4
        .value_kind:     hidden_block_count_x
      - .offset:         68
        .size:           4
        .value_kind:     hidden_block_count_y
      - .offset:         72
        .size:           4
        .value_kind:     hidden_block_count_z
      - .offset:         76
        .size:           2
        .value_kind:     hidden_group_size_x
      - .offset:         78
        .size:           2
        .value_kind:     hidden_group_size_y
      - .offset:         80
        .size:           2
        .value_kind:     hidden_group_size_z
      - .offset:         82
        .size:           2
        .value_kind:     hidden_remainder_x
      - .offset:         84
        .size:           2
        .value_kind:     hidden_remainder_y
      - .offset:         86
        .size:           2
        .value_kind:     hidden_remainder_z
      - .offset:         104
        .size:           8
        .value_kind:     hidden_global_offset_x
      - .offset:         112
        .size:           8
        .value_kind:     hidden_global_offset_y
      - .offset:         120
        .size:           8
        .value_kind:     hidden_global_offset_z
      - .offset:         128
        .size:           2
        .value_kind:     hidden_grid_dims
    .group_segment_fixed_size: 128
    .kernarg_segment_align: 8
    .kernarg_segment_size: 320
    .language:       OpenCL C
    .language_version:
      - 2
      - 0
    .max_flat_workgroup_size: 512
    .name:           _ZL24rocblas_dot_kernel_magsqIiLb0ELi512ELi4ELb0EfPKffEviT5_lT_liPT6_PT4_
    .private_segment_fixed_size: 0
    .sgpr_count:     24
    .sgpr_spill_count: 0
    .symbol:         _ZL24rocblas_dot_kernel_magsqIiLb0ELi512ELi4ELb0EfPKffEviT5_lT_liPT6_PT4_.kd
    .uniform_work_group_size: 1
    .uses_dynamic_stack: false
    .vgpr_count:     9
    .vgpr_spill_count: 0
    .wavefront_size: 32
    .workgroup_processor_mode: 1
  - .args:
      - .offset:         0
        .size:           4
        .value_kind:     by_value
      - .actual_access:  read_only
        .address_space:  global
        .offset:         8
        .size:           8
        .value_kind:     global_buffer
      - .offset:         16
        .size:           8
        .value_kind:     by_value
      - .offset:         24
        .size:           8
        .value_kind:     by_value
      - .offset:         32
        .size:           8
        .value_kind:     by_value
      - .actual_access:  read_only
        .address_space:  global
        .offset:         40
        .size:           8
        .value_kind:     global_buffer
      - .offset:         48
        .size:           8
        .value_kind:     by_value
      - .offset:         56
        .size:           8
        .value_kind:     by_value
      - .offset:         64
        .size:           8
        .value_kind:     by_value
      - .offset:         72
        .size:           4
        .value_kind:     by_value
      - .actual_access:  write_only
        .address_space:  global
        .offset:         80
        .size:           8
        .value_kind:     global_buffer
    .group_segment_fixed_size: 0
    .kernarg_segment_align: 8
    .kernarg_segment_size: 88
    .language:       OpenCL C
    .language_version:
      - 2
      - 0
    .max_flat_workgroup_size: 128
    .name:           _ZL28rocblas_dot_batched_4_kernelIlLi32ELi4ELb0EffPKfEviT5_lT_lS2_lS3_liPT4_
    .private_segment_fixed_size: 0
    .sgpr_count:     22
    .sgpr_spill_count: 0
    .symbol:         _ZL28rocblas_dot_batched_4_kernelIlLi32ELi4ELb0EffPKfEviT5_lT_lS2_lS3_liPT4_.kd
    .uniform_work_group_size: 1
    .uses_dynamic_stack: false
    .vgpr_count:     17
    .vgpr_spill_count: 0
    .wavefront_size: 32
    .workgroup_processor_mode: 1
  - .args:
      - .offset:         0
        .size:           4
        .value_kind:     by_value
      - .actual_access:  read_only
        .address_space:  global
        .offset:         8
        .size:           8
        .value_kind:     global_buffer
      - .offset:         16
        .size:           8
        .value_kind:     by_value
      - .offset:         24
        .size:           8
        .value_kind:     by_value
      - .offset:         32
        .size:           8
        .value_kind:     by_value
      - .actual_access:  read_only
        .address_space:  global
        .offset:         40
        .size:           8
        .value_kind:     global_buffer
      - .offset:         48
        .size:           8
        .value_kind:     by_value
      - .offset:         56
        .size:           8
        .value_kind:     by_value
      - .offset:         64
        .size:           8
        .value_kind:     by_value
      - .offset:         72
        .size:           4
        .value_kind:     by_value
      - .actual_access:  write_only
        .address_space:  global
        .offset:         80
        .size:           8
        .value_kind:     global_buffer
    .group_segment_fixed_size: 0
    .kernarg_segment_align: 8
    .kernarg_segment_size: 88
    .language:       OpenCL C
    .language_version:
      - 2
      - 0
    .max_flat_workgroup_size: 256
    .name:           _ZL28rocblas_dot_batched_4_kernelIlLi64ELi4ELb0EffPKfEviT5_lT_lS2_lS3_liPT4_
    .private_segment_fixed_size: 0
    .sgpr_count:     22
    .sgpr_spill_count: 0
    .symbol:         _ZL28rocblas_dot_batched_4_kernelIlLi64ELi4ELb0EffPKfEviT5_lT_lS2_lS3_liPT4_.kd
    .uniform_work_group_size: 1
    .uses_dynamic_stack: false
    .vgpr_count:     17
    .vgpr_spill_count: 0
    .wavefront_size: 32
    .workgroup_processor_mode: 1
  - .args:
      - .offset:         0
        .size:           4
        .value_kind:     by_value
      - .actual_access:  read_only
        .address_space:  global
        .offset:         8
        .size:           8
        .value_kind:     global_buffer
      - .offset:         16
        .size:           8
        .value_kind:     by_value
      - .offset:         24
        .size:           8
        .value_kind:     by_value
      - .offset:         32
        .size:           8
        .value_kind:     by_value
      - .actual_access:  read_only
        .address_space:  global
        .offset:         40
        .size:           8
        .value_kind:     global_buffer
      - .offset:         48
        .size:           8
        .value_kind:     by_value
      - .offset:         56
        .size:           8
        .value_kind:     by_value
      - .offset:         64
        .size:           8
        .value_kind:     by_value
      - .offset:         72
        .size:           4
        .value_kind:     by_value
      - .actual_access:  read_only
        .address_space:  global
        .offset:         80
        .size:           8
        .value_kind:     global_buffer
      - .actual_access:  write_only
        .address_space:  global
        .offset:         88
        .size:           8
        .value_kind:     global_buffer
      - .offset:         96
        .size:           4
        .value_kind:     hidden_block_count_x
      - .offset:         100
        .size:           4
        .value_kind:     hidden_block_count_y
      - .offset:         104
        .size:           4
        .value_kind:     hidden_block_count_z
      - .offset:         108
        .size:           2
        .value_kind:     hidden_group_size_x
      - .offset:         110
        .size:           2
        .value_kind:     hidden_group_size_y
      - .offset:         112
        .size:           2
        .value_kind:     hidden_group_size_z
      - .offset:         114
        .size:           2
        .value_kind:     hidden_remainder_x
      - .offset:         116
        .size:           2
        .value_kind:     hidden_remainder_y
      - .offset:         118
        .size:           2
        .value_kind:     hidden_remainder_z
      - .offset:         136
        .size:           8
        .value_kind:     hidden_global_offset_x
      - .offset:         144
        .size:           8
        .value_kind:     hidden_global_offset_y
      - .offset:         152
        .size:           8
        .value_kind:     hidden_global_offset_z
      - .offset:         160
        .size:           2
        .value_kind:     hidden_grid_dims
    .group_segment_fixed_size: 128
    .kernarg_segment_align: 8
    .kernarg_segment_size: 352
    .language:       OpenCL C
    .language_version:
      - 2
      - 0
    .max_flat_workgroup_size: 1024
    .name:           _ZL18rocblas_dot_kernelIlLb1ELi1024ELi32ELb0EfPKffEviT5_lT_lS2_lS3_liPT6_PT4_
    .private_segment_fixed_size: 0
    .sgpr_count:     29
    .sgpr_spill_count: 0
    .symbol:         _ZL18rocblas_dot_kernelIlLb1ELi1024ELi32ELb0EfPKffEviT5_lT_lS2_lS3_liPT6_PT4_.kd
    .uniform_work_group_size: 1
    .uses_dynamic_stack: false
    .vgpr_count:     11
    .vgpr_spill_count: 0
    .wavefront_size: 32
    .workgroup_processor_mode: 1
  - .args:
      - .offset:         0
        .size:           4
        .value_kind:     by_value
      - .actual_access:  read_only
        .address_space:  global
        .offset:         8
        .size:           8
        .value_kind:     global_buffer
      - .offset:         16
        .size:           8
        .value_kind:     by_value
      - .offset:         24
        .size:           8
        .value_kind:     by_value
      - .offset:         32
        .size:           8
        .value_kind:     by_value
      - .offset:         40
        .size:           4
        .value_kind:     by_value
      - .actual_access:  read_only
        .address_space:  global
        .offset:         48
        .size:           8
        .value_kind:     global_buffer
      - .actual_access:  write_only
        .address_space:  global
        .offset:         56
        .size:           8
        .value_kind:     global_buffer
      - .offset:         64
        .size:           4
        .value_kind:     hidden_block_count_x
      - .offset:         68
        .size:           4
        .value_kind:     hidden_block_count_y
      - .offset:         72
        .size:           4
        .value_kind:     hidden_block_count_z
      - .offset:         76
        .size:           2
        .value_kind:     hidden_group_size_x
      - .offset:         78
        .size:           2
        .value_kind:     hidden_group_size_y
      - .offset:         80
        .size:           2
        .value_kind:     hidden_group_size_z
      - .offset:         82
        .size:           2
        .value_kind:     hidden_remainder_x
      - .offset:         84
        .size:           2
        .value_kind:     hidden_remainder_y
      - .offset:         86
        .size:           2
        .value_kind:     hidden_remainder_z
      - .offset:         104
        .size:           8
        .value_kind:     hidden_global_offset_x
      - .offset:         112
        .size:           8
        .value_kind:     hidden_global_offset_y
      - .offset:         120
        .size:           8
        .value_kind:     hidden_global_offset_z
      - .offset:         128
        .size:           2
        .value_kind:     hidden_grid_dims
    .group_segment_fixed_size: 128
    .kernarg_segment_align: 8
    .kernarg_segment_size: 320
    .language:       OpenCL C
    .language_version:
      - 2
      - 0
    .max_flat_workgroup_size: 1024
    .name:           _ZL24rocblas_dot_kernel_magsqIlLb1ELi1024ELi32ELb0EfPKffEviT5_lT_liPT6_PT4_
    .private_segment_fixed_size: 0
    .sgpr_count:     19
    .sgpr_spill_count: 0
    .symbol:         _ZL24rocblas_dot_kernel_magsqIlLb1ELi1024ELi32ELb0EfPKffEviT5_lT_liPT6_PT4_.kd
    .uniform_work_group_size: 1
    .uses_dynamic_stack: false
    .vgpr_count:     10
    .vgpr_spill_count: 0
    .wavefront_size: 32
    .workgroup_processor_mode: 1
  - .args:
      - .offset:         0
        .size:           4
        .value_kind:     by_value
      - .actual_access:  read_only
        .address_space:  global
        .offset:         8
        .size:           8
        .value_kind:     global_buffer
      - .offset:         16
        .size:           8
        .value_kind:     by_value
      - .offset:         24
        .size:           8
        .value_kind:     by_value
      - .offset:         32
        .size:           8
        .value_kind:     by_value
      - .actual_access:  read_only
        .address_space:  global
        .offset:         40
        .size:           8
        .value_kind:     global_buffer
      - .offset:         48
        .size:           8
        .value_kind:     by_value
      - .offset:         56
        .size:           8
        .value_kind:     by_value
      - .offset:         64
        .size:           8
        .value_kind:     by_value
      - .actual_access:  read_only
        .address_space:  global
        .offset:         72
        .size:           8
        .value_kind:     global_buffer
      - .actual_access:  read_only
        .address_space:  global
        .offset:         80
        .size:           8
        .value_kind:     global_buffer
    .group_segment_fixed_size: 0
    .kernarg_segment_align: 8
    .kernarg_segment_size: 88
    .language:       OpenCL C
    .language_version:
      - 2
      - 0
    .max_flat_workgroup_size: 1024
    .name:           _ZL38rocblas_dot_kernel_gfx942_float_doubleIlLi1024EfPKffEviT2_lT_lS2_lS3_lPT3_PT1_
    .private_segment_fixed_size: 0
    .sgpr_count:     0
    .sgpr_spill_count: 0
    .symbol:         _ZL38rocblas_dot_kernel_gfx942_float_doubleIlLi1024EfPKffEviT2_lT_lS2_lS3_lPT3_PT1_.kd
    .uniform_work_group_size: 1
    .uses_dynamic_stack: false
    .vgpr_count:     0
    .vgpr_spill_count: 0
    .wavefront_size: 32
    .workgroup_processor_mode: 1
  - .args:
      - .offset:         0
        .size:           4
        .value_kind:     by_value
      - .actual_access:  read_only
        .address_space:  global
        .offset:         8
        .size:           8
        .value_kind:     global_buffer
      - .offset:         16
        .size:           8
        .value_kind:     by_value
      - .offset:         24
        .size:           8
        .value_kind:     by_value
      - .offset:         32
        .size:           8
        .value_kind:     by_value
      - .actual_access:  read_only
        .address_space:  global
        .offset:         40
        .size:           8
        .value_kind:     global_buffer
      - .offset:         48
        .size:           8
        .value_kind:     by_value
      - .offset:         56
        .size:           8
        .value_kind:     by_value
      - .offset:         64
        .size:           8
        .value_kind:     by_value
      - .offset:         72
        .size:           4
        .value_kind:     by_value
      - .actual_access:  write_only
        .address_space:  global
        .offset:         80
        .size:           8
        .value_kind:     global_buffer
      - .actual_access:  write_only
        .address_space:  global
        .offset:         88
        .size:           8
        .value_kind:     global_buffer
      - .offset:         96
        .size:           4
        .value_kind:     hidden_block_count_x
      - .offset:         100
        .size:           4
        .value_kind:     hidden_block_count_y
      - .offset:         104
        .size:           4
        .value_kind:     hidden_block_count_z
      - .offset:         108
        .size:           2
        .value_kind:     hidden_group_size_x
      - .offset:         110
        .size:           2
        .value_kind:     hidden_group_size_y
      - .offset:         112
        .size:           2
        .value_kind:     hidden_group_size_z
      - .offset:         114
        .size:           2
        .value_kind:     hidden_remainder_x
      - .offset:         116
        .size:           2
        .value_kind:     hidden_remainder_y
      - .offset:         118
        .size:           2
        .value_kind:     hidden_remainder_z
      - .offset:         136
        .size:           8
        .value_kind:     hidden_global_offset_x
      - .offset:         144
        .size:           8
        .value_kind:     hidden_global_offset_y
      - .offset:         152
        .size:           8
        .value_kind:     hidden_global_offset_z
      - .offset:         160
        .size:           2
        .value_kind:     hidden_grid_dims
    .group_segment_fixed_size: 128
    .kernarg_segment_align: 8
    .kernarg_segment_size: 352
    .language:       OpenCL C
    .language_version:
      - 2
      - 0
    .max_flat_workgroup_size: 512
    .name:           _ZL18rocblas_dot_kernelIlLb0ELi512ELi4ELb0EfPKffEviT5_lT_lS2_lS3_liPT6_PT4_
    .private_segment_fixed_size: 0
    .sgpr_count:     30
    .sgpr_spill_count: 0
    .symbol:         _ZL18rocblas_dot_kernelIlLb0ELi512ELi4ELb0EfPKffEviT5_lT_lS2_lS3_liPT6_PT4_.kd
    .uniform_work_group_size: 1
    .uses_dynamic_stack: false
    .vgpr_count:     11
    .vgpr_spill_count: 0
    .wavefront_size: 32
    .workgroup_processor_mode: 1
  - .args:
      - .offset:         0
        .size:           4
        .value_kind:     by_value
      - .actual_access:  read_only
        .address_space:  global
        .offset:         8
        .size:           8
        .value_kind:     global_buffer
      - .offset:         16
        .size:           8
        .value_kind:     by_value
      - .offset:         24
        .size:           8
        .value_kind:     by_value
      - .offset:         32
        .size:           8
        .value_kind:     by_value
      - .offset:         40
        .size:           4
        .value_kind:     by_value
      - .actual_access:  write_only
        .address_space:  global
        .offset:         48
        .size:           8
        .value_kind:     global_buffer
      - .actual_access:  write_only
        .address_space:  global
        .offset:         56
        .size:           8
        .value_kind:     global_buffer
      - .offset:         64
        .size:           4
        .value_kind:     hidden_block_count_x
      - .offset:         68
        .size:           4
        .value_kind:     hidden_block_count_y
      - .offset:         72
        .size:           4
        .value_kind:     hidden_block_count_z
      - .offset:         76
        .size:           2
        .value_kind:     hidden_group_size_x
      - .offset:         78
        .size:           2
        .value_kind:     hidden_group_size_y
      - .offset:         80
        .size:           2
        .value_kind:     hidden_group_size_z
      - .offset:         82
        .size:           2
        .value_kind:     hidden_remainder_x
      - .offset:         84
        .size:           2
        .value_kind:     hidden_remainder_y
      - .offset:         86
        .size:           2
        .value_kind:     hidden_remainder_z
      - .offset:         104
        .size:           8
        .value_kind:     hidden_global_offset_x
      - .offset:         112
        .size:           8
        .value_kind:     hidden_global_offset_y
      - .offset:         120
        .size:           8
        .value_kind:     hidden_global_offset_z
      - .offset:         128
        .size:           2
        .value_kind:     hidden_grid_dims
    .group_segment_fixed_size: 128
    .kernarg_segment_align: 8
    .kernarg_segment_size: 320
    .language:       OpenCL C
    .language_version:
      - 2
      - 0
    .max_flat_workgroup_size: 512
    .name:           _ZL24rocblas_dot_kernel_magsqIlLb0ELi512ELi4ELb0EfPKffEviT5_lT_liPT6_PT4_
    .private_segment_fixed_size: 0
    .sgpr_count:     24
    .sgpr_spill_count: 0
    .symbol:         _ZL24rocblas_dot_kernel_magsqIlLb0ELi512ELi4ELb0EfPKffEviT5_lT_liPT6_PT4_.kd
    .uniform_work_group_size: 1
    .uses_dynamic_stack: false
    .vgpr_count:     9
    .vgpr_spill_count: 0
    .wavefront_size: 32
    .workgroup_processor_mode: 1
  - .args:
      - .offset:         0
        .size:           4
        .value_kind:     by_value
      - .actual_access:  read_only
        .address_space:  global
        .offset:         8
        .size:           8
        .value_kind:     global_buffer
      - .offset:         16
        .size:           8
        .value_kind:     by_value
      - .offset:         24
        .size:           4
        .value_kind:     by_value
      - .offset:         32
        .size:           8
        .value_kind:     by_value
      - .actual_access:  read_only
        .address_space:  global
        .offset:         40
        .size:           8
        .value_kind:     global_buffer
      - .offset:         48
        .size:           8
        .value_kind:     by_value
      - .offset:         56
        .size:           4
        .value_kind:     by_value
      - .offset:         64
        .size:           8
        .value_kind:     by_value
      - .offset:         72
        .size:           4
        .value_kind:     by_value
      - .actual_access:  write_only
        .address_space:  global
        .offset:         80
        .size:           8
        .value_kind:     global_buffer
    .group_segment_fixed_size: 0
    .kernarg_segment_align: 8
    .kernarg_segment_size: 88
    .language:       OpenCL C
    .language_version:
      - 2
      - 0
    .max_flat_workgroup_size: 128
    .name:           _ZL28rocblas_dot_batched_4_kernelIiLi32ELi4ELb0EddPKdEviT5_lT_lS2_lS3_liPT4_
    .private_segment_fixed_size: 0
    .sgpr_count:     22
    .sgpr_spill_count: 0
    .symbol:         _ZL28rocblas_dot_batched_4_kernelIiLi32ELi4ELb0EddPKdEviT5_lT_lS2_lS3_liPT4_.kd
    .uniform_work_group_size: 1
    .uses_dynamic_stack: false
    .vgpr_count:     15
    .vgpr_spill_count: 0
    .wavefront_size: 32
    .workgroup_processor_mode: 1
  - .args:
      - .offset:         0
        .size:           4
        .value_kind:     by_value
      - .actual_access:  read_only
        .address_space:  global
        .offset:         8
        .size:           8
        .value_kind:     global_buffer
      - .offset:         16
        .size:           8
        .value_kind:     by_value
      - .offset:         24
        .size:           4
        .value_kind:     by_value
      - .offset:         32
        .size:           8
        .value_kind:     by_value
      - .actual_access:  read_only
        .address_space:  global
        .offset:         40
        .size:           8
        .value_kind:     global_buffer
      - .offset:         48
        .size:           8
        .value_kind:     by_value
      - .offset:         56
        .size:           4
        .value_kind:     by_value
      - .offset:         64
        .size:           8
        .value_kind:     by_value
      - .offset:         72
        .size:           4
        .value_kind:     by_value
      - .actual_access:  write_only
        .address_space:  global
        .offset:         80
        .size:           8
        .value_kind:     global_buffer
    .group_segment_fixed_size: 0
    .kernarg_segment_align: 8
    .kernarg_segment_size: 88
    .language:       OpenCL C
    .language_version:
      - 2
      - 0
    .max_flat_workgroup_size: 256
    .name:           _ZL28rocblas_dot_batched_4_kernelIiLi64ELi4ELb0EddPKdEviT5_lT_lS2_lS3_liPT4_
    .private_segment_fixed_size: 0
    .sgpr_count:     22
    .sgpr_spill_count: 0
    .symbol:         _ZL28rocblas_dot_batched_4_kernelIiLi64ELi4ELb0EddPKdEviT5_lT_lS2_lS3_liPT4_.kd
    .uniform_work_group_size: 1
    .uses_dynamic_stack: false
    .vgpr_count:     15
    .vgpr_spill_count: 0
    .wavefront_size: 32
    .workgroup_processor_mode: 1
  - .args:
      - .offset:         0
        .size:           4
        .value_kind:     by_value
      - .actual_access:  read_only
        .address_space:  global
        .offset:         8
        .size:           8
        .value_kind:     global_buffer
      - .offset:         16
        .size:           8
        .value_kind:     by_value
      - .offset:         24
        .size:           8
        .value_kind:     by_value
      - .actual_access:  read_only
        .address_space:  global
        .offset:         32
        .size:           8
        .value_kind:     global_buffer
      - .offset:         40
        .size:           8
        .value_kind:     by_value
      - .offset:         48
        .size:           8
        .value_kind:     by_value
      - .offset:         56
        .size:           4
        .value_kind:     by_value
      - .actual_access:  read_only
        .address_space:  global
        .offset:         64
        .size:           8
        .value_kind:     global_buffer
      - .actual_access:  write_only
        .address_space:  global
        .offset:         72
        .size:           8
        .value_kind:     global_buffer
    .group_segment_fixed_size: 256
    .kernarg_segment_align: 8
    .kernarg_segment_size: 80
    .language:       OpenCL C
    .language_version:
      - 2
      - 0
    .max_flat_workgroup_size: 1024
    .name:           _ZL26rocblas_dot_kernel_inc1by2ILb1ELi1024ELi32ELb0EdPKddEviT4_llS2_lliPT5_PT3_
    .private_segment_fixed_size: 0
    .sgpr_count:     21
    .sgpr_spill_count: 0
    .symbol:         _ZL26rocblas_dot_kernel_inc1by2ILb1ELi1024ELi32ELb0EdPKddEviT4_llS2_lliPT5_PT3_.kd
    .uniform_work_group_size: 1
    .uses_dynamic_stack: false
    .vgpr_count:     12
    .vgpr_spill_count: 0
    .wavefront_size: 32
    .workgroup_processor_mode: 1
  - .args:
      - .offset:         0
        .size:           4
        .value_kind:     by_value
      - .actual_access:  read_only
        .address_space:  global
        .offset:         8
        .size:           8
        .value_kind:     global_buffer
      - .offset:         16
        .size:           8
        .value_kind:     by_value
      - .offset:         24
        .size:           4
        .value_kind:     by_value
      - .offset:         32
        .size:           8
        .value_kind:     by_value
      - .actual_access:  read_only
        .address_space:  global
        .offset:         40
        .size:           8
        .value_kind:     global_buffer
      - .offset:         48
        .size:           8
        .value_kind:     by_value
      - .offset:         56
        .size:           4
        .value_kind:     by_value
      - .offset:         64
        .size:           8
        .value_kind:     by_value
      - .offset:         72
        .size:           4
        .value_kind:     by_value
      - .actual_access:  read_only
        .address_space:  global
        .offset:         80
        .size:           8
        .value_kind:     global_buffer
      - .actual_access:  write_only
        .address_space:  global
        .offset:         88
        .size:           8
        .value_kind:     global_buffer
      - .offset:         96
        .size:           4
        .value_kind:     hidden_block_count_x
      - .offset:         100
        .size:           4
        .value_kind:     hidden_block_count_y
      - .offset:         104
        .size:           4
        .value_kind:     hidden_block_count_z
      - .offset:         108
        .size:           2
        .value_kind:     hidden_group_size_x
      - .offset:         110
        .size:           2
        .value_kind:     hidden_group_size_y
      - .offset:         112
        .size:           2
        .value_kind:     hidden_group_size_z
      - .offset:         114
        .size:           2
        .value_kind:     hidden_remainder_x
      - .offset:         116
        .size:           2
        .value_kind:     hidden_remainder_y
      - .offset:         118
        .size:           2
        .value_kind:     hidden_remainder_z
      - .offset:         136
        .size:           8
        .value_kind:     hidden_global_offset_x
      - .offset:         144
        .size:           8
        .value_kind:     hidden_global_offset_y
      - .offset:         152
        .size:           8
        .value_kind:     hidden_global_offset_z
      - .offset:         160
        .size:           2
        .value_kind:     hidden_grid_dims
    .group_segment_fixed_size: 256
    .kernarg_segment_align: 8
    .kernarg_segment_size: 352
    .language:       OpenCL C
    .language_version:
      - 2
      - 0
    .max_flat_workgroup_size: 1024
    .name:           _ZL18rocblas_dot_kernelIiLb1ELi1024ELi32ELb0EdPKddEviT5_lT_lS2_lS3_liPT6_PT4_
    .private_segment_fixed_size: 0
    .sgpr_count:     27
    .sgpr_spill_count: 0
    .symbol:         _ZL18rocblas_dot_kernelIiLb1ELi1024ELi32ELb0EdPKddEviT5_lT_lS2_lS3_liPT6_PT4_.kd
    .uniform_work_group_size: 1
    .uses_dynamic_stack: false
    .vgpr_count:     12
    .vgpr_spill_count: 0
    .wavefront_size: 32
    .workgroup_processor_mode: 1
  - .args:
      - .offset:         0
        .size:           4
        .value_kind:     by_value
      - .actual_access:  read_only
        .address_space:  global
        .offset:         8
        .size:           8
        .value_kind:     global_buffer
      - .offset:         16
        .size:           8
        .value_kind:     by_value
      - .offset:         24
        .size:           4
        .value_kind:     by_value
      - .offset:         32
        .size:           8
        .value_kind:     by_value
      - .offset:         40
        .size:           4
        .value_kind:     by_value
      - .actual_access:  read_only
        .address_space:  global
        .offset:         48
        .size:           8
        .value_kind:     global_buffer
      - .actual_access:  write_only
        .address_space:  global
        .offset:         56
        .size:           8
        .value_kind:     global_buffer
      - .offset:         64
        .size:           4
        .value_kind:     hidden_block_count_x
      - .offset:         68
        .size:           4
        .value_kind:     hidden_block_count_y
      - .offset:         72
        .size:           4
        .value_kind:     hidden_block_count_z
      - .offset:         76
        .size:           2
        .value_kind:     hidden_group_size_x
      - .offset:         78
        .size:           2
        .value_kind:     hidden_group_size_y
      - .offset:         80
        .size:           2
        .value_kind:     hidden_group_size_z
      - .offset:         82
        .size:           2
        .value_kind:     hidden_remainder_x
      - .offset:         84
        .size:           2
        .value_kind:     hidden_remainder_y
      - .offset:         86
        .size:           2
        .value_kind:     hidden_remainder_z
      - .offset:         104
        .size:           8
        .value_kind:     hidden_global_offset_x
      - .offset:         112
        .size:           8
        .value_kind:     hidden_global_offset_y
      - .offset:         120
        .size:           8
        .value_kind:     hidden_global_offset_z
      - .offset:         128
        .size:           2
        .value_kind:     hidden_grid_dims
    .group_segment_fixed_size: 256
    .kernarg_segment_align: 8
    .kernarg_segment_size: 320
    .language:       OpenCL C
    .language_version:
      - 2
      - 0
    .max_flat_workgroup_size: 1024
    .name:           _ZL24rocblas_dot_kernel_magsqIiLb1ELi1024ELi32ELb0EdPKddEviT5_lT_liPT6_PT4_
    .private_segment_fixed_size: 0
    .sgpr_count:     19
    .sgpr_spill_count: 0
    .symbol:         _ZL24rocblas_dot_kernel_magsqIiLb1ELi1024ELi32ELb0EdPKddEviT5_lT_liPT6_PT4_.kd
    .uniform_work_group_size: 1
    .uses_dynamic_stack: false
    .vgpr_count:     12
    .vgpr_spill_count: 0
    .wavefront_size: 32
    .workgroup_processor_mode: 1
  - .args:
      - .offset:         0
        .size:           4
        .value_kind:     by_value
      - .actual_access:  read_only
        .address_space:  global
        .offset:         8
        .size:           8
        .value_kind:     global_buffer
      - .offset:         16
        .size:           8
        .value_kind:     by_value
      - .offset:         24
        .size:           4
        .value_kind:     by_value
      - .offset:         32
        .size:           8
        .value_kind:     by_value
      - .actual_access:  read_only
        .address_space:  global
        .offset:         40
        .size:           8
        .value_kind:     global_buffer
      - .offset:         48
        .size:           8
        .value_kind:     by_value
      - .offset:         56
        .size:           4
        .value_kind:     by_value
      - .offset:         64
        .size:           8
        .value_kind:     by_value
      - .actual_access:  read_only
        .address_space:  global
        .offset:         72
        .size:           8
        .value_kind:     global_buffer
      - .actual_access:  read_only
        .address_space:  global
        .offset:         80
        .size:           8
        .value_kind:     global_buffer
    .group_segment_fixed_size: 0
    .kernarg_segment_align: 8
    .kernarg_segment_size: 88
    .language:       OpenCL C
    .language_version:
      - 2
      - 0
    .max_flat_workgroup_size: 1024
    .name:           _ZL38rocblas_dot_kernel_gfx942_float_doubleIiLi1024EdPKddEviT2_lT_lS2_lS3_lPT3_PT1_
    .private_segment_fixed_size: 0
    .sgpr_count:     0
    .sgpr_spill_count: 0
    .symbol:         _ZL38rocblas_dot_kernel_gfx942_float_doubleIiLi1024EdPKddEviT2_lT_lS2_lS3_lPT3_PT1_.kd
    .uniform_work_group_size: 1
    .uses_dynamic_stack: false
    .vgpr_count:     0
    .vgpr_spill_count: 0
    .wavefront_size: 32
    .workgroup_processor_mode: 1
  - .args:
      - .offset:         0
        .size:           4
        .value_kind:     by_value
      - .actual_access:  read_only
        .address_space:  global
        .offset:         8
        .size:           8
        .value_kind:     global_buffer
      - .actual_access:  write_only
        .address_space:  global
        .offset:         16
        .size:           8
        .value_kind:     global_buffer
    .group_segment_fixed_size: 256
    .kernarg_segment_align: 8
    .kernarg_segment_size: 24
    .language:       OpenCL C
    .language_version:
      - 2
      - 0
    .max_flat_workgroup_size: 1024
    .name:           _ZL30rocblas_reduction_kernel_part2ILi1024ELi4E25rocblas_finalize_identityddEviPT2_PT3_
    .private_segment_fixed_size: 0
    .sgpr_count:     18
    .sgpr_spill_count: 0
    .symbol:         _ZL30rocblas_reduction_kernel_part2ILi1024ELi4E25rocblas_finalize_identityddEviPT2_PT3_.kd
    .uniform_work_group_size: 1
    .uses_dynamic_stack: false
    .vgpr_count:     14
    .vgpr_spill_count: 0
    .wavefront_size: 32
    .workgroup_processor_mode: 1
  - .args:
      - .offset:         0
        .size:           4
        .value_kind:     by_value
      - .actual_access:  read_only
        .address_space:  global
        .offset:         8
        .size:           8
        .value_kind:     global_buffer
      - .offset:         16
        .size:           8
        .value_kind:     by_value
      - .offset:         24
        .size:           8
        .value_kind:     by_value
      - .actual_access:  read_only
        .address_space:  global
        .offset:         32
        .size:           8
        .value_kind:     global_buffer
      - .offset:         40
        .size:           8
        .value_kind:     by_value
      - .offset:         48
        .size:           8
        .value_kind:     by_value
      - .offset:         56
        .size:           4
        .value_kind:     by_value
      - .actual_access:  write_only
        .address_space:  global
        .offset:         64
        .size:           8
        .value_kind:     global_buffer
      - .actual_access:  write_only
        .address_space:  global
        .offset:         72
        .size:           8
        .value_kind:     global_buffer
      - .offset:         80
        .size:           4
        .value_kind:     hidden_block_count_x
      - .offset:         84
        .size:           4
        .value_kind:     hidden_block_count_y
      - .offset:         88
        .size:           4
        .value_kind:     hidden_block_count_z
      - .offset:         92
        .size:           2
        .value_kind:     hidden_group_size_x
      - .offset:         94
        .size:           2
        .value_kind:     hidden_group_size_y
      - .offset:         96
        .size:           2
        .value_kind:     hidden_group_size_z
      - .offset:         98
        .size:           2
        .value_kind:     hidden_remainder_x
      - .offset:         100
        .size:           2
        .value_kind:     hidden_remainder_y
      - .offset:         102
        .size:           2
        .value_kind:     hidden_remainder_z
      - .offset:         120
        .size:           8
        .value_kind:     hidden_global_offset_x
      - .offset:         128
        .size:           8
        .value_kind:     hidden_global_offset_y
      - .offset:         136
        .size:           8
        .value_kind:     hidden_global_offset_z
      - .offset:         144
        .size:           2
        .value_kind:     hidden_grid_dims
    .group_segment_fixed_size: 256
    .kernarg_segment_align: 8
    .kernarg_segment_size: 336
    .language:       OpenCL C
    .language_version:
      - 2
      - 0
    .max_flat_workgroup_size: 512
    .name:           _ZL23rocblas_dot_kernel_inc1ILb0ELi512ELi2ELb0EdPKddEviT4_llS2_lliPT5_PT3_
    .private_segment_fixed_size: 0
    .sgpr_count:     24
    .sgpr_spill_count: 0
    .symbol:         _ZL23rocblas_dot_kernel_inc1ILb0ELi512ELi2ELb0EdPKddEviT4_llS2_lliPT5_PT3_.kd
    .uniform_work_group_size: 1
    .uses_dynamic_stack: false
    .vgpr_count:     11
    .vgpr_spill_count: 0
    .wavefront_size: 32
    .workgroup_processor_mode: 1
  - .args:
      - .offset:         0
        .size:           4
        .value_kind:     by_value
      - .actual_access:  read_only
        .address_space:  global
        .offset:         8
        .size:           8
        .value_kind:     global_buffer
      - .offset:         16
        .size:           8
        .value_kind:     by_value
      - .offset:         24
        .size:           4
        .value_kind:     by_value
      - .offset:         32
        .size:           8
        .value_kind:     by_value
      - .actual_access:  read_only
        .address_space:  global
        .offset:         40
        .size:           8
        .value_kind:     global_buffer
      - .offset:         48
        .size:           8
        .value_kind:     by_value
      - .offset:         56
        .size:           4
        .value_kind:     by_value
      - .offset:         64
        .size:           8
        .value_kind:     by_value
      - .offset:         72
        .size:           4
        .value_kind:     by_value
      - .actual_access:  write_only
        .address_space:  global
        .offset:         80
        .size:           8
        .value_kind:     global_buffer
      - .actual_access:  write_only
        .address_space:  global
        .offset:         88
        .size:           8
        .value_kind:     global_buffer
      - .offset:         96
        .size:           4
        .value_kind:     hidden_block_count_x
      - .offset:         100
        .size:           4
        .value_kind:     hidden_block_count_y
      - .offset:         104
        .size:           4
        .value_kind:     hidden_block_count_z
      - .offset:         108
        .size:           2
        .value_kind:     hidden_group_size_x
      - .offset:         110
        .size:           2
        .value_kind:     hidden_group_size_y
      - .offset:         112
        .size:           2
        .value_kind:     hidden_group_size_z
      - .offset:         114
        .size:           2
        .value_kind:     hidden_remainder_x
      - .offset:         116
        .size:           2
        .value_kind:     hidden_remainder_y
      - .offset:         118
        .size:           2
        .value_kind:     hidden_remainder_z
      - .offset:         136
        .size:           8
        .value_kind:     hidden_global_offset_x
      - .offset:         144
        .size:           8
        .value_kind:     hidden_global_offset_y
      - .offset:         152
        .size:           8
        .value_kind:     hidden_global_offset_z
      - .offset:         160
        .size:           2
        .value_kind:     hidden_grid_dims
    .group_segment_fixed_size: 256
    .kernarg_segment_align: 8
    .kernarg_segment_size: 352
    .language:       OpenCL C
    .language_version:
      - 2
      - 0
    .max_flat_workgroup_size: 512
    .name:           _ZL18rocblas_dot_kernelIiLb0ELi512ELi2ELb0EdPKddEviT5_lT_lS2_lS3_liPT6_PT4_
    .private_segment_fixed_size: 0
    .sgpr_count:     26
    .sgpr_spill_count: 0
    .symbol:         _ZL18rocblas_dot_kernelIiLb0ELi512ELi2ELb0EdPKddEviT5_lT_lS2_lS3_liPT6_PT4_.kd
    .uniform_work_group_size: 1
    .uses_dynamic_stack: false
    .vgpr_count:     11
    .vgpr_spill_count: 0
    .wavefront_size: 32
    .workgroup_processor_mode: 1
  - .args:
      - .offset:         0
        .size:           4
        .value_kind:     by_value
      - .actual_access:  read_only
        .address_space:  global
        .offset:         8
        .size:           8
        .value_kind:     global_buffer
      - .offset:         16
        .size:           8
        .value_kind:     by_value
      - .offset:         24
        .size:           4
        .value_kind:     by_value
      - .offset:         32
        .size:           8
        .value_kind:     by_value
      - .offset:         40
        .size:           4
        .value_kind:     by_value
      - .actual_access:  write_only
        .address_space:  global
        .offset:         48
        .size:           8
        .value_kind:     global_buffer
      - .actual_access:  write_only
        .address_space:  global
        .offset:         56
        .size:           8
        .value_kind:     global_buffer
      - .offset:         64
        .size:           4
        .value_kind:     hidden_block_count_x
      - .offset:         68
        .size:           4
        .value_kind:     hidden_block_count_y
      - .offset:         72
        .size:           4
        .value_kind:     hidden_block_count_z
      - .offset:         76
        .size:           2
        .value_kind:     hidden_group_size_x
      - .offset:         78
        .size:           2
        .value_kind:     hidden_group_size_y
      - .offset:         80
        .size:           2
        .value_kind:     hidden_group_size_z
      - .offset:         82
        .size:           2
        .value_kind:     hidden_remainder_x
      - .offset:         84
        .size:           2
        .value_kind:     hidden_remainder_y
      - .offset:         86
        .size:           2
        .value_kind:     hidden_remainder_z
      - .offset:         104
        .size:           8
        .value_kind:     hidden_global_offset_x
      - .offset:         112
        .size:           8
        .value_kind:     hidden_global_offset_y
      - .offset:         120
        .size:           8
        .value_kind:     hidden_global_offset_z
      - .offset:         128
        .size:           2
        .value_kind:     hidden_grid_dims
    .group_segment_fixed_size: 256
    .kernarg_segment_align: 8
    .kernarg_segment_size: 320
    .language:       OpenCL C
    .language_version:
      - 2
      - 0
    .max_flat_workgroup_size: 512
    .name:           _ZL24rocblas_dot_kernel_magsqIiLb0ELi512ELi2ELb0EdPKddEviT5_lT_liPT6_PT4_
    .private_segment_fixed_size: 0
    .sgpr_count:     18
    .sgpr_spill_count: 0
    .symbol:         _ZL24rocblas_dot_kernel_magsqIiLb0ELi512ELi2ELb0EdPKddEviT5_lT_liPT6_PT4_.kd
    .uniform_work_group_size: 1
    .uses_dynamic_stack: false
    .vgpr_count:     11
    .vgpr_spill_count: 0
    .wavefront_size: 32
    .workgroup_processor_mode: 1
  - .args:
      - .offset:         0
        .size:           4
        .value_kind:     by_value
      - .actual_access:  read_only
        .address_space:  global
        .offset:         8
        .size:           8
        .value_kind:     global_buffer
      - .offset:         16
        .size:           8
        .value_kind:     by_value
      - .offset:         24
        .size:           8
        .value_kind:     by_value
      - .offset:         32
        .size:           8
        .value_kind:     by_value
      - .actual_access:  read_only
        .address_space:  global
        .offset:         40
        .size:           8
        .value_kind:     global_buffer
      - .offset:         48
        .size:           8
        .value_kind:     by_value
      - .offset:         56
        .size:           8
        .value_kind:     by_value
      - .offset:         64
        .size:           8
        .value_kind:     by_value
      - .offset:         72
        .size:           4
        .value_kind:     by_value
      - .actual_access:  write_only
        .address_space:  global
        .offset:         80
        .size:           8
        .value_kind:     global_buffer
    .group_segment_fixed_size: 0
    .kernarg_segment_align: 8
    .kernarg_segment_size: 88
    .language:       OpenCL C
    .language_version:
      - 2
      - 0
    .max_flat_workgroup_size: 128
    .name:           _ZL28rocblas_dot_batched_4_kernelIlLi32ELi4ELb0EddPKdEviT5_lT_lS2_lS3_liPT4_
    .private_segment_fixed_size: 0
    .sgpr_count:     22
    .sgpr_spill_count: 0
    .symbol:         _ZL28rocblas_dot_batched_4_kernelIlLi32ELi4ELb0EddPKdEviT5_lT_lS2_lS3_liPT4_.kd
    .uniform_work_group_size: 1
    .uses_dynamic_stack: false
    .vgpr_count:     18
    .vgpr_spill_count: 0
    .wavefront_size: 32
    .workgroup_processor_mode: 1
  - .args:
      - .offset:         0
        .size:           4
        .value_kind:     by_value
      - .actual_access:  read_only
        .address_space:  global
        .offset:         8
        .size:           8
        .value_kind:     global_buffer
      - .offset:         16
        .size:           8
        .value_kind:     by_value
      - .offset:         24
        .size:           8
        .value_kind:     by_value
      - .offset:         32
        .size:           8
        .value_kind:     by_value
      - .actual_access:  read_only
        .address_space:  global
        .offset:         40
        .size:           8
        .value_kind:     global_buffer
      - .offset:         48
        .size:           8
        .value_kind:     by_value
      - .offset:         56
        .size:           8
        .value_kind:     by_value
      - .offset:         64
        .size:           8
        .value_kind:     by_value
      - .offset:         72
        .size:           4
        .value_kind:     by_value
      - .actual_access:  write_only
        .address_space:  global
        .offset:         80
        .size:           8
        .value_kind:     global_buffer
    .group_segment_fixed_size: 0
    .kernarg_segment_align: 8
    .kernarg_segment_size: 88
    .language:       OpenCL C
    .language_version:
      - 2
      - 0
    .max_flat_workgroup_size: 256
    .name:           _ZL28rocblas_dot_batched_4_kernelIlLi64ELi4ELb0EddPKdEviT5_lT_lS2_lS3_liPT4_
    .private_segment_fixed_size: 0
    .sgpr_count:     22
    .sgpr_spill_count: 0
    .symbol:         _ZL28rocblas_dot_batched_4_kernelIlLi64ELi4ELb0EddPKdEviT5_lT_lS2_lS3_liPT4_.kd
    .uniform_work_group_size: 1
    .uses_dynamic_stack: false
    .vgpr_count:     18
    .vgpr_spill_count: 0
    .wavefront_size: 32
    .workgroup_processor_mode: 1
  - .args:
      - .offset:         0
        .size:           4
        .value_kind:     by_value
      - .actual_access:  read_only
        .address_space:  global
        .offset:         8
        .size:           8
        .value_kind:     global_buffer
      - .offset:         16
        .size:           8
        .value_kind:     by_value
      - .offset:         24
        .size:           8
        .value_kind:     by_value
      - .offset:         32
        .size:           8
        .value_kind:     by_value
      - .actual_access:  read_only
        .address_space:  global
        .offset:         40
        .size:           8
        .value_kind:     global_buffer
      - .offset:         48
        .size:           8
        .value_kind:     by_value
      - .offset:         56
        .size:           8
        .value_kind:     by_value
      - .offset:         64
        .size:           8
        .value_kind:     by_value
      - .offset:         72
        .size:           4
        .value_kind:     by_value
      - .actual_access:  read_only
        .address_space:  global
        .offset:         80
        .size:           8
        .value_kind:     global_buffer
      - .actual_access:  write_only
        .address_space:  global
        .offset:         88
        .size:           8
        .value_kind:     global_buffer
      - .offset:         96
        .size:           4
        .value_kind:     hidden_block_count_x
      - .offset:         100
        .size:           4
        .value_kind:     hidden_block_count_y
      - .offset:         104
        .size:           4
        .value_kind:     hidden_block_count_z
      - .offset:         108
        .size:           2
        .value_kind:     hidden_group_size_x
      - .offset:         110
        .size:           2
        .value_kind:     hidden_group_size_y
      - .offset:         112
        .size:           2
        .value_kind:     hidden_group_size_z
      - .offset:         114
        .size:           2
        .value_kind:     hidden_remainder_x
      - .offset:         116
        .size:           2
        .value_kind:     hidden_remainder_y
      - .offset:         118
        .size:           2
        .value_kind:     hidden_remainder_z
      - .offset:         136
        .size:           8
        .value_kind:     hidden_global_offset_x
      - .offset:         144
        .size:           8
        .value_kind:     hidden_global_offset_y
      - .offset:         152
        .size:           8
        .value_kind:     hidden_global_offset_z
      - .offset:         160
        .size:           2
        .value_kind:     hidden_grid_dims
    .group_segment_fixed_size: 256
    .kernarg_segment_align: 8
    .kernarg_segment_size: 352
    .language:       OpenCL C
    .language_version:
      - 2
      - 0
    .max_flat_workgroup_size: 1024
    .name:           _ZL18rocblas_dot_kernelIlLb1ELi1024ELi32ELb0EdPKddEviT5_lT_lS2_lS3_liPT6_PT4_
    .private_segment_fixed_size: 0
    .sgpr_count:     30
    .sgpr_spill_count: 0
    .symbol:         _ZL18rocblas_dot_kernelIlLb1ELi1024ELi32ELb0EdPKddEviT5_lT_lS2_lS3_liPT6_PT4_.kd
    .uniform_work_group_size: 1
    .uses_dynamic_stack: false
    .vgpr_count:     12
    .vgpr_spill_count: 0
    .wavefront_size: 32
    .workgroup_processor_mode: 1
  - .args:
      - .offset:         0
        .size:           4
        .value_kind:     by_value
      - .actual_access:  read_only
        .address_space:  global
        .offset:         8
        .size:           8
        .value_kind:     global_buffer
      - .offset:         16
        .size:           8
        .value_kind:     by_value
      - .offset:         24
        .size:           8
        .value_kind:     by_value
      - .offset:         32
        .size:           8
        .value_kind:     by_value
      - .offset:         40
        .size:           4
        .value_kind:     by_value
      - .actual_access:  read_only
        .address_space:  global
        .offset:         48
        .size:           8
        .value_kind:     global_buffer
      - .actual_access:  write_only
        .address_space:  global
        .offset:         56
        .size:           8
        .value_kind:     global_buffer
      - .offset:         64
        .size:           4
        .value_kind:     hidden_block_count_x
      - .offset:         68
        .size:           4
        .value_kind:     hidden_block_count_y
      - .offset:         72
        .size:           4
        .value_kind:     hidden_block_count_z
      - .offset:         76
        .size:           2
        .value_kind:     hidden_group_size_x
      - .offset:         78
        .size:           2
        .value_kind:     hidden_group_size_y
      - .offset:         80
        .size:           2
        .value_kind:     hidden_group_size_z
      - .offset:         82
        .size:           2
        .value_kind:     hidden_remainder_x
      - .offset:         84
        .size:           2
        .value_kind:     hidden_remainder_y
      - .offset:         86
        .size:           2
        .value_kind:     hidden_remainder_z
      - .offset:         104
        .size:           8
        .value_kind:     hidden_global_offset_x
      - .offset:         112
        .size:           8
        .value_kind:     hidden_global_offset_y
      - .offset:         120
        .size:           8
        .value_kind:     hidden_global_offset_z
      - .offset:         128
        .size:           2
        .value_kind:     hidden_grid_dims
    .group_segment_fixed_size: 256
    .kernarg_segment_align: 8
    .kernarg_segment_size: 320
    .language:       OpenCL C
    .language_version:
      - 2
      - 0
    .max_flat_workgroup_size: 1024
    .name:           _ZL24rocblas_dot_kernel_magsqIlLb1ELi1024ELi32ELb0EdPKddEviT5_lT_liPT6_PT4_
    .private_segment_fixed_size: 0
    .sgpr_count:     19
    .sgpr_spill_count: 0
    .symbol:         _ZL24rocblas_dot_kernel_magsqIlLb1ELi1024ELi32ELb0EdPKddEviT5_lT_liPT6_PT4_.kd
    .uniform_work_group_size: 1
    .uses_dynamic_stack: false
    .vgpr_count:     12
    .vgpr_spill_count: 0
    .wavefront_size: 32
    .workgroup_processor_mode: 1
  - .args:
      - .offset:         0
        .size:           4
        .value_kind:     by_value
      - .actual_access:  read_only
        .address_space:  global
        .offset:         8
        .size:           8
        .value_kind:     global_buffer
      - .offset:         16
        .size:           8
        .value_kind:     by_value
      - .offset:         24
        .size:           8
        .value_kind:     by_value
      - .offset:         32
        .size:           8
        .value_kind:     by_value
      - .actual_access:  read_only
        .address_space:  global
        .offset:         40
        .size:           8
        .value_kind:     global_buffer
      - .offset:         48
        .size:           8
        .value_kind:     by_value
      - .offset:         56
        .size:           8
        .value_kind:     by_value
      - .offset:         64
        .size:           8
        .value_kind:     by_value
      - .actual_access:  read_only
        .address_space:  global
        .offset:         72
        .size:           8
        .value_kind:     global_buffer
      - .actual_access:  read_only
        .address_space:  global
        .offset:         80
        .size:           8
        .value_kind:     global_buffer
    .group_segment_fixed_size: 0
    .kernarg_segment_align: 8
    .kernarg_segment_size: 88
    .language:       OpenCL C
    .language_version:
      - 2
      - 0
    .max_flat_workgroup_size: 1024
    .name:           _ZL38rocblas_dot_kernel_gfx942_float_doubleIlLi1024EdPKddEviT2_lT_lS2_lS3_lPT3_PT1_
    .private_segment_fixed_size: 0
    .sgpr_count:     0
    .sgpr_spill_count: 0
    .symbol:         _ZL38rocblas_dot_kernel_gfx942_float_doubleIlLi1024EdPKddEviT2_lT_lS2_lS3_lPT3_PT1_.kd
    .uniform_work_group_size: 1
    .uses_dynamic_stack: false
    .vgpr_count:     0
    .vgpr_spill_count: 0
    .wavefront_size: 32
    .workgroup_processor_mode: 1
  - .args:
      - .offset:         0
        .size:           4
        .value_kind:     by_value
      - .actual_access:  read_only
        .address_space:  global
        .offset:         8
        .size:           8
        .value_kind:     global_buffer
      - .offset:         16
        .size:           8
        .value_kind:     by_value
      - .offset:         24
        .size:           8
        .value_kind:     by_value
      - .offset:         32
        .size:           8
        .value_kind:     by_value
      - .actual_access:  read_only
        .address_space:  global
        .offset:         40
        .size:           8
        .value_kind:     global_buffer
      - .offset:         48
        .size:           8
        .value_kind:     by_value
      - .offset:         56
        .size:           8
        .value_kind:     by_value
      - .offset:         64
        .size:           8
        .value_kind:     by_value
      - .offset:         72
        .size:           4
        .value_kind:     by_value
      - .actual_access:  write_only
        .address_space:  global
        .offset:         80
        .size:           8
        .value_kind:     global_buffer
      - .actual_access:  write_only
        .address_space:  global
        .offset:         88
        .size:           8
        .value_kind:     global_buffer
      - .offset:         96
        .size:           4
        .value_kind:     hidden_block_count_x
      - .offset:         100
        .size:           4
        .value_kind:     hidden_block_count_y
      - .offset:         104
        .size:           4
        .value_kind:     hidden_block_count_z
      - .offset:         108
        .size:           2
        .value_kind:     hidden_group_size_x
      - .offset:         110
        .size:           2
        .value_kind:     hidden_group_size_y
      - .offset:         112
        .size:           2
        .value_kind:     hidden_group_size_z
      - .offset:         114
        .size:           2
        .value_kind:     hidden_remainder_x
      - .offset:         116
        .size:           2
        .value_kind:     hidden_remainder_y
      - .offset:         118
        .size:           2
        .value_kind:     hidden_remainder_z
      - .offset:         136
        .size:           8
        .value_kind:     hidden_global_offset_x
      - .offset:         144
        .size:           8
        .value_kind:     hidden_global_offset_y
      - .offset:         152
        .size:           8
        .value_kind:     hidden_global_offset_z
      - .offset:         160
        .size:           2
        .value_kind:     hidden_grid_dims
    .group_segment_fixed_size: 256
    .kernarg_segment_align: 8
    .kernarg_segment_size: 352
    .language:       OpenCL C
    .language_version:
      - 2
      - 0
    .max_flat_workgroup_size: 512
    .name:           _ZL18rocblas_dot_kernelIlLb0ELi512ELi2ELb0EdPKddEviT5_lT_lS2_lS3_liPT6_PT4_
    .private_segment_fixed_size: 0
    .sgpr_count:     28
    .sgpr_spill_count: 0
    .symbol:         _ZL18rocblas_dot_kernelIlLb0ELi512ELi2ELb0EdPKddEviT5_lT_lS2_lS3_liPT6_PT4_.kd
    .uniform_work_group_size: 1
    .uses_dynamic_stack: false
    .vgpr_count:     12
    .vgpr_spill_count: 0
    .wavefront_size: 32
    .workgroup_processor_mode: 1
  - .args:
      - .offset:         0
        .size:           4
        .value_kind:     by_value
      - .actual_access:  read_only
        .address_space:  global
        .offset:         8
        .size:           8
        .value_kind:     global_buffer
      - .offset:         16
        .size:           8
        .value_kind:     by_value
      - .offset:         24
        .size:           8
        .value_kind:     by_value
      - .offset:         32
        .size:           8
        .value_kind:     by_value
      - .offset:         40
        .size:           4
        .value_kind:     by_value
      - .actual_access:  write_only
        .address_space:  global
        .offset:         48
        .size:           8
        .value_kind:     global_buffer
      - .actual_access:  write_only
        .address_space:  global
        .offset:         56
        .size:           8
        .value_kind:     global_buffer
      - .offset:         64
        .size:           4
        .value_kind:     hidden_block_count_x
      - .offset:         68
        .size:           4
        .value_kind:     hidden_block_count_y
      - .offset:         72
        .size:           4
        .value_kind:     hidden_block_count_z
      - .offset:         76
        .size:           2
        .value_kind:     hidden_group_size_x
      - .offset:         78
        .size:           2
        .value_kind:     hidden_group_size_y
      - .offset:         80
        .size:           2
        .value_kind:     hidden_group_size_z
      - .offset:         82
        .size:           2
        .value_kind:     hidden_remainder_x
      - .offset:         84
        .size:           2
        .value_kind:     hidden_remainder_y
      - .offset:         86
        .size:           2
        .value_kind:     hidden_remainder_z
      - .offset:         104
        .size:           8
        .value_kind:     hidden_global_offset_x
      - .offset:         112
        .size:           8
        .value_kind:     hidden_global_offset_y
      - .offset:         120
        .size:           8
        .value_kind:     hidden_global_offset_z
      - .offset:         128
        .size:           2
        .value_kind:     hidden_grid_dims
    .group_segment_fixed_size: 256
    .kernarg_segment_align: 8
    .kernarg_segment_size: 320
    .language:       OpenCL C
    .language_version:
      - 2
      - 0
    .max_flat_workgroup_size: 512
    .name:           _ZL24rocblas_dot_kernel_magsqIlLb0ELi512ELi2ELb0EdPKddEviT5_lT_liPT6_PT4_
    .private_segment_fixed_size: 0
    .sgpr_count:     20
    .sgpr_spill_count: 0
    .symbol:         _ZL24rocblas_dot_kernel_magsqIlLb0ELi512ELi2ELb0EdPKddEviT5_lT_liPT6_PT4_.kd
    .uniform_work_group_size: 1
    .uses_dynamic_stack: false
    .vgpr_count:     11
    .vgpr_spill_count: 0
    .wavefront_size: 32
    .workgroup_processor_mode: 1
  - .args:
      - .offset:         0
        .size:           4
        .value_kind:     by_value
      - .actual_access:  read_only
        .address_space:  global
        .offset:         8
        .size:           8
        .value_kind:     global_buffer
      - .offset:         16
        .size:           8
        .value_kind:     by_value
      - .offset:         24
        .size:           4
        .value_kind:     by_value
      - .offset:         32
        .size:           8
        .value_kind:     by_value
      - .actual_access:  read_only
        .address_space:  global
        .offset:         40
        .size:           8
        .value_kind:     global_buffer
      - .offset:         48
        .size:           8
        .value_kind:     by_value
      - .offset:         56
        .size:           4
        .value_kind:     by_value
      - .offset:         64
        .size:           8
        .value_kind:     by_value
      - .offset:         72
        .size:           4
        .value_kind:     by_value
      - .actual_access:  write_only
        .address_space:  global
        .offset:         80
        .size:           8
        .value_kind:     global_buffer
    .group_segment_fixed_size: 0
    .kernarg_segment_align: 8
    .kernarg_segment_size: 88
    .language:       OpenCL C
    .language_version:
      - 2
      - 0
    .max_flat_workgroup_size: 128
    .name:           _ZL28rocblas_dot_batched_4_kernelIiLi32ELi4ELb0E19rocblas_complex_numIfES1_PKS1_EviT5_lT_lS4_lS5_liPT4_
    .private_segment_fixed_size: 0
    .sgpr_count:     22
    .sgpr_spill_count: 0
    .symbol:         _ZL28rocblas_dot_batched_4_kernelIiLi32ELi4ELb0E19rocblas_complex_numIfES1_PKS1_EviT5_lT_lS4_lS5_liPT4_.kd
    .uniform_work_group_size: 1
    .uses_dynamic_stack: false
    .vgpr_count:     16
    .vgpr_spill_count: 0
    .wavefront_size: 32
    .workgroup_processor_mode: 1
  - .args:
      - .offset:         0
        .size:           4
        .value_kind:     by_value
      - .actual_access:  read_only
        .address_space:  global
        .offset:         8
        .size:           8
        .value_kind:     global_buffer
      - .offset:         16
        .size:           8
        .value_kind:     by_value
      - .offset:         24
        .size:           4
        .value_kind:     by_value
      - .offset:         32
        .size:           8
        .value_kind:     by_value
      - .actual_access:  read_only
        .address_space:  global
        .offset:         40
        .size:           8
        .value_kind:     global_buffer
      - .offset:         48
        .size:           8
        .value_kind:     by_value
      - .offset:         56
        .size:           4
        .value_kind:     by_value
      - .offset:         64
        .size:           8
        .value_kind:     by_value
      - .offset:         72
        .size:           4
        .value_kind:     by_value
      - .actual_access:  write_only
        .address_space:  global
        .offset:         80
        .size:           8
        .value_kind:     global_buffer
    .group_segment_fixed_size: 0
    .kernarg_segment_align: 8
    .kernarg_segment_size: 88
    .language:       OpenCL C
    .language_version:
      - 2
      - 0
    .max_flat_workgroup_size: 256
    .name:           _ZL28rocblas_dot_batched_4_kernelIiLi64ELi4ELb0E19rocblas_complex_numIfES1_PKS1_EviT5_lT_lS4_lS5_liPT4_
    .private_segment_fixed_size: 0
    .sgpr_count:     22
    .sgpr_spill_count: 0
    .symbol:         _ZL28rocblas_dot_batched_4_kernelIiLi64ELi4ELb0E19rocblas_complex_numIfES1_PKS1_EviT5_lT_lS4_lS5_liPT4_.kd
    .uniform_work_group_size: 1
    .uses_dynamic_stack: false
    .vgpr_count:     15
    .vgpr_spill_count: 0
    .wavefront_size: 32
    .workgroup_processor_mode: 1
  - .args:
      - .offset:         0
        .size:           4
        .value_kind:     by_value
      - .actual_access:  read_only
        .address_space:  global
        .offset:         8
        .size:           8
        .value_kind:     global_buffer
      - .offset:         16
        .size:           8
        .value_kind:     by_value
      - .offset:         24
        .size:           8
        .value_kind:     by_value
      - .actual_access:  read_only
        .address_space:  global
        .offset:         32
        .size:           8
        .value_kind:     global_buffer
      - .offset:         40
        .size:           8
        .value_kind:     by_value
      - .offset:         48
        .size:           8
        .value_kind:     by_value
      - .offset:         56
        .size:           4
        .value_kind:     by_value
      - .actual_access:  read_only
        .address_space:  global
        .offset:         64
        .size:           8
        .value_kind:     global_buffer
      - .actual_access:  write_only
        .address_space:  global
        .offset:         72
        .size:           8
        .value_kind:     global_buffer
    .group_segment_fixed_size: 256
    .kernarg_segment_align: 8
    .kernarg_segment_size: 80
    .language:       OpenCL C
    .language_version:
      - 2
      - 0
    .max_flat_workgroup_size: 1024
    .name:           _ZL26rocblas_dot_kernel_inc1by2ILb1ELi1024ELi32ELb0E19rocblas_complex_numIfEPKS1_S1_EviT4_llS4_lliPT5_PT3_
    .private_segment_fixed_size: 0
    .sgpr_count:     21
    .sgpr_spill_count: 0
    .symbol:         _ZL26rocblas_dot_kernel_inc1by2ILb1ELi1024ELi32ELb0E19rocblas_complex_numIfEPKS1_S1_EviT4_llS4_lliPT5_PT3_.kd
    .uniform_work_group_size: 1
    .uses_dynamic_stack: false
    .vgpr_count:     13
    .vgpr_spill_count: 0
    .wavefront_size: 32
    .workgroup_processor_mode: 1
  - .args:
      - .offset:         0
        .size:           4
        .value_kind:     by_value
      - .actual_access:  read_only
        .address_space:  global
        .offset:         8
        .size:           8
        .value_kind:     global_buffer
      - .offset:         16
        .size:           8
        .value_kind:     by_value
      - .offset:         24
        .size:           4
        .value_kind:     by_value
      - .offset:         32
        .size:           8
        .value_kind:     by_value
      - .actual_access:  read_only
        .address_space:  global
        .offset:         40
        .size:           8
        .value_kind:     global_buffer
      - .offset:         48
        .size:           8
        .value_kind:     by_value
      - .offset:         56
        .size:           4
        .value_kind:     by_value
      - .offset:         64
        .size:           8
        .value_kind:     by_value
      - .offset:         72
        .size:           4
        .value_kind:     by_value
      - .actual_access:  read_only
        .address_space:  global
        .offset:         80
        .size:           8
        .value_kind:     global_buffer
      - .actual_access:  write_only
        .address_space:  global
        .offset:         88
        .size:           8
        .value_kind:     global_buffer
      - .offset:         96
        .size:           4
        .value_kind:     hidden_block_count_x
      - .offset:         100
        .size:           4
        .value_kind:     hidden_block_count_y
      - .offset:         104
        .size:           4
        .value_kind:     hidden_block_count_z
      - .offset:         108
        .size:           2
        .value_kind:     hidden_group_size_x
      - .offset:         110
        .size:           2
        .value_kind:     hidden_group_size_y
      - .offset:         112
        .size:           2
        .value_kind:     hidden_group_size_z
      - .offset:         114
        .size:           2
        .value_kind:     hidden_remainder_x
      - .offset:         116
        .size:           2
        .value_kind:     hidden_remainder_y
      - .offset:         118
        .size:           2
        .value_kind:     hidden_remainder_z
      - .offset:         136
        .size:           8
        .value_kind:     hidden_global_offset_x
      - .offset:         144
        .size:           8
        .value_kind:     hidden_global_offset_y
      - .offset:         152
        .size:           8
        .value_kind:     hidden_global_offset_z
      - .offset:         160
        .size:           2
        .value_kind:     hidden_grid_dims
    .group_segment_fixed_size: 256
    .kernarg_segment_align: 8
    .kernarg_segment_size: 352
    .language:       OpenCL C
    .language_version:
      - 2
      - 0
    .max_flat_workgroup_size: 1024
    .name:           _ZL18rocblas_dot_kernelIiLb1ELi1024ELi32ELb0E19rocblas_complex_numIfEPKS1_S1_EviT5_lT_lS4_lS5_liPT6_PT4_
    .private_segment_fixed_size: 0
    .sgpr_count:     27
    .sgpr_spill_count: 0
    .symbol:         _ZL18rocblas_dot_kernelIiLb1ELi1024ELi32ELb0E19rocblas_complex_numIfEPKS1_S1_EviT5_lT_lS4_lS5_liPT6_PT4_.kd
    .uniform_work_group_size: 1
    .uses_dynamic_stack: false
    .vgpr_count:     13
    .vgpr_spill_count: 0
    .wavefront_size: 32
    .workgroup_processor_mode: 1
  - .args:
      - .offset:         0
        .size:           4
        .value_kind:     by_value
      - .actual_access:  read_only
        .address_space:  global
        .offset:         8
        .size:           8
        .value_kind:     global_buffer
      - .offset:         16
        .size:           8
        .value_kind:     by_value
      - .offset:         24
        .size:           4
        .value_kind:     by_value
      - .offset:         32
        .size:           8
        .value_kind:     by_value
      - .offset:         40
        .size:           4
        .value_kind:     by_value
      - .actual_access:  read_only
        .address_space:  global
        .offset:         48
        .size:           8
        .value_kind:     global_buffer
      - .actual_access:  write_only
        .address_space:  global
        .offset:         56
        .size:           8
        .value_kind:     global_buffer
      - .offset:         64
        .size:           4
        .value_kind:     hidden_block_count_x
      - .offset:         68
        .size:           4
        .value_kind:     hidden_block_count_y
      - .offset:         72
        .size:           4
        .value_kind:     hidden_block_count_z
      - .offset:         76
        .size:           2
        .value_kind:     hidden_group_size_x
      - .offset:         78
        .size:           2
        .value_kind:     hidden_group_size_y
      - .offset:         80
        .size:           2
        .value_kind:     hidden_group_size_z
      - .offset:         82
        .size:           2
        .value_kind:     hidden_remainder_x
      - .offset:         84
        .size:           2
        .value_kind:     hidden_remainder_y
      - .offset:         86
        .size:           2
        .value_kind:     hidden_remainder_z
      - .offset:         104
        .size:           8
        .value_kind:     hidden_global_offset_x
      - .offset:         112
        .size:           8
        .value_kind:     hidden_global_offset_y
      - .offset:         120
        .size:           8
        .value_kind:     hidden_global_offset_z
      - .offset:         128
        .size:           2
        .value_kind:     hidden_grid_dims
    .group_segment_fixed_size: 256
    .kernarg_segment_align: 8
    .kernarg_segment_size: 320
    .language:       OpenCL C
    .language_version:
      - 2
      - 0
    .max_flat_workgroup_size: 1024
    .name:           _ZL24rocblas_dot_kernel_magsqIiLb1ELi1024ELi32ELb0E19rocblas_complex_numIfEPKS1_S1_EviT5_lT_liPT6_PT4_
    .private_segment_fixed_size: 0
    .sgpr_count:     19
    .sgpr_spill_count: 0
    .symbol:         _ZL24rocblas_dot_kernel_magsqIiLb1ELi1024ELi32ELb0E19rocblas_complex_numIfEPKS1_S1_EviT5_lT_liPT6_PT4_.kd
    .uniform_work_group_size: 1
    .uses_dynamic_stack: false
    .vgpr_count:     13
    .vgpr_spill_count: 0
    .wavefront_size: 32
    .workgroup_processor_mode: 1
  - .args:
      - .offset:         0
        .size:           4
        .value_kind:     by_value
      - .actual_access:  read_only
        .address_space:  global
        .offset:         8
        .size:           8
        .value_kind:     global_buffer
      - .offset:         16
        .size:           8
        .value_kind:     by_value
      - .offset:         24
        .size:           4
        .value_kind:     by_value
      - .offset:         32
        .size:           8
        .value_kind:     by_value
      - .actual_access:  read_only
        .address_space:  global
        .offset:         40
        .size:           8
        .value_kind:     global_buffer
      - .offset:         48
        .size:           8
        .value_kind:     by_value
      - .offset:         56
        .size:           4
        .value_kind:     by_value
      - .offset:         64
        .size:           8
        .value_kind:     by_value
      - .actual_access:  read_only
        .address_space:  global
        .offset:         72
        .size:           8
        .value_kind:     global_buffer
      - .actual_access:  read_only
        .address_space:  global
        .offset:         80
        .size:           8
        .value_kind:     global_buffer
    .group_segment_fixed_size: 0
    .kernarg_segment_align: 8
    .kernarg_segment_size: 88
    .language:       OpenCL C
    .language_version:
      - 2
      - 0
    .max_flat_workgroup_size: 1024
    .name:           _ZL38rocblas_dot_kernel_gfx942_float_doubleIiLi1024E19rocblas_complex_numIfEPKS1_S1_EviT2_lT_lS4_lS5_lPT3_PT1_
    .private_segment_fixed_size: 0
    .sgpr_count:     0
    .sgpr_spill_count: 0
    .symbol:         _ZL38rocblas_dot_kernel_gfx942_float_doubleIiLi1024E19rocblas_complex_numIfEPKS1_S1_EviT2_lT_lS4_lS5_lPT3_PT1_.kd
    .uniform_work_group_size: 1
    .uses_dynamic_stack: false
    .vgpr_count:     0
    .vgpr_spill_count: 0
    .wavefront_size: 32
    .workgroup_processor_mode: 1
  - .args:
      - .offset:         0
        .size:           4
        .value_kind:     by_value
      - .actual_access:  read_only
        .address_space:  global
        .offset:         8
        .size:           8
        .value_kind:     global_buffer
      - .actual_access:  write_only
        .address_space:  global
        .offset:         16
        .size:           8
        .value_kind:     global_buffer
    .group_segment_fixed_size: 256
    .kernarg_segment_align: 8
    .kernarg_segment_size: 24
    .language:       OpenCL C
    .language_version:
      - 2
      - 0
    .max_flat_workgroup_size: 1024
    .name:           _ZL30rocblas_reduction_kernel_part2ILi1024ELi4E25rocblas_finalize_identity19rocblas_complex_numIfES2_EviPT2_PT3_
    .private_segment_fixed_size: 0
    .sgpr_count:     18
    .sgpr_spill_count: 0
    .symbol:         _ZL30rocblas_reduction_kernel_part2ILi1024ELi4E25rocblas_finalize_identity19rocblas_complex_numIfES2_EviPT2_PT3_.kd
    .uniform_work_group_size: 1
    .uses_dynamic_stack: false
    .vgpr_count:     14
    .vgpr_spill_count: 0
    .wavefront_size: 32
    .workgroup_processor_mode: 1
  - .args:
      - .offset:         0
        .size:           4
        .value_kind:     by_value
      - .actual_access:  read_only
        .address_space:  global
        .offset:         8
        .size:           8
        .value_kind:     global_buffer
      - .offset:         16
        .size:           8
        .value_kind:     by_value
      - .offset:         24
        .size:           8
        .value_kind:     by_value
      - .actual_access:  read_only
        .address_space:  global
        .offset:         32
        .size:           8
        .value_kind:     global_buffer
      - .offset:         40
        .size:           8
        .value_kind:     by_value
      - .offset:         48
        .size:           8
        .value_kind:     by_value
      - .offset:         56
        .size:           4
        .value_kind:     by_value
      - .actual_access:  write_only
        .address_space:  global
        .offset:         64
        .size:           8
        .value_kind:     global_buffer
      - .actual_access:  write_only
        .address_space:  global
        .offset:         72
        .size:           8
        .value_kind:     global_buffer
      - .offset:         80
        .size:           4
        .value_kind:     hidden_block_count_x
      - .offset:         84
        .size:           4
        .value_kind:     hidden_block_count_y
      - .offset:         88
        .size:           4
        .value_kind:     hidden_block_count_z
      - .offset:         92
        .size:           2
        .value_kind:     hidden_group_size_x
      - .offset:         94
        .size:           2
        .value_kind:     hidden_group_size_y
      - .offset:         96
        .size:           2
        .value_kind:     hidden_group_size_z
      - .offset:         98
        .size:           2
        .value_kind:     hidden_remainder_x
      - .offset:         100
        .size:           2
        .value_kind:     hidden_remainder_y
      - .offset:         102
        .size:           2
        .value_kind:     hidden_remainder_z
      - .offset:         120
        .size:           8
        .value_kind:     hidden_global_offset_x
      - .offset:         128
        .size:           8
        .value_kind:     hidden_global_offset_y
      - .offset:         136
        .size:           8
        .value_kind:     hidden_global_offset_z
      - .offset:         144
        .size:           2
        .value_kind:     hidden_grid_dims
    .group_segment_fixed_size: 256
    .kernarg_segment_align: 8
    .kernarg_segment_size: 336
    .language:       OpenCL C
    .language_version:
      - 2
      - 0
    .max_flat_workgroup_size: 512
    .name:           _ZL23rocblas_dot_kernel_inc1ILb0ELi512ELi2ELb0E19rocblas_complex_numIfEPKS1_S1_EviT4_llS4_lliPT5_PT3_
    .private_segment_fixed_size: 0
    .sgpr_count:     24
    .sgpr_spill_count: 0
    .symbol:         _ZL23rocblas_dot_kernel_inc1ILb0ELi512ELi2ELb0E19rocblas_complex_numIfEPKS1_S1_EviT4_llS4_lliPT5_PT3_.kd
    .uniform_work_group_size: 1
    .uses_dynamic_stack: false
    .vgpr_count:     12
    .vgpr_spill_count: 0
    .wavefront_size: 32
    .workgroup_processor_mode: 1
  - .args:
      - .offset:         0
        .size:           4
        .value_kind:     by_value
      - .actual_access:  read_only
        .address_space:  global
        .offset:         8
        .size:           8
        .value_kind:     global_buffer
      - .offset:         16
        .size:           8
        .value_kind:     by_value
      - .offset:         24
        .size:           4
        .value_kind:     by_value
      - .offset:         32
        .size:           8
        .value_kind:     by_value
      - .actual_access:  read_only
        .address_space:  global
        .offset:         40
        .size:           8
        .value_kind:     global_buffer
      - .offset:         48
        .size:           8
        .value_kind:     by_value
      - .offset:         56
        .size:           4
        .value_kind:     by_value
      - .offset:         64
        .size:           8
        .value_kind:     by_value
      - .offset:         72
        .size:           4
        .value_kind:     by_value
      - .actual_access:  write_only
        .address_space:  global
        .offset:         80
        .size:           8
        .value_kind:     global_buffer
      - .actual_access:  write_only
        .address_space:  global
        .offset:         88
        .size:           8
        .value_kind:     global_buffer
      - .offset:         96
        .size:           4
        .value_kind:     hidden_block_count_x
      - .offset:         100
        .size:           4
        .value_kind:     hidden_block_count_y
      - .offset:         104
        .size:           4
        .value_kind:     hidden_block_count_z
      - .offset:         108
        .size:           2
        .value_kind:     hidden_group_size_x
      - .offset:         110
        .size:           2
        .value_kind:     hidden_group_size_y
      - .offset:         112
        .size:           2
        .value_kind:     hidden_group_size_z
      - .offset:         114
        .size:           2
        .value_kind:     hidden_remainder_x
      - .offset:         116
        .size:           2
        .value_kind:     hidden_remainder_y
      - .offset:         118
        .size:           2
        .value_kind:     hidden_remainder_z
      - .offset:         136
        .size:           8
        .value_kind:     hidden_global_offset_x
      - .offset:         144
        .size:           8
        .value_kind:     hidden_global_offset_y
      - .offset:         152
        .size:           8
        .value_kind:     hidden_global_offset_z
      - .offset:         160
        .size:           2
        .value_kind:     hidden_grid_dims
    .group_segment_fixed_size: 256
    .kernarg_segment_align: 8
    .kernarg_segment_size: 352
    .language:       OpenCL C
    .language_version:
      - 2
      - 0
    .max_flat_workgroup_size: 512
    .name:           _ZL18rocblas_dot_kernelIiLb0ELi512ELi2ELb0E19rocblas_complex_numIfEPKS1_S1_EviT5_lT_lS4_lS5_liPT6_PT4_
    .private_segment_fixed_size: 0
    .sgpr_count:     26
    .sgpr_spill_count: 0
    .symbol:         _ZL18rocblas_dot_kernelIiLb0ELi512ELi2ELb0E19rocblas_complex_numIfEPKS1_S1_EviT5_lT_lS4_lS5_liPT6_PT4_.kd
    .uniform_work_group_size: 1
    .uses_dynamic_stack: false
    .vgpr_count:     11
    .vgpr_spill_count: 0
    .wavefront_size: 32
    .workgroup_processor_mode: 1
  - .args:
      - .offset:         0
        .size:           4
        .value_kind:     by_value
      - .actual_access:  read_only
        .address_space:  global
        .offset:         8
        .size:           8
        .value_kind:     global_buffer
      - .offset:         16
        .size:           8
        .value_kind:     by_value
      - .offset:         24
        .size:           4
        .value_kind:     by_value
      - .offset:         32
        .size:           8
        .value_kind:     by_value
      - .offset:         40
        .size:           4
        .value_kind:     by_value
      - .actual_access:  write_only
        .address_space:  global
        .offset:         48
        .size:           8
        .value_kind:     global_buffer
      - .actual_access:  write_only
        .address_space:  global
        .offset:         56
        .size:           8
        .value_kind:     global_buffer
      - .offset:         64
        .size:           4
        .value_kind:     hidden_block_count_x
      - .offset:         68
        .size:           4
        .value_kind:     hidden_block_count_y
      - .offset:         72
        .size:           4
        .value_kind:     hidden_block_count_z
      - .offset:         76
        .size:           2
        .value_kind:     hidden_group_size_x
      - .offset:         78
        .size:           2
        .value_kind:     hidden_group_size_y
      - .offset:         80
        .size:           2
        .value_kind:     hidden_group_size_z
      - .offset:         82
        .size:           2
        .value_kind:     hidden_remainder_x
      - .offset:         84
        .size:           2
        .value_kind:     hidden_remainder_y
      - .offset:         86
        .size:           2
        .value_kind:     hidden_remainder_z
      - .offset:         104
        .size:           8
        .value_kind:     hidden_global_offset_x
      - .offset:         112
        .size:           8
        .value_kind:     hidden_global_offset_y
      - .offset:         120
        .size:           8
        .value_kind:     hidden_global_offset_z
      - .offset:         128
        .size:           2
        .value_kind:     hidden_grid_dims
    .group_segment_fixed_size: 256
    .kernarg_segment_align: 8
    .kernarg_segment_size: 320
    .language:       OpenCL C
    .language_version:
      - 2
      - 0
    .max_flat_workgroup_size: 512
    .name:           _ZL24rocblas_dot_kernel_magsqIiLb0ELi512ELi2ELb0E19rocblas_complex_numIfEPKS1_S1_EviT5_lT_liPT6_PT4_
    .private_segment_fixed_size: 0
    .sgpr_count:     18
    .sgpr_spill_count: 0
    .symbol:         _ZL24rocblas_dot_kernel_magsqIiLb0ELi512ELi2ELb0E19rocblas_complex_numIfEPKS1_S1_EviT5_lT_liPT6_PT4_.kd
    .uniform_work_group_size: 1
    .uses_dynamic_stack: false
    .vgpr_count:     11
    .vgpr_spill_count: 0
    .wavefront_size: 32
    .workgroup_processor_mode: 1
  - .args:
      - .offset:         0
        .size:           4
        .value_kind:     by_value
      - .actual_access:  read_only
        .address_space:  global
        .offset:         8
        .size:           8
        .value_kind:     global_buffer
      - .actual_access:  write_only
        .address_space:  global
        .offset:         16
        .size:           8
        .value_kind:     global_buffer
    .group_segment_fixed_size: 256
    .kernarg_segment_align: 8
    .kernarg_segment_size: 24
    .language:       OpenCL C
    .language_version:
      - 2
      - 0
    .max_flat_workgroup_size: 512
    .name:           _ZL30rocblas_reduction_kernel_part2ILi512ELi2E25rocblas_finalize_identity19rocblas_complex_numIfES2_EviPT2_PT3_
    .private_segment_fixed_size: 0
    .sgpr_count:     18
    .sgpr_spill_count: 0
    .symbol:         _ZL30rocblas_reduction_kernel_part2ILi512ELi2E25rocblas_finalize_identity19rocblas_complex_numIfES2_EviPT2_PT3_.kd
    .uniform_work_group_size: 1
    .uses_dynamic_stack: false
    .vgpr_count:     12
    .vgpr_spill_count: 0
    .wavefront_size: 32
    .workgroup_processor_mode: 1
  - .args:
      - .offset:         0
        .size:           4
        .value_kind:     by_value
      - .actual_access:  read_only
        .address_space:  global
        .offset:         8
        .size:           8
        .value_kind:     global_buffer
      - .offset:         16
        .size:           8
        .value_kind:     by_value
      - .offset:         24
        .size:           8
        .value_kind:     by_value
      - .offset:         32
        .size:           8
        .value_kind:     by_value
      - .actual_access:  read_only
        .address_space:  global
        .offset:         40
        .size:           8
        .value_kind:     global_buffer
      - .offset:         48
        .size:           8
        .value_kind:     by_value
      - .offset:         56
        .size:           8
        .value_kind:     by_value
      - .offset:         64
        .size:           8
        .value_kind:     by_value
      - .offset:         72
        .size:           4
        .value_kind:     by_value
      - .actual_access:  write_only
        .address_space:  global
        .offset:         80
        .size:           8
        .value_kind:     global_buffer
    .group_segment_fixed_size: 0
    .kernarg_segment_align: 8
    .kernarg_segment_size: 88
    .language:       OpenCL C
    .language_version:
      - 2
      - 0
    .max_flat_workgroup_size: 128
    .name:           _ZL28rocblas_dot_batched_4_kernelIlLi32ELi4ELb0E19rocblas_complex_numIfES1_PKS1_EviT5_lT_lS4_lS5_liPT4_
    .private_segment_fixed_size: 0
    .sgpr_count:     22
    .sgpr_spill_count: 0
    .symbol:         _ZL28rocblas_dot_batched_4_kernelIlLi32ELi4ELb0E19rocblas_complex_numIfES1_PKS1_EviT5_lT_lS4_lS5_liPT4_.kd
    .uniform_work_group_size: 1
    .uses_dynamic_stack: false
    .vgpr_count:     16
    .vgpr_spill_count: 0
    .wavefront_size: 32
    .workgroup_processor_mode: 1
  - .args:
      - .offset:         0
        .size:           4
        .value_kind:     by_value
      - .actual_access:  read_only
        .address_space:  global
        .offset:         8
        .size:           8
        .value_kind:     global_buffer
      - .offset:         16
        .size:           8
        .value_kind:     by_value
      - .offset:         24
        .size:           8
        .value_kind:     by_value
      - .offset:         32
        .size:           8
        .value_kind:     by_value
      - .actual_access:  read_only
        .address_space:  global
        .offset:         40
        .size:           8
        .value_kind:     global_buffer
      - .offset:         48
        .size:           8
        .value_kind:     by_value
      - .offset:         56
        .size:           8
        .value_kind:     by_value
      - .offset:         64
        .size:           8
        .value_kind:     by_value
      - .offset:         72
        .size:           4
        .value_kind:     by_value
      - .actual_access:  write_only
        .address_space:  global
        .offset:         80
        .size:           8
        .value_kind:     global_buffer
    .group_segment_fixed_size: 0
    .kernarg_segment_align: 8
    .kernarg_segment_size: 88
    .language:       OpenCL C
    .language_version:
      - 2
      - 0
    .max_flat_workgroup_size: 256
    .name:           _ZL28rocblas_dot_batched_4_kernelIlLi64ELi4ELb0E19rocblas_complex_numIfES1_PKS1_EviT5_lT_lS4_lS5_liPT4_
    .private_segment_fixed_size: 0
    .sgpr_count:     22
    .sgpr_spill_count: 0
    .symbol:         _ZL28rocblas_dot_batched_4_kernelIlLi64ELi4ELb0E19rocblas_complex_numIfES1_PKS1_EviT5_lT_lS4_lS5_liPT4_.kd
    .uniform_work_group_size: 1
    .uses_dynamic_stack: false
    .vgpr_count:     16
    .vgpr_spill_count: 0
    .wavefront_size: 32
    .workgroup_processor_mode: 1
  - .args:
      - .offset:         0
        .size:           4
        .value_kind:     by_value
      - .actual_access:  read_only
        .address_space:  global
        .offset:         8
        .size:           8
        .value_kind:     global_buffer
      - .offset:         16
        .size:           8
        .value_kind:     by_value
      - .offset:         24
        .size:           8
        .value_kind:     by_value
      - .offset:         32
        .size:           8
        .value_kind:     by_value
      - .actual_access:  read_only
        .address_space:  global
        .offset:         40
        .size:           8
        .value_kind:     global_buffer
      - .offset:         48
        .size:           8
        .value_kind:     by_value
      - .offset:         56
        .size:           8
        .value_kind:     by_value
      - .offset:         64
        .size:           8
        .value_kind:     by_value
      - .offset:         72
        .size:           4
        .value_kind:     by_value
      - .actual_access:  read_only
        .address_space:  global
        .offset:         80
        .size:           8
        .value_kind:     global_buffer
      - .actual_access:  write_only
        .address_space:  global
        .offset:         88
        .size:           8
        .value_kind:     global_buffer
      - .offset:         96
        .size:           4
        .value_kind:     hidden_block_count_x
      - .offset:         100
        .size:           4
        .value_kind:     hidden_block_count_y
      - .offset:         104
        .size:           4
        .value_kind:     hidden_block_count_z
      - .offset:         108
        .size:           2
        .value_kind:     hidden_group_size_x
      - .offset:         110
        .size:           2
        .value_kind:     hidden_group_size_y
      - .offset:         112
        .size:           2
        .value_kind:     hidden_group_size_z
      - .offset:         114
        .size:           2
        .value_kind:     hidden_remainder_x
      - .offset:         116
        .size:           2
        .value_kind:     hidden_remainder_y
      - .offset:         118
        .size:           2
        .value_kind:     hidden_remainder_z
      - .offset:         136
        .size:           8
        .value_kind:     hidden_global_offset_x
      - .offset:         144
        .size:           8
        .value_kind:     hidden_global_offset_y
      - .offset:         152
        .size:           8
        .value_kind:     hidden_global_offset_z
      - .offset:         160
        .size:           2
        .value_kind:     hidden_grid_dims
    .group_segment_fixed_size: 256
    .kernarg_segment_align: 8
    .kernarg_segment_size: 352
    .language:       OpenCL C
    .language_version:
      - 2
      - 0
    .max_flat_workgroup_size: 1024
    .name:           _ZL18rocblas_dot_kernelIlLb1ELi1024ELi32ELb0E19rocblas_complex_numIfEPKS1_S1_EviT5_lT_lS4_lS5_liPT6_PT4_
    .private_segment_fixed_size: 0
    .sgpr_count:     30
    .sgpr_spill_count: 0
    .symbol:         _ZL18rocblas_dot_kernelIlLb1ELi1024ELi32ELb0E19rocblas_complex_numIfEPKS1_S1_EviT5_lT_lS4_lS5_liPT6_PT4_.kd
    .uniform_work_group_size: 1
    .uses_dynamic_stack: false
    .vgpr_count:     13
    .vgpr_spill_count: 0
    .wavefront_size: 32
    .workgroup_processor_mode: 1
  - .args:
      - .offset:         0
        .size:           4
        .value_kind:     by_value
      - .actual_access:  read_only
        .address_space:  global
        .offset:         8
        .size:           8
        .value_kind:     global_buffer
      - .offset:         16
        .size:           8
        .value_kind:     by_value
      - .offset:         24
        .size:           8
        .value_kind:     by_value
      - .offset:         32
        .size:           8
        .value_kind:     by_value
      - .offset:         40
        .size:           4
        .value_kind:     by_value
      - .actual_access:  read_only
        .address_space:  global
        .offset:         48
        .size:           8
        .value_kind:     global_buffer
      - .actual_access:  write_only
        .address_space:  global
        .offset:         56
        .size:           8
        .value_kind:     global_buffer
      - .offset:         64
        .size:           4
        .value_kind:     hidden_block_count_x
      - .offset:         68
        .size:           4
        .value_kind:     hidden_block_count_y
      - .offset:         72
        .size:           4
        .value_kind:     hidden_block_count_z
      - .offset:         76
        .size:           2
        .value_kind:     hidden_group_size_x
      - .offset:         78
        .size:           2
        .value_kind:     hidden_group_size_y
      - .offset:         80
        .size:           2
        .value_kind:     hidden_group_size_z
      - .offset:         82
        .size:           2
        .value_kind:     hidden_remainder_x
      - .offset:         84
        .size:           2
        .value_kind:     hidden_remainder_y
      - .offset:         86
        .size:           2
        .value_kind:     hidden_remainder_z
      - .offset:         104
        .size:           8
        .value_kind:     hidden_global_offset_x
      - .offset:         112
        .size:           8
        .value_kind:     hidden_global_offset_y
      - .offset:         120
        .size:           8
        .value_kind:     hidden_global_offset_z
      - .offset:         128
        .size:           2
        .value_kind:     hidden_grid_dims
    .group_segment_fixed_size: 256
    .kernarg_segment_align: 8
    .kernarg_segment_size: 320
    .language:       OpenCL C
    .language_version:
      - 2
      - 0
    .max_flat_workgroup_size: 1024
    .name:           _ZL24rocblas_dot_kernel_magsqIlLb1ELi1024ELi32ELb0E19rocblas_complex_numIfEPKS1_S1_EviT5_lT_liPT6_PT4_
    .private_segment_fixed_size: 0
    .sgpr_count:     19
    .sgpr_spill_count: 0
    .symbol:         _ZL24rocblas_dot_kernel_magsqIlLb1ELi1024ELi32ELb0E19rocblas_complex_numIfEPKS1_S1_EviT5_lT_liPT6_PT4_.kd
    .uniform_work_group_size: 1
    .uses_dynamic_stack: false
    .vgpr_count:     13
    .vgpr_spill_count: 0
    .wavefront_size: 32
    .workgroup_processor_mode: 1
  - .args:
      - .offset:         0
        .size:           4
        .value_kind:     by_value
      - .actual_access:  read_only
        .address_space:  global
        .offset:         8
        .size:           8
        .value_kind:     global_buffer
      - .offset:         16
        .size:           8
        .value_kind:     by_value
      - .offset:         24
        .size:           8
        .value_kind:     by_value
      - .offset:         32
        .size:           8
        .value_kind:     by_value
      - .actual_access:  read_only
        .address_space:  global
        .offset:         40
        .size:           8
        .value_kind:     global_buffer
      - .offset:         48
        .size:           8
        .value_kind:     by_value
      - .offset:         56
        .size:           8
        .value_kind:     by_value
      - .offset:         64
        .size:           8
        .value_kind:     by_value
      - .actual_access:  read_only
        .address_space:  global
        .offset:         72
        .size:           8
        .value_kind:     global_buffer
      - .actual_access:  read_only
        .address_space:  global
        .offset:         80
        .size:           8
        .value_kind:     global_buffer
    .group_segment_fixed_size: 0
    .kernarg_segment_align: 8
    .kernarg_segment_size: 88
    .language:       OpenCL C
    .language_version:
      - 2
      - 0
    .max_flat_workgroup_size: 1024
    .name:           _ZL38rocblas_dot_kernel_gfx942_float_doubleIlLi1024E19rocblas_complex_numIfEPKS1_S1_EviT2_lT_lS4_lS5_lPT3_PT1_
    .private_segment_fixed_size: 0
    .sgpr_count:     0
    .sgpr_spill_count: 0
    .symbol:         _ZL38rocblas_dot_kernel_gfx942_float_doubleIlLi1024E19rocblas_complex_numIfEPKS1_S1_EviT2_lT_lS4_lS5_lPT3_PT1_.kd
    .uniform_work_group_size: 1
    .uses_dynamic_stack: false
    .vgpr_count:     0
    .vgpr_spill_count: 0
    .wavefront_size: 32
    .workgroup_processor_mode: 1
  - .args:
      - .offset:         0
        .size:           4
        .value_kind:     by_value
      - .actual_access:  read_only
        .address_space:  global
        .offset:         8
        .size:           8
        .value_kind:     global_buffer
      - .offset:         16
        .size:           8
        .value_kind:     by_value
      - .offset:         24
        .size:           8
        .value_kind:     by_value
      - .offset:         32
        .size:           8
        .value_kind:     by_value
      - .actual_access:  read_only
        .address_space:  global
        .offset:         40
        .size:           8
        .value_kind:     global_buffer
      - .offset:         48
        .size:           8
        .value_kind:     by_value
      - .offset:         56
        .size:           8
        .value_kind:     by_value
      - .offset:         64
        .size:           8
        .value_kind:     by_value
      - .offset:         72
        .size:           4
        .value_kind:     by_value
      - .actual_access:  write_only
        .address_space:  global
        .offset:         80
        .size:           8
        .value_kind:     global_buffer
      - .actual_access:  write_only
        .address_space:  global
        .offset:         88
        .size:           8
        .value_kind:     global_buffer
      - .offset:         96
        .size:           4
        .value_kind:     hidden_block_count_x
      - .offset:         100
        .size:           4
        .value_kind:     hidden_block_count_y
      - .offset:         104
        .size:           4
        .value_kind:     hidden_block_count_z
      - .offset:         108
        .size:           2
        .value_kind:     hidden_group_size_x
      - .offset:         110
        .size:           2
        .value_kind:     hidden_group_size_y
      - .offset:         112
        .size:           2
        .value_kind:     hidden_group_size_z
      - .offset:         114
        .size:           2
        .value_kind:     hidden_remainder_x
      - .offset:         116
        .size:           2
        .value_kind:     hidden_remainder_y
      - .offset:         118
        .size:           2
        .value_kind:     hidden_remainder_z
      - .offset:         136
        .size:           8
        .value_kind:     hidden_global_offset_x
      - .offset:         144
        .size:           8
        .value_kind:     hidden_global_offset_y
      - .offset:         152
        .size:           8
        .value_kind:     hidden_global_offset_z
      - .offset:         160
        .size:           2
        .value_kind:     hidden_grid_dims
    .group_segment_fixed_size: 256
    .kernarg_segment_align: 8
    .kernarg_segment_size: 352
    .language:       OpenCL C
    .language_version:
      - 2
      - 0
    .max_flat_workgroup_size: 512
    .name:           _ZL18rocblas_dot_kernelIlLb0ELi512ELi2ELb0E19rocblas_complex_numIfEPKS1_S1_EviT5_lT_lS4_lS5_liPT6_PT4_
    .private_segment_fixed_size: 0
    .sgpr_count:     28
    .sgpr_spill_count: 0
    .symbol:         _ZL18rocblas_dot_kernelIlLb0ELi512ELi2ELb0E19rocblas_complex_numIfEPKS1_S1_EviT5_lT_lS4_lS5_liPT6_PT4_.kd
    .uniform_work_group_size: 1
    .uses_dynamic_stack: false
    .vgpr_count:     12
    .vgpr_spill_count: 0
    .wavefront_size: 32
    .workgroup_processor_mode: 1
  - .args:
      - .offset:         0
        .size:           4
        .value_kind:     by_value
      - .actual_access:  read_only
        .address_space:  global
        .offset:         8
        .size:           8
        .value_kind:     global_buffer
      - .offset:         16
        .size:           8
        .value_kind:     by_value
      - .offset:         24
        .size:           8
        .value_kind:     by_value
      - .offset:         32
        .size:           8
        .value_kind:     by_value
      - .offset:         40
        .size:           4
        .value_kind:     by_value
      - .actual_access:  write_only
        .address_space:  global
        .offset:         48
        .size:           8
        .value_kind:     global_buffer
      - .actual_access:  write_only
        .address_space:  global
        .offset:         56
        .size:           8
        .value_kind:     global_buffer
      - .offset:         64
        .size:           4
        .value_kind:     hidden_block_count_x
      - .offset:         68
        .size:           4
        .value_kind:     hidden_block_count_y
      - .offset:         72
        .size:           4
        .value_kind:     hidden_block_count_z
      - .offset:         76
        .size:           2
        .value_kind:     hidden_group_size_x
      - .offset:         78
        .size:           2
        .value_kind:     hidden_group_size_y
      - .offset:         80
        .size:           2
        .value_kind:     hidden_group_size_z
      - .offset:         82
        .size:           2
        .value_kind:     hidden_remainder_x
      - .offset:         84
        .size:           2
        .value_kind:     hidden_remainder_y
      - .offset:         86
        .size:           2
        .value_kind:     hidden_remainder_z
      - .offset:         104
        .size:           8
        .value_kind:     hidden_global_offset_x
      - .offset:         112
        .size:           8
        .value_kind:     hidden_global_offset_y
      - .offset:         120
        .size:           8
        .value_kind:     hidden_global_offset_z
      - .offset:         128
        .size:           2
        .value_kind:     hidden_grid_dims
    .group_segment_fixed_size: 256
    .kernarg_segment_align: 8
    .kernarg_segment_size: 320
    .language:       OpenCL C
    .language_version:
      - 2
      - 0
    .max_flat_workgroup_size: 512
    .name:           _ZL24rocblas_dot_kernel_magsqIlLb0ELi512ELi2ELb0E19rocblas_complex_numIfEPKS1_S1_EviT5_lT_liPT6_PT4_
    .private_segment_fixed_size: 0
    .sgpr_count:     20
    .sgpr_spill_count: 0
    .symbol:         _ZL24rocblas_dot_kernel_magsqIlLb0ELi512ELi2ELb0E19rocblas_complex_numIfEPKS1_S1_EviT5_lT_liPT6_PT4_.kd
    .uniform_work_group_size: 1
    .uses_dynamic_stack: false
    .vgpr_count:     11
    .vgpr_spill_count: 0
    .wavefront_size: 32
    .workgroup_processor_mode: 1
  - .args:
      - .offset:         0
        .size:           4
        .value_kind:     by_value
      - .actual_access:  read_only
        .address_space:  global
        .offset:         8
        .size:           8
        .value_kind:     global_buffer
      - .offset:         16
        .size:           8
        .value_kind:     by_value
      - .offset:         24
        .size:           4
        .value_kind:     by_value
      - .offset:         32
        .size:           8
        .value_kind:     by_value
      - .actual_access:  read_only
        .address_space:  global
        .offset:         40
        .size:           8
        .value_kind:     global_buffer
      - .offset:         48
        .size:           8
        .value_kind:     by_value
      - .offset:         56
        .size:           4
        .value_kind:     by_value
      - .offset:         64
        .size:           8
        .value_kind:     by_value
      - .offset:         72
        .size:           4
        .value_kind:     by_value
      - .actual_access:  write_only
        .address_space:  global
        .offset:         80
        .size:           8
        .value_kind:     global_buffer
    .group_segment_fixed_size: 0
    .kernarg_segment_align: 8
    .kernarg_segment_size: 88
    .language:       OpenCL C
    .language_version:
      - 2
      - 0
    .max_flat_workgroup_size: 128
    .name:           _ZL28rocblas_dot_batched_4_kernelIiLi32ELi4ELb0E19rocblas_complex_numIdES1_PKS1_EviT5_lT_lS4_lS5_liPT4_
    .private_segment_fixed_size: 0
    .sgpr_count:     22
    .sgpr_spill_count: 0
    .symbol:         _ZL28rocblas_dot_batched_4_kernelIiLi32ELi4ELb0E19rocblas_complex_numIdES1_PKS1_EviT5_lT_lS4_lS5_liPT4_.kd
    .uniform_work_group_size: 1
    .uses_dynamic_stack: false
    .vgpr_count:     22
    .vgpr_spill_count: 0
    .wavefront_size: 32
    .workgroup_processor_mode: 1
  - .args:
      - .offset:         0
        .size:           4
        .value_kind:     by_value
      - .actual_access:  read_only
        .address_space:  global
        .offset:         8
        .size:           8
        .value_kind:     global_buffer
      - .offset:         16
        .size:           8
        .value_kind:     by_value
      - .offset:         24
        .size:           4
        .value_kind:     by_value
      - .offset:         32
        .size:           8
        .value_kind:     by_value
      - .actual_access:  read_only
        .address_space:  global
        .offset:         40
        .size:           8
        .value_kind:     global_buffer
      - .offset:         48
        .size:           8
        .value_kind:     by_value
      - .offset:         56
        .size:           4
        .value_kind:     by_value
      - .offset:         64
        .size:           8
        .value_kind:     by_value
      - .offset:         72
        .size:           4
        .value_kind:     by_value
      - .actual_access:  write_only
        .address_space:  global
        .offset:         80
        .size:           8
        .value_kind:     global_buffer
    .group_segment_fixed_size: 0
    .kernarg_segment_align: 8
    .kernarg_segment_size: 88
    .language:       OpenCL C
    .language_version:
      - 2
      - 0
    .max_flat_workgroup_size: 256
    .name:           _ZL28rocblas_dot_batched_4_kernelIiLi64ELi4ELb0E19rocblas_complex_numIdES1_PKS1_EviT5_lT_lS4_lS5_liPT4_
    .private_segment_fixed_size: 0
    .sgpr_count:     22
    .sgpr_spill_count: 0
    .symbol:         _ZL28rocblas_dot_batched_4_kernelIiLi64ELi4ELb0E19rocblas_complex_numIdES1_PKS1_EviT5_lT_lS4_lS5_liPT4_.kd
    .uniform_work_group_size: 1
    .uses_dynamic_stack: false
    .vgpr_count:     22
    .vgpr_spill_count: 0
    .wavefront_size: 32
    .workgroup_processor_mode: 1
  - .args:
      - .offset:         0
        .size:           4
        .value_kind:     by_value
      - .actual_access:  read_only
        .address_space:  global
        .offset:         8
        .size:           8
        .value_kind:     global_buffer
      - .offset:         16
        .size:           8
        .value_kind:     by_value
      - .offset:         24
        .size:           8
        .value_kind:     by_value
      - .actual_access:  read_only
        .address_space:  global
        .offset:         32
        .size:           8
        .value_kind:     global_buffer
      - .offset:         40
        .size:           8
        .value_kind:     by_value
      - .offset:         48
        .size:           8
        .value_kind:     by_value
      - .offset:         56
        .size:           4
        .value_kind:     by_value
      - .actual_access:  read_only
        .address_space:  global
        .offset:         64
        .size:           8
        .value_kind:     global_buffer
      - .actual_access:  write_only
        .address_space:  global
        .offset:         72
        .size:           8
        .value_kind:     global_buffer
    .group_segment_fixed_size: 512
    .kernarg_segment_align: 8
    .kernarg_segment_size: 80
    .language:       OpenCL C
    .language_version:
      - 2
      - 0
    .max_flat_workgroup_size: 1024
    .name:           _ZL26rocblas_dot_kernel_inc1by2ILb1ELi1024ELi32ELb0E19rocblas_complex_numIdEPKS1_S1_EviT4_llS4_lliPT5_PT3_
    .private_segment_fixed_size: 0
    .sgpr_count:     21
    .sgpr_spill_count: 0
    .symbol:         _ZL26rocblas_dot_kernel_inc1by2ILb1ELi1024ELi32ELb0E19rocblas_complex_numIdEPKS1_S1_EviT4_llS4_lliPT5_PT3_.kd
    .uniform_work_group_size: 1
    .uses_dynamic_stack: false
    .vgpr_count:     20
    .vgpr_spill_count: 0
    .wavefront_size: 32
    .workgroup_processor_mode: 1
  - .args:
      - .offset:         0
        .size:           4
        .value_kind:     by_value
      - .actual_access:  read_only
        .address_space:  global
        .offset:         8
        .size:           8
        .value_kind:     global_buffer
      - .offset:         16
        .size:           8
        .value_kind:     by_value
      - .offset:         24
        .size:           4
        .value_kind:     by_value
      - .offset:         32
        .size:           8
        .value_kind:     by_value
      - .actual_access:  read_only
        .address_space:  global
        .offset:         40
        .size:           8
        .value_kind:     global_buffer
      - .offset:         48
        .size:           8
        .value_kind:     by_value
      - .offset:         56
        .size:           4
        .value_kind:     by_value
      - .offset:         64
        .size:           8
        .value_kind:     by_value
      - .offset:         72
        .size:           4
        .value_kind:     by_value
      - .actual_access:  read_only
        .address_space:  global
        .offset:         80
        .size:           8
        .value_kind:     global_buffer
      - .actual_access:  write_only
        .address_space:  global
        .offset:         88
        .size:           8
        .value_kind:     global_buffer
      - .offset:         96
        .size:           4
        .value_kind:     hidden_block_count_x
      - .offset:         100
        .size:           4
        .value_kind:     hidden_block_count_y
      - .offset:         104
        .size:           4
        .value_kind:     hidden_block_count_z
      - .offset:         108
        .size:           2
        .value_kind:     hidden_group_size_x
      - .offset:         110
        .size:           2
        .value_kind:     hidden_group_size_y
      - .offset:         112
        .size:           2
        .value_kind:     hidden_group_size_z
      - .offset:         114
        .size:           2
        .value_kind:     hidden_remainder_x
      - .offset:         116
        .size:           2
        .value_kind:     hidden_remainder_y
      - .offset:         118
        .size:           2
        .value_kind:     hidden_remainder_z
      - .offset:         136
        .size:           8
        .value_kind:     hidden_global_offset_x
      - .offset:         144
        .size:           8
        .value_kind:     hidden_global_offset_y
      - .offset:         152
        .size:           8
        .value_kind:     hidden_global_offset_z
      - .offset:         160
        .size:           2
        .value_kind:     hidden_grid_dims
    .group_segment_fixed_size: 512
    .kernarg_segment_align: 8
    .kernarg_segment_size: 352
    .language:       OpenCL C
    .language_version:
      - 2
      - 0
    .max_flat_workgroup_size: 1024
    .name:           _ZL18rocblas_dot_kernelIiLb1ELi1024ELi32ELb0E19rocblas_complex_numIdEPKS1_S1_EviT5_lT_lS4_lS5_liPT6_PT4_
    .private_segment_fixed_size: 0
    .sgpr_count:     27
    .sgpr_spill_count: 0
    .symbol:         _ZL18rocblas_dot_kernelIiLb1ELi1024ELi32ELb0E19rocblas_complex_numIdEPKS1_S1_EviT5_lT_lS4_lS5_liPT6_PT4_.kd
    .uniform_work_group_size: 1
    .uses_dynamic_stack: false
    .vgpr_count:     20
    .vgpr_spill_count: 0
    .wavefront_size: 32
    .workgroup_processor_mode: 1
  - .args:
      - .offset:         0
        .size:           4
        .value_kind:     by_value
      - .actual_access:  read_only
        .address_space:  global
        .offset:         8
        .size:           8
        .value_kind:     global_buffer
      - .offset:         16
        .size:           8
        .value_kind:     by_value
      - .offset:         24
        .size:           4
        .value_kind:     by_value
      - .offset:         32
        .size:           8
        .value_kind:     by_value
      - .offset:         40
        .size:           4
        .value_kind:     by_value
      - .actual_access:  read_only
        .address_space:  global
        .offset:         48
        .size:           8
        .value_kind:     global_buffer
      - .actual_access:  write_only
        .address_space:  global
        .offset:         56
        .size:           8
        .value_kind:     global_buffer
      - .offset:         64
        .size:           4
        .value_kind:     hidden_block_count_x
      - .offset:         68
        .size:           4
        .value_kind:     hidden_block_count_y
      - .offset:         72
        .size:           4
        .value_kind:     hidden_block_count_z
      - .offset:         76
        .size:           2
        .value_kind:     hidden_group_size_x
      - .offset:         78
        .size:           2
        .value_kind:     hidden_group_size_y
      - .offset:         80
        .size:           2
        .value_kind:     hidden_group_size_z
      - .offset:         82
        .size:           2
        .value_kind:     hidden_remainder_x
      - .offset:         84
        .size:           2
        .value_kind:     hidden_remainder_y
      - .offset:         86
        .size:           2
        .value_kind:     hidden_remainder_z
      - .offset:         104
        .size:           8
        .value_kind:     hidden_global_offset_x
      - .offset:         112
        .size:           8
        .value_kind:     hidden_global_offset_y
      - .offset:         120
        .size:           8
        .value_kind:     hidden_global_offset_z
      - .offset:         128
        .size:           2
        .value_kind:     hidden_grid_dims
    .group_segment_fixed_size: 512
    .kernarg_segment_align: 8
    .kernarg_segment_size: 320
    .language:       OpenCL C
    .language_version:
      - 2
      - 0
    .max_flat_workgroup_size: 1024
    .name:           _ZL24rocblas_dot_kernel_magsqIiLb1ELi1024ELi32ELb0E19rocblas_complex_numIdEPKS1_S1_EviT5_lT_liPT6_PT4_
    .private_segment_fixed_size: 0
    .sgpr_count:     19
    .sgpr_spill_count: 0
    .symbol:         _ZL24rocblas_dot_kernel_magsqIiLb1ELi1024ELi32ELb0E19rocblas_complex_numIdEPKS1_S1_EviT5_lT_liPT6_PT4_.kd
    .uniform_work_group_size: 1
    .uses_dynamic_stack: false
    .vgpr_count:     16
    .vgpr_spill_count: 0
    .wavefront_size: 32
    .workgroup_processor_mode: 1
  - .args:
      - .offset:         0
        .size:           4
        .value_kind:     by_value
      - .actual_access:  read_only
        .address_space:  global
        .offset:         8
        .size:           8
        .value_kind:     global_buffer
      - .offset:         16
        .size:           8
        .value_kind:     by_value
      - .offset:         24
        .size:           4
        .value_kind:     by_value
      - .offset:         32
        .size:           8
        .value_kind:     by_value
      - .actual_access:  read_only
        .address_space:  global
        .offset:         40
        .size:           8
        .value_kind:     global_buffer
      - .offset:         48
        .size:           8
        .value_kind:     by_value
      - .offset:         56
        .size:           4
        .value_kind:     by_value
      - .offset:         64
        .size:           8
        .value_kind:     by_value
      - .actual_access:  read_only
        .address_space:  global
        .offset:         72
        .size:           8
        .value_kind:     global_buffer
      - .actual_access:  read_only
        .address_space:  global
        .offset:         80
        .size:           8
        .value_kind:     global_buffer
    .group_segment_fixed_size: 0
    .kernarg_segment_align: 8
    .kernarg_segment_size: 88
    .language:       OpenCL C
    .language_version:
      - 2
      - 0
    .max_flat_workgroup_size: 1024
    .name:           _ZL38rocblas_dot_kernel_gfx942_float_doubleIiLi1024E19rocblas_complex_numIdEPKS1_S1_EviT2_lT_lS4_lS5_lPT3_PT1_
    .private_segment_fixed_size: 0
    .sgpr_count:     0
    .sgpr_spill_count: 0
    .symbol:         _ZL38rocblas_dot_kernel_gfx942_float_doubleIiLi1024E19rocblas_complex_numIdEPKS1_S1_EviT2_lT_lS4_lS5_lPT3_PT1_.kd
    .uniform_work_group_size: 1
    .uses_dynamic_stack: false
    .vgpr_count:     0
    .vgpr_spill_count: 0
    .wavefront_size: 32
    .workgroup_processor_mode: 1
  - .args:
      - .offset:         0
        .size:           4
        .value_kind:     by_value
      - .actual_access:  read_only
        .address_space:  global
        .offset:         8
        .size:           8
        .value_kind:     global_buffer
      - .actual_access:  write_only
        .address_space:  global
        .offset:         16
        .size:           8
        .value_kind:     global_buffer
    .group_segment_fixed_size: 512
    .kernarg_segment_align: 8
    .kernarg_segment_size: 24
    .language:       OpenCL C
    .language_version:
      - 2
      - 0
    .max_flat_workgroup_size: 1024
    .name:           _ZL30rocblas_reduction_kernel_part2ILi1024ELi4E25rocblas_finalize_identity19rocblas_complex_numIdES2_EviPT2_PT3_
    .private_segment_fixed_size: 0
    .sgpr_count:     18
    .sgpr_spill_count: 0
    .symbol:         _ZL30rocblas_reduction_kernel_part2ILi1024ELi4E25rocblas_finalize_identity19rocblas_complex_numIdES2_EviPT2_PT3_.kd
    .uniform_work_group_size: 1
    .uses_dynamic_stack: false
    .vgpr_count:     24
    .vgpr_spill_count: 0
    .wavefront_size: 32
    .workgroup_processor_mode: 1
  - .args:
      - .offset:         0
        .size:           4
        .value_kind:     by_value
      - .actual_access:  read_only
        .address_space:  global
        .offset:         8
        .size:           8
        .value_kind:     global_buffer
      - .offset:         16
        .size:           8
        .value_kind:     by_value
      - .offset:         24
        .size:           8
        .value_kind:     by_value
      - .actual_access:  read_only
        .address_space:  global
        .offset:         32
        .size:           8
        .value_kind:     global_buffer
      - .offset:         40
        .size:           8
        .value_kind:     by_value
      - .offset:         48
        .size:           8
        .value_kind:     by_value
      - .offset:         56
        .size:           4
        .value_kind:     by_value
      - .actual_access:  write_only
        .address_space:  global
        .offset:         64
        .size:           8
        .value_kind:     global_buffer
      - .actual_access:  write_only
        .address_space:  global
        .offset:         72
        .size:           8
        .value_kind:     global_buffer
      - .offset:         80
        .size:           4
        .value_kind:     hidden_block_count_x
      - .offset:         84
        .size:           4
        .value_kind:     hidden_block_count_y
      - .offset:         88
        .size:           4
        .value_kind:     hidden_block_count_z
      - .offset:         92
        .size:           2
        .value_kind:     hidden_group_size_x
      - .offset:         94
        .size:           2
        .value_kind:     hidden_group_size_y
      - .offset:         96
        .size:           2
        .value_kind:     hidden_group_size_z
      - .offset:         98
        .size:           2
        .value_kind:     hidden_remainder_x
      - .offset:         100
        .size:           2
        .value_kind:     hidden_remainder_y
      - .offset:         102
        .size:           2
        .value_kind:     hidden_remainder_z
      - .offset:         120
        .size:           8
        .value_kind:     hidden_global_offset_x
      - .offset:         128
        .size:           8
        .value_kind:     hidden_global_offset_y
      - .offset:         136
        .size:           8
        .value_kind:     hidden_global_offset_z
      - .offset:         144
        .size:           2
        .value_kind:     hidden_grid_dims
    .group_segment_fixed_size: 512
    .kernarg_segment_align: 8
    .kernarg_segment_size: 336
    .language:       OpenCL C
    .language_version:
      - 2
      - 0
    .max_flat_workgroup_size: 512
    .name:           _ZL23rocblas_dot_kernel_inc1ILb0ELi512ELi2ELb0E19rocblas_complex_numIdEPKS1_S1_EviT4_llS4_lliPT5_PT3_
    .private_segment_fixed_size: 0
    .sgpr_count:     24
    .sgpr_spill_count: 0
    .symbol:         _ZL23rocblas_dot_kernel_inc1ILb0ELi512ELi2ELb0E19rocblas_complex_numIdEPKS1_S1_EviT4_llS4_lliPT5_PT3_.kd
    .uniform_work_group_size: 1
    .uses_dynamic_stack: false
    .vgpr_count:     15
    .vgpr_spill_count: 0
    .wavefront_size: 32
    .workgroup_processor_mode: 1
  - .args:
      - .offset:         0
        .size:           4
        .value_kind:     by_value
      - .actual_access:  read_only
        .address_space:  global
        .offset:         8
        .size:           8
        .value_kind:     global_buffer
      - .offset:         16
        .size:           8
        .value_kind:     by_value
      - .offset:         24
        .size:           4
        .value_kind:     by_value
      - .offset:         32
        .size:           8
        .value_kind:     by_value
      - .actual_access:  read_only
        .address_space:  global
        .offset:         40
        .size:           8
        .value_kind:     global_buffer
      - .offset:         48
        .size:           8
        .value_kind:     by_value
      - .offset:         56
        .size:           4
        .value_kind:     by_value
      - .offset:         64
        .size:           8
        .value_kind:     by_value
      - .offset:         72
        .size:           4
        .value_kind:     by_value
      - .actual_access:  write_only
        .address_space:  global
        .offset:         80
        .size:           8
        .value_kind:     global_buffer
      - .actual_access:  write_only
        .address_space:  global
        .offset:         88
        .size:           8
        .value_kind:     global_buffer
      - .offset:         96
        .size:           4
        .value_kind:     hidden_block_count_x
      - .offset:         100
        .size:           4
        .value_kind:     hidden_block_count_y
      - .offset:         104
        .size:           4
        .value_kind:     hidden_block_count_z
      - .offset:         108
        .size:           2
        .value_kind:     hidden_group_size_x
      - .offset:         110
        .size:           2
        .value_kind:     hidden_group_size_y
      - .offset:         112
        .size:           2
        .value_kind:     hidden_group_size_z
      - .offset:         114
        .size:           2
        .value_kind:     hidden_remainder_x
      - .offset:         116
        .size:           2
        .value_kind:     hidden_remainder_y
      - .offset:         118
        .size:           2
        .value_kind:     hidden_remainder_z
      - .offset:         136
        .size:           8
        .value_kind:     hidden_global_offset_x
      - .offset:         144
        .size:           8
        .value_kind:     hidden_global_offset_y
      - .offset:         152
        .size:           8
        .value_kind:     hidden_global_offset_z
      - .offset:         160
        .size:           2
        .value_kind:     hidden_grid_dims
    .group_segment_fixed_size: 512
    .kernarg_segment_align: 8
    .kernarg_segment_size: 352
    .language:       OpenCL C
    .language_version:
      - 2
      - 0
    .max_flat_workgroup_size: 512
    .name:           _ZL18rocblas_dot_kernelIiLb0ELi512ELi2ELb0E19rocblas_complex_numIdEPKS1_S1_EviT5_lT_lS4_lS5_liPT6_PT4_
    .private_segment_fixed_size: 0
    .sgpr_count:     26
    .sgpr_spill_count: 0
    .symbol:         _ZL18rocblas_dot_kernelIiLb0ELi512ELi2ELb0E19rocblas_complex_numIdEPKS1_S1_EviT5_lT_lS4_lS5_liPT6_PT4_.kd
    .uniform_work_group_size: 1
    .uses_dynamic_stack: false
    .vgpr_count:     15
    .vgpr_spill_count: 0
    .wavefront_size: 32
    .workgroup_processor_mode: 1
  - .args:
      - .offset:         0
        .size:           4
        .value_kind:     by_value
      - .actual_access:  read_only
        .address_space:  global
        .offset:         8
        .size:           8
        .value_kind:     global_buffer
      - .offset:         16
        .size:           8
        .value_kind:     by_value
      - .offset:         24
        .size:           4
        .value_kind:     by_value
      - .offset:         32
        .size:           8
        .value_kind:     by_value
      - .offset:         40
        .size:           4
        .value_kind:     by_value
      - .actual_access:  write_only
        .address_space:  global
        .offset:         48
        .size:           8
        .value_kind:     global_buffer
      - .actual_access:  write_only
        .address_space:  global
        .offset:         56
        .size:           8
        .value_kind:     global_buffer
      - .offset:         64
        .size:           4
        .value_kind:     hidden_block_count_x
      - .offset:         68
        .size:           4
        .value_kind:     hidden_block_count_y
      - .offset:         72
        .size:           4
        .value_kind:     hidden_block_count_z
      - .offset:         76
        .size:           2
        .value_kind:     hidden_group_size_x
      - .offset:         78
        .size:           2
        .value_kind:     hidden_group_size_y
      - .offset:         80
        .size:           2
        .value_kind:     hidden_group_size_z
      - .offset:         82
        .size:           2
        .value_kind:     hidden_remainder_x
      - .offset:         84
        .size:           2
        .value_kind:     hidden_remainder_y
      - .offset:         86
        .size:           2
        .value_kind:     hidden_remainder_z
      - .offset:         104
        .size:           8
        .value_kind:     hidden_global_offset_x
      - .offset:         112
        .size:           8
        .value_kind:     hidden_global_offset_y
      - .offset:         120
        .size:           8
        .value_kind:     hidden_global_offset_z
      - .offset:         128
        .size:           2
        .value_kind:     hidden_grid_dims
    .group_segment_fixed_size: 512
    .kernarg_segment_align: 8
    .kernarg_segment_size: 320
    .language:       OpenCL C
    .language_version:
      - 2
      - 0
    .max_flat_workgroup_size: 512
    .name:           _ZL24rocblas_dot_kernel_magsqIiLb0ELi512ELi2ELb0E19rocblas_complex_numIdEPKS1_S1_EviT5_lT_liPT6_PT4_
    .private_segment_fixed_size: 0
    .sgpr_count:     18
    .sgpr_spill_count: 0
    .symbol:         _ZL24rocblas_dot_kernel_magsqIiLb0ELi512ELi2ELb0E19rocblas_complex_numIdEPKS1_S1_EviT5_lT_liPT6_PT4_.kd
    .uniform_work_group_size: 1
    .uses_dynamic_stack: false
    .vgpr_count:     15
    .vgpr_spill_count: 0
    .wavefront_size: 32
    .workgroup_processor_mode: 1
  - .args:
      - .offset:         0
        .size:           4
        .value_kind:     by_value
      - .actual_access:  read_only
        .address_space:  global
        .offset:         8
        .size:           8
        .value_kind:     global_buffer
      - .actual_access:  write_only
        .address_space:  global
        .offset:         16
        .size:           8
        .value_kind:     global_buffer
    .group_segment_fixed_size: 512
    .kernarg_segment_align: 8
    .kernarg_segment_size: 24
    .language:       OpenCL C
    .language_version:
      - 2
      - 0
    .max_flat_workgroup_size: 512
    .name:           _ZL30rocblas_reduction_kernel_part2ILi512ELi2E25rocblas_finalize_identity19rocblas_complex_numIdES2_EviPT2_PT3_
    .private_segment_fixed_size: 0
    .sgpr_count:     18
    .sgpr_spill_count: 0
    .symbol:         _ZL30rocblas_reduction_kernel_part2ILi512ELi2E25rocblas_finalize_identity19rocblas_complex_numIdES2_EviPT2_PT3_.kd
    .uniform_work_group_size: 1
    .uses_dynamic_stack: false
    .vgpr_count:     16
    .vgpr_spill_count: 0
    .wavefront_size: 32
    .workgroup_processor_mode: 1
  - .args:
      - .offset:         0
        .size:           4
        .value_kind:     by_value
      - .actual_access:  read_only
        .address_space:  global
        .offset:         8
        .size:           8
        .value_kind:     global_buffer
      - .offset:         16
        .size:           8
        .value_kind:     by_value
      - .offset:         24
        .size:           8
        .value_kind:     by_value
      - .offset:         32
        .size:           8
        .value_kind:     by_value
      - .actual_access:  read_only
        .address_space:  global
        .offset:         40
        .size:           8
        .value_kind:     global_buffer
      - .offset:         48
        .size:           8
        .value_kind:     by_value
      - .offset:         56
        .size:           8
        .value_kind:     by_value
      - .offset:         64
        .size:           8
        .value_kind:     by_value
      - .offset:         72
        .size:           4
        .value_kind:     by_value
      - .actual_access:  write_only
        .address_space:  global
        .offset:         80
        .size:           8
        .value_kind:     global_buffer
    .group_segment_fixed_size: 0
    .kernarg_segment_align: 8
    .kernarg_segment_size: 88
    .language:       OpenCL C
    .language_version:
      - 2
      - 0
    .max_flat_workgroup_size: 128
    .name:           _ZL28rocblas_dot_batched_4_kernelIlLi32ELi4ELb0E19rocblas_complex_numIdES1_PKS1_EviT5_lT_lS4_lS5_liPT4_
    .private_segment_fixed_size: 0
    .sgpr_count:     22
    .sgpr_spill_count: 0
    .symbol:         _ZL28rocblas_dot_batched_4_kernelIlLi32ELi4ELb0E19rocblas_complex_numIdES1_PKS1_EviT5_lT_lS4_lS5_liPT4_.kd
    .uniform_work_group_size: 1
    .uses_dynamic_stack: false
    .vgpr_count:     22
    .vgpr_spill_count: 0
    .wavefront_size: 32
    .workgroup_processor_mode: 1
  - .args:
      - .offset:         0
        .size:           4
        .value_kind:     by_value
      - .actual_access:  read_only
        .address_space:  global
        .offset:         8
        .size:           8
        .value_kind:     global_buffer
      - .offset:         16
        .size:           8
        .value_kind:     by_value
      - .offset:         24
        .size:           8
        .value_kind:     by_value
      - .offset:         32
        .size:           8
        .value_kind:     by_value
      - .actual_access:  read_only
        .address_space:  global
        .offset:         40
        .size:           8
        .value_kind:     global_buffer
      - .offset:         48
        .size:           8
        .value_kind:     by_value
      - .offset:         56
        .size:           8
        .value_kind:     by_value
      - .offset:         64
        .size:           8
        .value_kind:     by_value
      - .offset:         72
        .size:           4
        .value_kind:     by_value
      - .actual_access:  write_only
        .address_space:  global
        .offset:         80
        .size:           8
        .value_kind:     global_buffer
    .group_segment_fixed_size: 0
    .kernarg_segment_align: 8
    .kernarg_segment_size: 88
    .language:       OpenCL C
    .language_version:
      - 2
      - 0
    .max_flat_workgroup_size: 256
    .name:           _ZL28rocblas_dot_batched_4_kernelIlLi64ELi4ELb0E19rocblas_complex_numIdES1_PKS1_EviT5_lT_lS4_lS5_liPT4_
    .private_segment_fixed_size: 0
    .sgpr_count:     22
    .sgpr_spill_count: 0
    .symbol:         _ZL28rocblas_dot_batched_4_kernelIlLi64ELi4ELb0E19rocblas_complex_numIdES1_PKS1_EviT5_lT_lS4_lS5_liPT4_.kd
    .uniform_work_group_size: 1
    .uses_dynamic_stack: false
    .vgpr_count:     22
    .vgpr_spill_count: 0
    .wavefront_size: 32
    .workgroup_processor_mode: 1
  - .args:
      - .offset:         0
        .size:           4
        .value_kind:     by_value
      - .actual_access:  read_only
        .address_space:  global
        .offset:         8
        .size:           8
        .value_kind:     global_buffer
      - .offset:         16
        .size:           8
        .value_kind:     by_value
      - .offset:         24
        .size:           8
        .value_kind:     by_value
      - .offset:         32
        .size:           8
        .value_kind:     by_value
      - .actual_access:  read_only
        .address_space:  global
        .offset:         40
        .size:           8
        .value_kind:     global_buffer
      - .offset:         48
        .size:           8
        .value_kind:     by_value
      - .offset:         56
        .size:           8
        .value_kind:     by_value
      - .offset:         64
        .size:           8
        .value_kind:     by_value
      - .offset:         72
        .size:           4
        .value_kind:     by_value
      - .actual_access:  read_only
        .address_space:  global
        .offset:         80
        .size:           8
        .value_kind:     global_buffer
      - .actual_access:  write_only
        .address_space:  global
        .offset:         88
        .size:           8
        .value_kind:     global_buffer
      - .offset:         96
        .size:           4
        .value_kind:     hidden_block_count_x
      - .offset:         100
        .size:           4
        .value_kind:     hidden_block_count_y
      - .offset:         104
        .size:           4
        .value_kind:     hidden_block_count_z
      - .offset:         108
        .size:           2
        .value_kind:     hidden_group_size_x
      - .offset:         110
        .size:           2
        .value_kind:     hidden_group_size_y
      - .offset:         112
        .size:           2
        .value_kind:     hidden_group_size_z
      - .offset:         114
        .size:           2
        .value_kind:     hidden_remainder_x
      - .offset:         116
        .size:           2
        .value_kind:     hidden_remainder_y
      - .offset:         118
        .size:           2
        .value_kind:     hidden_remainder_z
      - .offset:         136
        .size:           8
        .value_kind:     hidden_global_offset_x
      - .offset:         144
        .size:           8
        .value_kind:     hidden_global_offset_y
      - .offset:         152
        .size:           8
        .value_kind:     hidden_global_offset_z
      - .offset:         160
        .size:           2
        .value_kind:     hidden_grid_dims
    .group_segment_fixed_size: 512
    .kernarg_segment_align: 8
    .kernarg_segment_size: 352
    .language:       OpenCL C
    .language_version:
      - 2
      - 0
    .max_flat_workgroup_size: 1024
    .name:           _ZL18rocblas_dot_kernelIlLb1ELi1024ELi32ELb0E19rocblas_complex_numIdEPKS1_S1_EviT5_lT_lS4_lS5_liPT6_PT4_
    .private_segment_fixed_size: 0
    .sgpr_count:     29
    .sgpr_spill_count: 0
    .symbol:         _ZL18rocblas_dot_kernelIlLb1ELi1024ELi32ELb0E19rocblas_complex_numIdEPKS1_S1_EviT5_lT_lS4_lS5_liPT6_PT4_.kd
    .uniform_work_group_size: 1
    .uses_dynamic_stack: false
    .vgpr_count:     20
    .vgpr_spill_count: 0
    .wavefront_size: 32
    .workgroup_processor_mode: 1
  - .args:
      - .offset:         0
        .size:           4
        .value_kind:     by_value
      - .actual_access:  read_only
        .address_space:  global
        .offset:         8
        .size:           8
        .value_kind:     global_buffer
      - .offset:         16
        .size:           8
        .value_kind:     by_value
      - .offset:         24
        .size:           8
        .value_kind:     by_value
      - .offset:         32
        .size:           8
        .value_kind:     by_value
      - .offset:         40
        .size:           4
        .value_kind:     by_value
      - .actual_access:  read_only
        .address_space:  global
        .offset:         48
        .size:           8
        .value_kind:     global_buffer
      - .actual_access:  write_only
        .address_space:  global
        .offset:         56
        .size:           8
        .value_kind:     global_buffer
      - .offset:         64
        .size:           4
        .value_kind:     hidden_block_count_x
      - .offset:         68
        .size:           4
        .value_kind:     hidden_block_count_y
      - .offset:         72
        .size:           4
        .value_kind:     hidden_block_count_z
      - .offset:         76
        .size:           2
        .value_kind:     hidden_group_size_x
      - .offset:         78
        .size:           2
        .value_kind:     hidden_group_size_y
      - .offset:         80
        .size:           2
        .value_kind:     hidden_group_size_z
      - .offset:         82
        .size:           2
        .value_kind:     hidden_remainder_x
      - .offset:         84
        .size:           2
        .value_kind:     hidden_remainder_y
      - .offset:         86
        .size:           2
        .value_kind:     hidden_remainder_z
      - .offset:         104
        .size:           8
        .value_kind:     hidden_global_offset_x
      - .offset:         112
        .size:           8
        .value_kind:     hidden_global_offset_y
      - .offset:         120
        .size:           8
        .value_kind:     hidden_global_offset_z
      - .offset:         128
        .size:           2
        .value_kind:     hidden_grid_dims
    .group_segment_fixed_size: 512
    .kernarg_segment_align: 8
    .kernarg_segment_size: 320
    .language:       OpenCL C
    .language_version:
      - 2
      - 0
    .max_flat_workgroup_size: 1024
    .name:           _ZL24rocblas_dot_kernel_magsqIlLb1ELi1024ELi32ELb0E19rocblas_complex_numIdEPKS1_S1_EviT5_lT_liPT6_PT4_
    .private_segment_fixed_size: 0
    .sgpr_count:     19
    .sgpr_spill_count: 0
    .symbol:         _ZL24rocblas_dot_kernel_magsqIlLb1ELi1024ELi32ELb0E19rocblas_complex_numIdEPKS1_S1_EviT5_lT_liPT6_PT4_.kd
    .uniform_work_group_size: 1
    .uses_dynamic_stack: false
    .vgpr_count:     16
    .vgpr_spill_count: 0
    .wavefront_size: 32
    .workgroup_processor_mode: 1
  - .args:
      - .offset:         0
        .size:           4
        .value_kind:     by_value
      - .actual_access:  read_only
        .address_space:  global
        .offset:         8
        .size:           8
        .value_kind:     global_buffer
      - .offset:         16
        .size:           8
        .value_kind:     by_value
      - .offset:         24
        .size:           8
        .value_kind:     by_value
      - .offset:         32
        .size:           8
        .value_kind:     by_value
      - .actual_access:  read_only
        .address_space:  global
        .offset:         40
        .size:           8
        .value_kind:     global_buffer
      - .offset:         48
        .size:           8
        .value_kind:     by_value
      - .offset:         56
        .size:           8
        .value_kind:     by_value
      - .offset:         64
        .size:           8
        .value_kind:     by_value
      - .actual_access:  read_only
        .address_space:  global
        .offset:         72
        .size:           8
        .value_kind:     global_buffer
      - .actual_access:  read_only
        .address_space:  global
        .offset:         80
        .size:           8
        .value_kind:     global_buffer
    .group_segment_fixed_size: 0
    .kernarg_segment_align: 8
    .kernarg_segment_size: 88
    .language:       OpenCL C
    .language_version:
      - 2
      - 0
    .max_flat_workgroup_size: 1024
    .name:           _ZL38rocblas_dot_kernel_gfx942_float_doubleIlLi1024E19rocblas_complex_numIdEPKS1_S1_EviT2_lT_lS4_lS5_lPT3_PT1_
    .private_segment_fixed_size: 0
    .sgpr_count:     0
    .sgpr_spill_count: 0
    .symbol:         _ZL38rocblas_dot_kernel_gfx942_float_doubleIlLi1024E19rocblas_complex_numIdEPKS1_S1_EviT2_lT_lS4_lS5_lPT3_PT1_.kd
    .uniform_work_group_size: 1
    .uses_dynamic_stack: false
    .vgpr_count:     0
    .vgpr_spill_count: 0
    .wavefront_size: 32
    .workgroup_processor_mode: 1
  - .args:
      - .offset:         0
        .size:           4
        .value_kind:     by_value
      - .actual_access:  read_only
        .address_space:  global
        .offset:         8
        .size:           8
        .value_kind:     global_buffer
      - .offset:         16
        .size:           8
        .value_kind:     by_value
      - .offset:         24
        .size:           8
        .value_kind:     by_value
      - .offset:         32
        .size:           8
        .value_kind:     by_value
      - .actual_access:  read_only
        .address_space:  global
        .offset:         40
        .size:           8
        .value_kind:     global_buffer
      - .offset:         48
        .size:           8
        .value_kind:     by_value
      - .offset:         56
        .size:           8
        .value_kind:     by_value
      - .offset:         64
        .size:           8
        .value_kind:     by_value
      - .offset:         72
        .size:           4
        .value_kind:     by_value
      - .actual_access:  write_only
        .address_space:  global
        .offset:         80
        .size:           8
        .value_kind:     global_buffer
      - .actual_access:  write_only
        .address_space:  global
        .offset:         88
        .size:           8
        .value_kind:     global_buffer
      - .offset:         96
        .size:           4
        .value_kind:     hidden_block_count_x
      - .offset:         100
        .size:           4
        .value_kind:     hidden_block_count_y
      - .offset:         104
        .size:           4
        .value_kind:     hidden_block_count_z
      - .offset:         108
        .size:           2
        .value_kind:     hidden_group_size_x
      - .offset:         110
        .size:           2
        .value_kind:     hidden_group_size_y
      - .offset:         112
        .size:           2
        .value_kind:     hidden_group_size_z
      - .offset:         114
        .size:           2
        .value_kind:     hidden_remainder_x
      - .offset:         116
        .size:           2
        .value_kind:     hidden_remainder_y
      - .offset:         118
        .size:           2
        .value_kind:     hidden_remainder_z
      - .offset:         136
        .size:           8
        .value_kind:     hidden_global_offset_x
      - .offset:         144
        .size:           8
        .value_kind:     hidden_global_offset_y
      - .offset:         152
        .size:           8
        .value_kind:     hidden_global_offset_z
      - .offset:         160
        .size:           2
        .value_kind:     hidden_grid_dims
    .group_segment_fixed_size: 512
    .kernarg_segment_align: 8
    .kernarg_segment_size: 352
    .language:       OpenCL C
    .language_version:
      - 2
      - 0
    .max_flat_workgroup_size: 512
    .name:           _ZL18rocblas_dot_kernelIlLb0ELi512ELi2ELb0E19rocblas_complex_numIdEPKS1_S1_EviT5_lT_lS4_lS5_liPT6_PT4_
    .private_segment_fixed_size: 0
    .sgpr_count:     28
    .sgpr_spill_count: 0
    .symbol:         _ZL18rocblas_dot_kernelIlLb0ELi512ELi2ELb0E19rocblas_complex_numIdEPKS1_S1_EviT5_lT_lS4_lS5_liPT6_PT4_.kd
    .uniform_work_group_size: 1
    .uses_dynamic_stack: false
    .vgpr_count:     15
    .vgpr_spill_count: 0
    .wavefront_size: 32
    .workgroup_processor_mode: 1
  - .args:
      - .offset:         0
        .size:           4
        .value_kind:     by_value
      - .actual_access:  read_only
        .address_space:  global
        .offset:         8
        .size:           8
        .value_kind:     global_buffer
      - .offset:         16
        .size:           8
        .value_kind:     by_value
      - .offset:         24
        .size:           8
        .value_kind:     by_value
      - .offset:         32
        .size:           8
        .value_kind:     by_value
      - .offset:         40
        .size:           4
        .value_kind:     by_value
      - .actual_access:  write_only
        .address_space:  global
        .offset:         48
        .size:           8
        .value_kind:     global_buffer
      - .actual_access:  write_only
        .address_space:  global
        .offset:         56
        .size:           8
        .value_kind:     global_buffer
      - .offset:         64
        .size:           4
        .value_kind:     hidden_block_count_x
      - .offset:         68
        .size:           4
        .value_kind:     hidden_block_count_y
      - .offset:         72
        .size:           4
        .value_kind:     hidden_block_count_z
      - .offset:         76
        .size:           2
        .value_kind:     hidden_group_size_x
      - .offset:         78
        .size:           2
        .value_kind:     hidden_group_size_y
      - .offset:         80
        .size:           2
        .value_kind:     hidden_group_size_z
      - .offset:         82
        .size:           2
        .value_kind:     hidden_remainder_x
      - .offset:         84
        .size:           2
        .value_kind:     hidden_remainder_y
      - .offset:         86
        .size:           2
        .value_kind:     hidden_remainder_z
      - .offset:         104
        .size:           8
        .value_kind:     hidden_global_offset_x
      - .offset:         112
        .size:           8
        .value_kind:     hidden_global_offset_y
      - .offset:         120
        .size:           8
        .value_kind:     hidden_global_offset_z
      - .offset:         128
        .size:           2
        .value_kind:     hidden_grid_dims
    .group_segment_fixed_size: 512
    .kernarg_segment_align: 8
    .kernarg_segment_size: 320
    .language:       OpenCL C
    .language_version:
      - 2
      - 0
    .max_flat_workgroup_size: 512
    .name:           _ZL24rocblas_dot_kernel_magsqIlLb0ELi512ELi2ELb0E19rocblas_complex_numIdEPKS1_S1_EviT5_lT_liPT6_PT4_
    .private_segment_fixed_size: 0
    .sgpr_count:     20
    .sgpr_spill_count: 0
    .symbol:         _ZL24rocblas_dot_kernel_magsqIlLb0ELi512ELi2ELb0E19rocblas_complex_numIdEPKS1_S1_EviT5_lT_liPT6_PT4_.kd
    .uniform_work_group_size: 1
    .uses_dynamic_stack: false
    .vgpr_count:     15
    .vgpr_spill_count: 0
    .wavefront_size: 32
    .workgroup_processor_mode: 1
  - .args:
      - .offset:         0
        .size:           4
        .value_kind:     by_value
      - .actual_access:  read_only
        .address_space:  global
        .offset:         8
        .size:           8
        .value_kind:     global_buffer
      - .offset:         16
        .size:           8
        .value_kind:     by_value
      - .offset:         24
        .size:           4
        .value_kind:     by_value
      - .offset:         32
        .size:           8
        .value_kind:     by_value
      - .actual_access:  read_only
        .address_space:  global
        .offset:         40
        .size:           8
        .value_kind:     global_buffer
      - .offset:         48
        .size:           8
        .value_kind:     by_value
      - .offset:         56
        .size:           4
        .value_kind:     by_value
      - .offset:         64
        .size:           8
        .value_kind:     by_value
      - .offset:         72
        .size:           4
        .value_kind:     by_value
      - .actual_access:  write_only
        .address_space:  global
        .offset:         80
        .size:           8
        .value_kind:     global_buffer
    .group_segment_fixed_size: 0
    .kernarg_segment_align: 8
    .kernarg_segment_size: 88
    .language:       OpenCL C
    .language_version:
      - 2
      - 0
    .max_flat_workgroup_size: 128
    .name:           _ZL28rocblas_dot_batched_4_kernelIiLi32ELi4ELb1E19rocblas_complex_numIfES1_PKS1_EviT5_lT_lS4_lS5_liPT4_
    .private_segment_fixed_size: 0
    .sgpr_count:     22
    .sgpr_spill_count: 0
    .symbol:         _ZL28rocblas_dot_batched_4_kernelIiLi32ELi4ELb1E19rocblas_complex_numIfES1_PKS1_EviT5_lT_lS4_lS5_liPT4_.kd
    .uniform_work_group_size: 1
    .uses_dynamic_stack: false
    .vgpr_count:     16
    .vgpr_spill_count: 0
    .wavefront_size: 32
    .workgroup_processor_mode: 1
  - .args:
      - .offset:         0
        .size:           4
        .value_kind:     by_value
      - .actual_access:  read_only
        .address_space:  global
        .offset:         8
        .size:           8
        .value_kind:     global_buffer
      - .offset:         16
        .size:           8
        .value_kind:     by_value
      - .offset:         24
        .size:           4
        .value_kind:     by_value
      - .offset:         32
        .size:           8
        .value_kind:     by_value
      - .actual_access:  read_only
        .address_space:  global
        .offset:         40
        .size:           8
        .value_kind:     global_buffer
      - .offset:         48
        .size:           8
        .value_kind:     by_value
      - .offset:         56
        .size:           4
        .value_kind:     by_value
      - .offset:         64
        .size:           8
        .value_kind:     by_value
      - .offset:         72
        .size:           4
        .value_kind:     by_value
      - .actual_access:  write_only
        .address_space:  global
        .offset:         80
        .size:           8
        .value_kind:     global_buffer
    .group_segment_fixed_size: 0
    .kernarg_segment_align: 8
    .kernarg_segment_size: 88
    .language:       OpenCL C
    .language_version:
      - 2
      - 0
    .max_flat_workgroup_size: 256
    .name:           _ZL28rocblas_dot_batched_4_kernelIiLi64ELi4ELb1E19rocblas_complex_numIfES1_PKS1_EviT5_lT_lS4_lS5_liPT4_
    .private_segment_fixed_size: 0
    .sgpr_count:     22
    .sgpr_spill_count: 0
    .symbol:         _ZL28rocblas_dot_batched_4_kernelIiLi64ELi4ELb1E19rocblas_complex_numIfES1_PKS1_EviT5_lT_lS4_lS5_liPT4_.kd
    .uniform_work_group_size: 1
    .uses_dynamic_stack: false
    .vgpr_count:     15
    .vgpr_spill_count: 0
    .wavefront_size: 32
    .workgroup_processor_mode: 1
  - .args:
      - .offset:         0
        .size:           4
        .value_kind:     by_value
      - .actual_access:  read_only
        .address_space:  global
        .offset:         8
        .size:           8
        .value_kind:     global_buffer
      - .offset:         16
        .size:           8
        .value_kind:     by_value
      - .offset:         24
        .size:           8
        .value_kind:     by_value
      - .actual_access:  read_only
        .address_space:  global
        .offset:         32
        .size:           8
        .value_kind:     global_buffer
      - .offset:         40
        .size:           8
        .value_kind:     by_value
      - .offset:         48
        .size:           8
        .value_kind:     by_value
      - .offset:         56
        .size:           4
        .value_kind:     by_value
      - .actual_access:  read_only
        .address_space:  global
        .offset:         64
        .size:           8
        .value_kind:     global_buffer
      - .actual_access:  write_only
        .address_space:  global
        .offset:         72
        .size:           8
        .value_kind:     global_buffer
    .group_segment_fixed_size: 256
    .kernarg_segment_align: 8
    .kernarg_segment_size: 80
    .language:       OpenCL C
    .language_version:
      - 2
      - 0
    .max_flat_workgroup_size: 1024
    .name:           _ZL26rocblas_dot_kernel_inc1by2ILb1ELi1024ELi32ELb1E19rocblas_complex_numIfEPKS1_S1_EviT4_llS4_lliPT5_PT3_
    .private_segment_fixed_size: 0
    .sgpr_count:     21
    .sgpr_spill_count: 0
    .symbol:         _ZL26rocblas_dot_kernel_inc1by2ILb1ELi1024ELi32ELb1E19rocblas_complex_numIfEPKS1_S1_EviT4_llS4_lliPT5_PT3_.kd
    .uniform_work_group_size: 1
    .uses_dynamic_stack: false
    .vgpr_count:     13
    .vgpr_spill_count: 0
    .wavefront_size: 32
    .workgroup_processor_mode: 1
  - .args:
      - .offset:         0
        .size:           4
        .value_kind:     by_value
      - .actual_access:  read_only
        .address_space:  global
        .offset:         8
        .size:           8
        .value_kind:     global_buffer
      - .offset:         16
        .size:           8
        .value_kind:     by_value
      - .offset:         24
        .size:           4
        .value_kind:     by_value
      - .offset:         32
        .size:           8
        .value_kind:     by_value
      - .actual_access:  read_only
        .address_space:  global
        .offset:         40
        .size:           8
        .value_kind:     global_buffer
      - .offset:         48
        .size:           8
        .value_kind:     by_value
      - .offset:         56
        .size:           4
        .value_kind:     by_value
      - .offset:         64
        .size:           8
        .value_kind:     by_value
      - .offset:         72
        .size:           4
        .value_kind:     by_value
      - .actual_access:  read_only
        .address_space:  global
        .offset:         80
        .size:           8
        .value_kind:     global_buffer
      - .actual_access:  write_only
        .address_space:  global
        .offset:         88
        .size:           8
        .value_kind:     global_buffer
      - .offset:         96
        .size:           4
        .value_kind:     hidden_block_count_x
      - .offset:         100
        .size:           4
        .value_kind:     hidden_block_count_y
      - .offset:         104
        .size:           4
        .value_kind:     hidden_block_count_z
      - .offset:         108
        .size:           2
        .value_kind:     hidden_group_size_x
      - .offset:         110
        .size:           2
        .value_kind:     hidden_group_size_y
      - .offset:         112
        .size:           2
        .value_kind:     hidden_group_size_z
      - .offset:         114
        .size:           2
        .value_kind:     hidden_remainder_x
      - .offset:         116
        .size:           2
        .value_kind:     hidden_remainder_y
      - .offset:         118
        .size:           2
        .value_kind:     hidden_remainder_z
      - .offset:         136
        .size:           8
        .value_kind:     hidden_global_offset_x
      - .offset:         144
        .size:           8
        .value_kind:     hidden_global_offset_y
      - .offset:         152
        .size:           8
        .value_kind:     hidden_global_offset_z
      - .offset:         160
        .size:           2
        .value_kind:     hidden_grid_dims
    .group_segment_fixed_size: 256
    .kernarg_segment_align: 8
    .kernarg_segment_size: 352
    .language:       OpenCL C
    .language_version:
      - 2
      - 0
    .max_flat_workgroup_size: 1024
    .name:           _ZL18rocblas_dot_kernelIiLb1ELi1024ELi32ELb1E19rocblas_complex_numIfEPKS1_S1_EviT5_lT_lS4_lS5_liPT6_PT4_
    .private_segment_fixed_size: 0
    .sgpr_count:     27
    .sgpr_spill_count: 0
    .symbol:         _ZL18rocblas_dot_kernelIiLb1ELi1024ELi32ELb1E19rocblas_complex_numIfEPKS1_S1_EviT5_lT_lS4_lS5_liPT6_PT4_.kd
    .uniform_work_group_size: 1
    .uses_dynamic_stack: false
    .vgpr_count:     13
    .vgpr_spill_count: 0
    .wavefront_size: 32
    .workgroup_processor_mode: 1
  - .args:
      - .offset:         0
        .size:           4
        .value_kind:     by_value
      - .actual_access:  read_only
        .address_space:  global
        .offset:         8
        .size:           8
        .value_kind:     global_buffer
      - .offset:         16
        .size:           8
        .value_kind:     by_value
      - .offset:         24
        .size:           4
        .value_kind:     by_value
      - .offset:         32
        .size:           8
        .value_kind:     by_value
      - .offset:         40
        .size:           4
        .value_kind:     by_value
      - .actual_access:  read_only
        .address_space:  global
        .offset:         48
        .size:           8
        .value_kind:     global_buffer
      - .actual_access:  write_only
        .address_space:  global
        .offset:         56
        .size:           8
        .value_kind:     global_buffer
      - .offset:         64
        .size:           4
        .value_kind:     hidden_block_count_x
      - .offset:         68
        .size:           4
        .value_kind:     hidden_block_count_y
      - .offset:         72
        .size:           4
        .value_kind:     hidden_block_count_z
      - .offset:         76
        .size:           2
        .value_kind:     hidden_group_size_x
      - .offset:         78
        .size:           2
        .value_kind:     hidden_group_size_y
      - .offset:         80
        .size:           2
        .value_kind:     hidden_group_size_z
      - .offset:         82
        .size:           2
        .value_kind:     hidden_remainder_x
      - .offset:         84
        .size:           2
        .value_kind:     hidden_remainder_y
      - .offset:         86
        .size:           2
        .value_kind:     hidden_remainder_z
      - .offset:         104
        .size:           8
        .value_kind:     hidden_global_offset_x
      - .offset:         112
        .size:           8
        .value_kind:     hidden_global_offset_y
      - .offset:         120
        .size:           8
        .value_kind:     hidden_global_offset_z
      - .offset:         128
        .size:           2
        .value_kind:     hidden_grid_dims
    .group_segment_fixed_size: 256
    .kernarg_segment_align: 8
    .kernarg_segment_size: 320
    .language:       OpenCL C
    .language_version:
      - 2
      - 0
    .max_flat_workgroup_size: 1024
    .name:           _ZL24rocblas_dot_kernel_magsqIiLb1ELi1024ELi32ELb1E19rocblas_complex_numIfEPKS1_S1_EviT5_lT_liPT6_PT4_
    .private_segment_fixed_size: 0
    .sgpr_count:     19
    .sgpr_spill_count: 0
    .symbol:         _ZL24rocblas_dot_kernel_magsqIiLb1ELi1024ELi32ELb1E19rocblas_complex_numIfEPKS1_S1_EviT5_lT_liPT6_PT4_.kd
    .uniform_work_group_size: 1
    .uses_dynamic_stack: false
    .vgpr_count:     13
    .vgpr_spill_count: 0
    .wavefront_size: 32
    .workgroup_processor_mode: 1
  - .args:
      - .offset:         0
        .size:           4
        .value_kind:     by_value
      - .actual_access:  read_only
        .address_space:  global
        .offset:         8
        .size:           8
        .value_kind:     global_buffer
      - .offset:         16
        .size:           8
        .value_kind:     by_value
      - .offset:         24
        .size:           8
        .value_kind:     by_value
      - .actual_access:  read_only
        .address_space:  global
        .offset:         32
        .size:           8
        .value_kind:     global_buffer
      - .offset:         40
        .size:           8
        .value_kind:     by_value
      - .offset:         48
        .size:           8
        .value_kind:     by_value
      - .offset:         56
        .size:           4
        .value_kind:     by_value
      - .actual_access:  write_only
        .address_space:  global
        .offset:         64
        .size:           8
        .value_kind:     global_buffer
      - .actual_access:  write_only
        .address_space:  global
        .offset:         72
        .size:           8
        .value_kind:     global_buffer
      - .offset:         80
        .size:           4
        .value_kind:     hidden_block_count_x
      - .offset:         84
        .size:           4
        .value_kind:     hidden_block_count_y
      - .offset:         88
        .size:           4
        .value_kind:     hidden_block_count_z
      - .offset:         92
        .size:           2
        .value_kind:     hidden_group_size_x
      - .offset:         94
        .size:           2
        .value_kind:     hidden_group_size_y
      - .offset:         96
        .size:           2
        .value_kind:     hidden_group_size_z
      - .offset:         98
        .size:           2
        .value_kind:     hidden_remainder_x
      - .offset:         100
        .size:           2
        .value_kind:     hidden_remainder_y
      - .offset:         102
        .size:           2
        .value_kind:     hidden_remainder_z
      - .offset:         120
        .size:           8
        .value_kind:     hidden_global_offset_x
      - .offset:         128
        .size:           8
        .value_kind:     hidden_global_offset_y
      - .offset:         136
        .size:           8
        .value_kind:     hidden_global_offset_z
      - .offset:         144
        .size:           2
        .value_kind:     hidden_grid_dims
    .group_segment_fixed_size: 256
    .kernarg_segment_align: 8
    .kernarg_segment_size: 336
    .language:       OpenCL C
    .language_version:
      - 2
      - 0
    .max_flat_workgroup_size: 512
    .name:           _ZL23rocblas_dot_kernel_inc1ILb0ELi512ELi2ELb1E19rocblas_complex_numIfEPKS1_S1_EviT4_llS4_lliPT5_PT3_
    .private_segment_fixed_size: 0
    .sgpr_count:     24
    .sgpr_spill_count: 0
    .symbol:         _ZL23rocblas_dot_kernel_inc1ILb0ELi512ELi2ELb1E19rocblas_complex_numIfEPKS1_S1_EviT4_llS4_lliPT5_PT3_.kd
    .uniform_work_group_size: 1
    .uses_dynamic_stack: false
    .vgpr_count:     12
    .vgpr_spill_count: 0
    .wavefront_size: 32
    .workgroup_processor_mode: 1
  - .args:
      - .offset:         0
        .size:           4
        .value_kind:     by_value
      - .actual_access:  read_only
        .address_space:  global
        .offset:         8
        .size:           8
        .value_kind:     global_buffer
      - .offset:         16
        .size:           8
        .value_kind:     by_value
      - .offset:         24
        .size:           4
        .value_kind:     by_value
      - .offset:         32
        .size:           8
        .value_kind:     by_value
      - .actual_access:  read_only
        .address_space:  global
        .offset:         40
        .size:           8
        .value_kind:     global_buffer
      - .offset:         48
        .size:           8
        .value_kind:     by_value
      - .offset:         56
        .size:           4
        .value_kind:     by_value
      - .offset:         64
        .size:           8
        .value_kind:     by_value
      - .offset:         72
        .size:           4
        .value_kind:     by_value
      - .actual_access:  write_only
        .address_space:  global
        .offset:         80
        .size:           8
        .value_kind:     global_buffer
      - .actual_access:  write_only
        .address_space:  global
        .offset:         88
        .size:           8
        .value_kind:     global_buffer
      - .offset:         96
        .size:           4
        .value_kind:     hidden_block_count_x
      - .offset:         100
        .size:           4
        .value_kind:     hidden_block_count_y
      - .offset:         104
        .size:           4
        .value_kind:     hidden_block_count_z
      - .offset:         108
        .size:           2
        .value_kind:     hidden_group_size_x
      - .offset:         110
        .size:           2
        .value_kind:     hidden_group_size_y
      - .offset:         112
        .size:           2
        .value_kind:     hidden_group_size_z
      - .offset:         114
        .size:           2
        .value_kind:     hidden_remainder_x
      - .offset:         116
        .size:           2
        .value_kind:     hidden_remainder_y
      - .offset:         118
        .size:           2
        .value_kind:     hidden_remainder_z
      - .offset:         136
        .size:           8
        .value_kind:     hidden_global_offset_x
      - .offset:         144
        .size:           8
        .value_kind:     hidden_global_offset_y
      - .offset:         152
        .size:           8
        .value_kind:     hidden_global_offset_z
      - .offset:         160
        .size:           2
        .value_kind:     hidden_grid_dims
    .group_segment_fixed_size: 256
    .kernarg_segment_align: 8
    .kernarg_segment_size: 352
    .language:       OpenCL C
    .language_version:
      - 2
      - 0
    .max_flat_workgroup_size: 512
    .name:           _ZL18rocblas_dot_kernelIiLb0ELi512ELi2ELb1E19rocblas_complex_numIfEPKS1_S1_EviT5_lT_lS4_lS5_liPT6_PT4_
    .private_segment_fixed_size: 0
    .sgpr_count:     26
    .sgpr_spill_count: 0
    .symbol:         _ZL18rocblas_dot_kernelIiLb0ELi512ELi2ELb1E19rocblas_complex_numIfEPKS1_S1_EviT5_lT_lS4_lS5_liPT6_PT4_.kd
    .uniform_work_group_size: 1
    .uses_dynamic_stack: false
    .vgpr_count:     11
    .vgpr_spill_count: 0
    .wavefront_size: 32
    .workgroup_processor_mode: 1
  - .args:
      - .offset:         0
        .size:           4
        .value_kind:     by_value
      - .actual_access:  read_only
        .address_space:  global
        .offset:         8
        .size:           8
        .value_kind:     global_buffer
      - .offset:         16
        .size:           8
        .value_kind:     by_value
      - .offset:         24
        .size:           4
        .value_kind:     by_value
      - .offset:         32
        .size:           8
        .value_kind:     by_value
      - .offset:         40
        .size:           4
        .value_kind:     by_value
      - .actual_access:  write_only
        .address_space:  global
        .offset:         48
        .size:           8
        .value_kind:     global_buffer
      - .actual_access:  write_only
        .address_space:  global
        .offset:         56
        .size:           8
        .value_kind:     global_buffer
      - .offset:         64
        .size:           4
        .value_kind:     hidden_block_count_x
      - .offset:         68
        .size:           4
        .value_kind:     hidden_block_count_y
      - .offset:         72
        .size:           4
        .value_kind:     hidden_block_count_z
      - .offset:         76
        .size:           2
        .value_kind:     hidden_group_size_x
      - .offset:         78
        .size:           2
        .value_kind:     hidden_group_size_y
      - .offset:         80
        .size:           2
        .value_kind:     hidden_group_size_z
      - .offset:         82
        .size:           2
        .value_kind:     hidden_remainder_x
      - .offset:         84
        .size:           2
        .value_kind:     hidden_remainder_y
      - .offset:         86
        .size:           2
        .value_kind:     hidden_remainder_z
      - .offset:         104
        .size:           8
        .value_kind:     hidden_global_offset_x
      - .offset:         112
        .size:           8
        .value_kind:     hidden_global_offset_y
      - .offset:         120
        .size:           8
        .value_kind:     hidden_global_offset_z
      - .offset:         128
        .size:           2
        .value_kind:     hidden_grid_dims
    .group_segment_fixed_size: 256
    .kernarg_segment_align: 8
    .kernarg_segment_size: 320
    .language:       OpenCL C
    .language_version:
      - 2
      - 0
    .max_flat_workgroup_size: 512
    .name:           _ZL24rocblas_dot_kernel_magsqIiLb0ELi512ELi2ELb1E19rocblas_complex_numIfEPKS1_S1_EviT5_lT_liPT6_PT4_
    .private_segment_fixed_size: 0
    .sgpr_count:     18
    .sgpr_spill_count: 0
    .symbol:         _ZL24rocblas_dot_kernel_magsqIiLb0ELi512ELi2ELb1E19rocblas_complex_numIfEPKS1_S1_EviT5_lT_liPT6_PT4_.kd
    .uniform_work_group_size: 1
    .uses_dynamic_stack: false
    .vgpr_count:     11
    .vgpr_spill_count: 0
    .wavefront_size: 32
    .workgroup_processor_mode: 1
  - .args:
      - .offset:         0
        .size:           4
        .value_kind:     by_value
      - .actual_access:  read_only
        .address_space:  global
        .offset:         8
        .size:           8
        .value_kind:     global_buffer
      - .offset:         16
        .size:           8
        .value_kind:     by_value
      - .offset:         24
        .size:           8
        .value_kind:     by_value
      - .offset:         32
        .size:           8
        .value_kind:     by_value
      - .actual_access:  read_only
        .address_space:  global
        .offset:         40
        .size:           8
        .value_kind:     global_buffer
      - .offset:         48
        .size:           8
        .value_kind:     by_value
      - .offset:         56
        .size:           8
        .value_kind:     by_value
      - .offset:         64
        .size:           8
        .value_kind:     by_value
      - .offset:         72
        .size:           4
        .value_kind:     by_value
      - .actual_access:  write_only
        .address_space:  global
        .offset:         80
        .size:           8
        .value_kind:     global_buffer
    .group_segment_fixed_size: 0
    .kernarg_segment_align: 8
    .kernarg_segment_size: 88
    .language:       OpenCL C
    .language_version:
      - 2
      - 0
    .max_flat_workgroup_size: 128
    .name:           _ZL28rocblas_dot_batched_4_kernelIlLi32ELi4ELb1E19rocblas_complex_numIfES1_PKS1_EviT5_lT_lS4_lS5_liPT4_
    .private_segment_fixed_size: 0
    .sgpr_count:     22
    .sgpr_spill_count: 0
    .symbol:         _ZL28rocblas_dot_batched_4_kernelIlLi32ELi4ELb1E19rocblas_complex_numIfES1_PKS1_EviT5_lT_lS4_lS5_liPT4_.kd
    .uniform_work_group_size: 1
    .uses_dynamic_stack: false
    .vgpr_count:     16
    .vgpr_spill_count: 0
    .wavefront_size: 32
    .workgroup_processor_mode: 1
  - .args:
      - .offset:         0
        .size:           4
        .value_kind:     by_value
      - .actual_access:  read_only
        .address_space:  global
        .offset:         8
        .size:           8
        .value_kind:     global_buffer
      - .offset:         16
        .size:           8
        .value_kind:     by_value
      - .offset:         24
        .size:           8
        .value_kind:     by_value
      - .offset:         32
        .size:           8
        .value_kind:     by_value
      - .actual_access:  read_only
        .address_space:  global
        .offset:         40
        .size:           8
        .value_kind:     global_buffer
      - .offset:         48
        .size:           8
        .value_kind:     by_value
      - .offset:         56
        .size:           8
        .value_kind:     by_value
      - .offset:         64
        .size:           8
        .value_kind:     by_value
      - .offset:         72
        .size:           4
        .value_kind:     by_value
      - .actual_access:  write_only
        .address_space:  global
        .offset:         80
        .size:           8
        .value_kind:     global_buffer
    .group_segment_fixed_size: 0
    .kernarg_segment_align: 8
    .kernarg_segment_size: 88
    .language:       OpenCL C
    .language_version:
      - 2
      - 0
    .max_flat_workgroup_size: 256
    .name:           _ZL28rocblas_dot_batched_4_kernelIlLi64ELi4ELb1E19rocblas_complex_numIfES1_PKS1_EviT5_lT_lS4_lS5_liPT4_
    .private_segment_fixed_size: 0
    .sgpr_count:     22
    .sgpr_spill_count: 0
    .symbol:         _ZL28rocblas_dot_batched_4_kernelIlLi64ELi4ELb1E19rocblas_complex_numIfES1_PKS1_EviT5_lT_lS4_lS5_liPT4_.kd
    .uniform_work_group_size: 1
    .uses_dynamic_stack: false
    .vgpr_count:     16
    .vgpr_spill_count: 0
    .wavefront_size: 32
    .workgroup_processor_mode: 1
  - .args:
      - .offset:         0
        .size:           4
        .value_kind:     by_value
      - .actual_access:  read_only
        .address_space:  global
        .offset:         8
        .size:           8
        .value_kind:     global_buffer
      - .offset:         16
        .size:           8
        .value_kind:     by_value
      - .offset:         24
        .size:           8
        .value_kind:     by_value
      - .offset:         32
        .size:           8
        .value_kind:     by_value
      - .actual_access:  read_only
        .address_space:  global
        .offset:         40
        .size:           8
        .value_kind:     global_buffer
      - .offset:         48
        .size:           8
        .value_kind:     by_value
      - .offset:         56
        .size:           8
        .value_kind:     by_value
      - .offset:         64
        .size:           8
        .value_kind:     by_value
      - .offset:         72
        .size:           4
        .value_kind:     by_value
      - .actual_access:  read_only
        .address_space:  global
        .offset:         80
        .size:           8
        .value_kind:     global_buffer
      - .actual_access:  write_only
        .address_space:  global
        .offset:         88
        .size:           8
        .value_kind:     global_buffer
      - .offset:         96
        .size:           4
        .value_kind:     hidden_block_count_x
      - .offset:         100
        .size:           4
        .value_kind:     hidden_block_count_y
      - .offset:         104
        .size:           4
        .value_kind:     hidden_block_count_z
      - .offset:         108
        .size:           2
        .value_kind:     hidden_group_size_x
      - .offset:         110
        .size:           2
        .value_kind:     hidden_group_size_y
      - .offset:         112
        .size:           2
        .value_kind:     hidden_group_size_z
      - .offset:         114
        .size:           2
        .value_kind:     hidden_remainder_x
      - .offset:         116
        .size:           2
        .value_kind:     hidden_remainder_y
      - .offset:         118
        .size:           2
        .value_kind:     hidden_remainder_z
      - .offset:         136
        .size:           8
        .value_kind:     hidden_global_offset_x
      - .offset:         144
        .size:           8
        .value_kind:     hidden_global_offset_y
      - .offset:         152
        .size:           8
        .value_kind:     hidden_global_offset_z
      - .offset:         160
        .size:           2
        .value_kind:     hidden_grid_dims
    .group_segment_fixed_size: 256
    .kernarg_segment_align: 8
    .kernarg_segment_size: 352
    .language:       OpenCL C
    .language_version:
      - 2
      - 0
    .max_flat_workgroup_size: 1024
    .name:           _ZL18rocblas_dot_kernelIlLb1ELi1024ELi32ELb1E19rocblas_complex_numIfEPKS1_S1_EviT5_lT_lS4_lS5_liPT6_PT4_
    .private_segment_fixed_size: 0
    .sgpr_count:     30
    .sgpr_spill_count: 0
    .symbol:         _ZL18rocblas_dot_kernelIlLb1ELi1024ELi32ELb1E19rocblas_complex_numIfEPKS1_S1_EviT5_lT_lS4_lS5_liPT6_PT4_.kd
    .uniform_work_group_size: 1
    .uses_dynamic_stack: false
    .vgpr_count:     13
    .vgpr_spill_count: 0
    .wavefront_size: 32
    .workgroup_processor_mode: 1
  - .args:
      - .offset:         0
        .size:           4
        .value_kind:     by_value
      - .actual_access:  read_only
        .address_space:  global
        .offset:         8
        .size:           8
        .value_kind:     global_buffer
      - .offset:         16
        .size:           8
        .value_kind:     by_value
      - .offset:         24
        .size:           8
        .value_kind:     by_value
      - .offset:         32
        .size:           8
        .value_kind:     by_value
      - .offset:         40
        .size:           4
        .value_kind:     by_value
      - .actual_access:  read_only
        .address_space:  global
        .offset:         48
        .size:           8
        .value_kind:     global_buffer
      - .actual_access:  write_only
        .address_space:  global
        .offset:         56
        .size:           8
        .value_kind:     global_buffer
      - .offset:         64
        .size:           4
        .value_kind:     hidden_block_count_x
      - .offset:         68
        .size:           4
        .value_kind:     hidden_block_count_y
      - .offset:         72
        .size:           4
        .value_kind:     hidden_block_count_z
      - .offset:         76
        .size:           2
        .value_kind:     hidden_group_size_x
      - .offset:         78
        .size:           2
        .value_kind:     hidden_group_size_y
      - .offset:         80
        .size:           2
        .value_kind:     hidden_group_size_z
      - .offset:         82
        .size:           2
        .value_kind:     hidden_remainder_x
      - .offset:         84
        .size:           2
        .value_kind:     hidden_remainder_y
      - .offset:         86
        .size:           2
        .value_kind:     hidden_remainder_z
      - .offset:         104
        .size:           8
        .value_kind:     hidden_global_offset_x
      - .offset:         112
        .size:           8
        .value_kind:     hidden_global_offset_y
      - .offset:         120
        .size:           8
        .value_kind:     hidden_global_offset_z
      - .offset:         128
        .size:           2
        .value_kind:     hidden_grid_dims
    .group_segment_fixed_size: 256
    .kernarg_segment_align: 8
    .kernarg_segment_size: 320
    .language:       OpenCL C
    .language_version:
      - 2
      - 0
    .max_flat_workgroup_size: 1024
    .name:           _ZL24rocblas_dot_kernel_magsqIlLb1ELi1024ELi32ELb1E19rocblas_complex_numIfEPKS1_S1_EviT5_lT_liPT6_PT4_
    .private_segment_fixed_size: 0
    .sgpr_count:     19
    .sgpr_spill_count: 0
    .symbol:         _ZL24rocblas_dot_kernel_magsqIlLb1ELi1024ELi32ELb1E19rocblas_complex_numIfEPKS1_S1_EviT5_lT_liPT6_PT4_.kd
    .uniform_work_group_size: 1
    .uses_dynamic_stack: false
    .vgpr_count:     13
    .vgpr_spill_count: 0
    .wavefront_size: 32
    .workgroup_processor_mode: 1
  - .args:
      - .offset:         0
        .size:           4
        .value_kind:     by_value
      - .actual_access:  read_only
        .address_space:  global
        .offset:         8
        .size:           8
        .value_kind:     global_buffer
      - .offset:         16
        .size:           8
        .value_kind:     by_value
      - .offset:         24
        .size:           8
        .value_kind:     by_value
      - .offset:         32
        .size:           8
        .value_kind:     by_value
      - .actual_access:  read_only
        .address_space:  global
        .offset:         40
        .size:           8
        .value_kind:     global_buffer
      - .offset:         48
        .size:           8
        .value_kind:     by_value
      - .offset:         56
        .size:           8
        .value_kind:     by_value
      - .offset:         64
        .size:           8
        .value_kind:     by_value
      - .offset:         72
        .size:           4
        .value_kind:     by_value
      - .actual_access:  write_only
        .address_space:  global
        .offset:         80
        .size:           8
        .value_kind:     global_buffer
      - .actual_access:  write_only
        .address_space:  global
        .offset:         88
        .size:           8
        .value_kind:     global_buffer
      - .offset:         96
        .size:           4
        .value_kind:     hidden_block_count_x
      - .offset:         100
        .size:           4
        .value_kind:     hidden_block_count_y
      - .offset:         104
        .size:           4
        .value_kind:     hidden_block_count_z
      - .offset:         108
        .size:           2
        .value_kind:     hidden_group_size_x
      - .offset:         110
        .size:           2
        .value_kind:     hidden_group_size_y
      - .offset:         112
        .size:           2
        .value_kind:     hidden_group_size_z
      - .offset:         114
        .size:           2
        .value_kind:     hidden_remainder_x
      - .offset:         116
        .size:           2
        .value_kind:     hidden_remainder_y
      - .offset:         118
        .size:           2
        .value_kind:     hidden_remainder_z
      - .offset:         136
        .size:           8
        .value_kind:     hidden_global_offset_x
      - .offset:         144
        .size:           8
        .value_kind:     hidden_global_offset_y
      - .offset:         152
        .size:           8
        .value_kind:     hidden_global_offset_z
      - .offset:         160
        .size:           2
        .value_kind:     hidden_grid_dims
    .group_segment_fixed_size: 256
    .kernarg_segment_align: 8
    .kernarg_segment_size: 352
    .language:       OpenCL C
    .language_version:
      - 2
      - 0
    .max_flat_workgroup_size: 512
    .name:           _ZL18rocblas_dot_kernelIlLb0ELi512ELi2ELb1E19rocblas_complex_numIfEPKS1_S1_EviT5_lT_lS4_lS5_liPT6_PT4_
    .private_segment_fixed_size: 0
    .sgpr_count:     28
    .sgpr_spill_count: 0
    .symbol:         _ZL18rocblas_dot_kernelIlLb0ELi512ELi2ELb1E19rocblas_complex_numIfEPKS1_S1_EviT5_lT_lS4_lS5_liPT6_PT4_.kd
    .uniform_work_group_size: 1
    .uses_dynamic_stack: false
    .vgpr_count:     12
    .vgpr_spill_count: 0
    .wavefront_size: 32
    .workgroup_processor_mode: 1
  - .args:
      - .offset:         0
        .size:           4
        .value_kind:     by_value
      - .actual_access:  read_only
        .address_space:  global
        .offset:         8
        .size:           8
        .value_kind:     global_buffer
      - .offset:         16
        .size:           8
        .value_kind:     by_value
      - .offset:         24
        .size:           8
        .value_kind:     by_value
      - .offset:         32
        .size:           8
        .value_kind:     by_value
      - .offset:         40
        .size:           4
        .value_kind:     by_value
      - .actual_access:  write_only
        .address_space:  global
        .offset:         48
        .size:           8
        .value_kind:     global_buffer
      - .actual_access:  write_only
        .address_space:  global
        .offset:         56
        .size:           8
        .value_kind:     global_buffer
      - .offset:         64
        .size:           4
        .value_kind:     hidden_block_count_x
      - .offset:         68
        .size:           4
        .value_kind:     hidden_block_count_y
      - .offset:         72
        .size:           4
        .value_kind:     hidden_block_count_z
      - .offset:         76
        .size:           2
        .value_kind:     hidden_group_size_x
      - .offset:         78
        .size:           2
        .value_kind:     hidden_group_size_y
      - .offset:         80
        .size:           2
        .value_kind:     hidden_group_size_z
      - .offset:         82
        .size:           2
        .value_kind:     hidden_remainder_x
      - .offset:         84
        .size:           2
        .value_kind:     hidden_remainder_y
      - .offset:         86
        .size:           2
        .value_kind:     hidden_remainder_z
      - .offset:         104
        .size:           8
        .value_kind:     hidden_global_offset_x
      - .offset:         112
        .size:           8
        .value_kind:     hidden_global_offset_y
      - .offset:         120
        .size:           8
        .value_kind:     hidden_global_offset_z
      - .offset:         128
        .size:           2
        .value_kind:     hidden_grid_dims
    .group_segment_fixed_size: 256
    .kernarg_segment_align: 8
    .kernarg_segment_size: 320
    .language:       OpenCL C
    .language_version:
      - 2
      - 0
    .max_flat_workgroup_size: 512
    .name:           _ZL24rocblas_dot_kernel_magsqIlLb0ELi512ELi2ELb1E19rocblas_complex_numIfEPKS1_S1_EviT5_lT_liPT6_PT4_
    .private_segment_fixed_size: 0
    .sgpr_count:     20
    .sgpr_spill_count: 0
    .symbol:         _ZL24rocblas_dot_kernel_magsqIlLb0ELi512ELi2ELb1E19rocblas_complex_numIfEPKS1_S1_EviT5_lT_liPT6_PT4_.kd
    .uniform_work_group_size: 1
    .uses_dynamic_stack: false
    .vgpr_count:     11
    .vgpr_spill_count: 0
    .wavefront_size: 32
    .workgroup_processor_mode: 1
  - .args:
      - .offset:         0
        .size:           4
        .value_kind:     by_value
      - .actual_access:  read_only
        .address_space:  global
        .offset:         8
        .size:           8
        .value_kind:     global_buffer
      - .offset:         16
        .size:           8
        .value_kind:     by_value
      - .offset:         24
        .size:           4
        .value_kind:     by_value
      - .offset:         32
        .size:           8
        .value_kind:     by_value
      - .actual_access:  read_only
        .address_space:  global
        .offset:         40
        .size:           8
        .value_kind:     global_buffer
      - .offset:         48
        .size:           8
        .value_kind:     by_value
      - .offset:         56
        .size:           4
        .value_kind:     by_value
      - .offset:         64
        .size:           8
        .value_kind:     by_value
      - .offset:         72
        .size:           4
        .value_kind:     by_value
      - .actual_access:  write_only
        .address_space:  global
        .offset:         80
        .size:           8
        .value_kind:     global_buffer
    .group_segment_fixed_size: 0
    .kernarg_segment_align: 8
    .kernarg_segment_size: 88
    .language:       OpenCL C
    .language_version:
      - 2
      - 0
    .max_flat_workgroup_size: 128
    .name:           _ZL28rocblas_dot_batched_4_kernelIiLi32ELi4ELb1E19rocblas_complex_numIdES1_PKS1_EviT5_lT_lS4_lS5_liPT4_
    .private_segment_fixed_size: 0
    .sgpr_count:     22
    .sgpr_spill_count: 0
    .symbol:         _ZL28rocblas_dot_batched_4_kernelIiLi32ELi4ELb1E19rocblas_complex_numIdES1_PKS1_EviT5_lT_lS4_lS5_liPT4_.kd
    .uniform_work_group_size: 1
    .uses_dynamic_stack: false
    .vgpr_count:     22
    .vgpr_spill_count: 0
    .wavefront_size: 32
    .workgroup_processor_mode: 1
  - .args:
      - .offset:         0
        .size:           4
        .value_kind:     by_value
      - .actual_access:  read_only
        .address_space:  global
        .offset:         8
        .size:           8
        .value_kind:     global_buffer
      - .offset:         16
        .size:           8
        .value_kind:     by_value
      - .offset:         24
        .size:           4
        .value_kind:     by_value
      - .offset:         32
        .size:           8
        .value_kind:     by_value
      - .actual_access:  read_only
        .address_space:  global
        .offset:         40
        .size:           8
        .value_kind:     global_buffer
      - .offset:         48
        .size:           8
        .value_kind:     by_value
      - .offset:         56
        .size:           4
        .value_kind:     by_value
      - .offset:         64
        .size:           8
        .value_kind:     by_value
      - .offset:         72
        .size:           4
        .value_kind:     by_value
      - .actual_access:  write_only
        .address_space:  global
        .offset:         80
        .size:           8
        .value_kind:     global_buffer
    .group_segment_fixed_size: 0
    .kernarg_segment_align: 8
    .kernarg_segment_size: 88
    .language:       OpenCL C
    .language_version:
      - 2
      - 0
    .max_flat_workgroup_size: 256
    .name:           _ZL28rocblas_dot_batched_4_kernelIiLi64ELi4ELb1E19rocblas_complex_numIdES1_PKS1_EviT5_lT_lS4_lS5_liPT4_
    .private_segment_fixed_size: 0
    .sgpr_count:     22
    .sgpr_spill_count: 0
    .symbol:         _ZL28rocblas_dot_batched_4_kernelIiLi64ELi4ELb1E19rocblas_complex_numIdES1_PKS1_EviT5_lT_lS4_lS5_liPT4_.kd
    .uniform_work_group_size: 1
    .uses_dynamic_stack: false
    .vgpr_count:     22
    .vgpr_spill_count: 0
    .wavefront_size: 32
    .workgroup_processor_mode: 1
  - .args:
      - .offset:         0
        .size:           4
        .value_kind:     by_value
      - .actual_access:  read_only
        .address_space:  global
        .offset:         8
        .size:           8
        .value_kind:     global_buffer
      - .offset:         16
        .size:           8
        .value_kind:     by_value
      - .offset:         24
        .size:           8
        .value_kind:     by_value
      - .actual_access:  read_only
        .address_space:  global
        .offset:         32
        .size:           8
        .value_kind:     global_buffer
      - .offset:         40
        .size:           8
        .value_kind:     by_value
      - .offset:         48
        .size:           8
        .value_kind:     by_value
      - .offset:         56
        .size:           4
        .value_kind:     by_value
      - .actual_access:  read_only
        .address_space:  global
        .offset:         64
        .size:           8
        .value_kind:     global_buffer
      - .actual_access:  write_only
        .address_space:  global
        .offset:         72
        .size:           8
        .value_kind:     global_buffer
    .group_segment_fixed_size: 512
    .kernarg_segment_align: 8
    .kernarg_segment_size: 80
    .language:       OpenCL C
    .language_version:
      - 2
      - 0
    .max_flat_workgroup_size: 1024
    .name:           _ZL26rocblas_dot_kernel_inc1by2ILb1ELi1024ELi32ELb1E19rocblas_complex_numIdEPKS1_S1_EviT4_llS4_lliPT5_PT3_
    .private_segment_fixed_size: 0
    .sgpr_count:     21
    .sgpr_spill_count: 0
    .symbol:         _ZL26rocblas_dot_kernel_inc1by2ILb1ELi1024ELi32ELb1E19rocblas_complex_numIdEPKS1_S1_EviT4_llS4_lliPT5_PT3_.kd
    .uniform_work_group_size: 1
    .uses_dynamic_stack: false
    .vgpr_count:     20
    .vgpr_spill_count: 0
    .wavefront_size: 32
    .workgroup_processor_mode: 1
  - .args:
      - .offset:         0
        .size:           4
        .value_kind:     by_value
      - .actual_access:  read_only
        .address_space:  global
        .offset:         8
        .size:           8
        .value_kind:     global_buffer
      - .offset:         16
        .size:           8
        .value_kind:     by_value
      - .offset:         24
        .size:           4
        .value_kind:     by_value
      - .offset:         32
        .size:           8
        .value_kind:     by_value
      - .actual_access:  read_only
        .address_space:  global
        .offset:         40
        .size:           8
        .value_kind:     global_buffer
      - .offset:         48
        .size:           8
        .value_kind:     by_value
      - .offset:         56
        .size:           4
        .value_kind:     by_value
      - .offset:         64
        .size:           8
        .value_kind:     by_value
      - .offset:         72
        .size:           4
        .value_kind:     by_value
      - .actual_access:  read_only
        .address_space:  global
        .offset:         80
        .size:           8
        .value_kind:     global_buffer
      - .actual_access:  write_only
        .address_space:  global
        .offset:         88
        .size:           8
        .value_kind:     global_buffer
      - .offset:         96
        .size:           4
        .value_kind:     hidden_block_count_x
      - .offset:         100
        .size:           4
        .value_kind:     hidden_block_count_y
      - .offset:         104
        .size:           4
        .value_kind:     hidden_block_count_z
      - .offset:         108
        .size:           2
        .value_kind:     hidden_group_size_x
      - .offset:         110
        .size:           2
        .value_kind:     hidden_group_size_y
      - .offset:         112
        .size:           2
        .value_kind:     hidden_group_size_z
      - .offset:         114
        .size:           2
        .value_kind:     hidden_remainder_x
      - .offset:         116
        .size:           2
        .value_kind:     hidden_remainder_y
      - .offset:         118
        .size:           2
        .value_kind:     hidden_remainder_z
      - .offset:         136
        .size:           8
        .value_kind:     hidden_global_offset_x
      - .offset:         144
        .size:           8
        .value_kind:     hidden_global_offset_y
      - .offset:         152
        .size:           8
        .value_kind:     hidden_global_offset_z
      - .offset:         160
        .size:           2
        .value_kind:     hidden_grid_dims
    .group_segment_fixed_size: 512
    .kernarg_segment_align: 8
    .kernarg_segment_size: 352
    .language:       OpenCL C
    .language_version:
      - 2
      - 0
    .max_flat_workgroup_size: 1024
    .name:           _ZL18rocblas_dot_kernelIiLb1ELi1024ELi32ELb1E19rocblas_complex_numIdEPKS1_S1_EviT5_lT_lS4_lS5_liPT6_PT4_
    .private_segment_fixed_size: 0
    .sgpr_count:     27
    .sgpr_spill_count: 0
    .symbol:         _ZL18rocblas_dot_kernelIiLb1ELi1024ELi32ELb1E19rocblas_complex_numIdEPKS1_S1_EviT5_lT_lS4_lS5_liPT6_PT4_.kd
    .uniform_work_group_size: 1
    .uses_dynamic_stack: false
    .vgpr_count:     20
    .vgpr_spill_count: 0
    .wavefront_size: 32
    .workgroup_processor_mode: 1
  - .args:
      - .offset:         0
        .size:           4
        .value_kind:     by_value
      - .actual_access:  read_only
        .address_space:  global
        .offset:         8
        .size:           8
        .value_kind:     global_buffer
      - .offset:         16
        .size:           8
        .value_kind:     by_value
      - .offset:         24
        .size:           4
        .value_kind:     by_value
      - .offset:         32
        .size:           8
        .value_kind:     by_value
      - .offset:         40
        .size:           4
        .value_kind:     by_value
      - .actual_access:  read_only
        .address_space:  global
        .offset:         48
        .size:           8
        .value_kind:     global_buffer
      - .actual_access:  write_only
        .address_space:  global
        .offset:         56
        .size:           8
        .value_kind:     global_buffer
      - .offset:         64
        .size:           4
        .value_kind:     hidden_block_count_x
      - .offset:         68
        .size:           4
        .value_kind:     hidden_block_count_y
      - .offset:         72
        .size:           4
        .value_kind:     hidden_block_count_z
      - .offset:         76
        .size:           2
        .value_kind:     hidden_group_size_x
      - .offset:         78
        .size:           2
        .value_kind:     hidden_group_size_y
      - .offset:         80
        .size:           2
        .value_kind:     hidden_group_size_z
      - .offset:         82
        .size:           2
        .value_kind:     hidden_remainder_x
      - .offset:         84
        .size:           2
        .value_kind:     hidden_remainder_y
      - .offset:         86
        .size:           2
        .value_kind:     hidden_remainder_z
      - .offset:         104
        .size:           8
        .value_kind:     hidden_global_offset_x
      - .offset:         112
        .size:           8
        .value_kind:     hidden_global_offset_y
      - .offset:         120
        .size:           8
        .value_kind:     hidden_global_offset_z
      - .offset:         128
        .size:           2
        .value_kind:     hidden_grid_dims
    .group_segment_fixed_size: 512
    .kernarg_segment_align: 8
    .kernarg_segment_size: 320
    .language:       OpenCL C
    .language_version:
      - 2
      - 0
    .max_flat_workgroup_size: 1024
    .name:           _ZL24rocblas_dot_kernel_magsqIiLb1ELi1024ELi32ELb1E19rocblas_complex_numIdEPKS1_S1_EviT5_lT_liPT6_PT4_
    .private_segment_fixed_size: 0
    .sgpr_count:     19
    .sgpr_spill_count: 0
    .symbol:         _ZL24rocblas_dot_kernel_magsqIiLb1ELi1024ELi32ELb1E19rocblas_complex_numIdEPKS1_S1_EviT5_lT_liPT6_PT4_.kd
    .uniform_work_group_size: 1
    .uses_dynamic_stack: false
    .vgpr_count:     16
    .vgpr_spill_count: 0
    .wavefront_size: 32
    .workgroup_processor_mode: 1
  - .args:
      - .offset:         0
        .size:           4
        .value_kind:     by_value
      - .actual_access:  read_only
        .address_space:  global
        .offset:         8
        .size:           8
        .value_kind:     global_buffer
      - .offset:         16
        .size:           8
        .value_kind:     by_value
      - .offset:         24
        .size:           8
        .value_kind:     by_value
      - .actual_access:  read_only
        .address_space:  global
        .offset:         32
        .size:           8
        .value_kind:     global_buffer
      - .offset:         40
        .size:           8
        .value_kind:     by_value
      - .offset:         48
        .size:           8
        .value_kind:     by_value
      - .offset:         56
        .size:           4
        .value_kind:     by_value
      - .actual_access:  write_only
        .address_space:  global
        .offset:         64
        .size:           8
        .value_kind:     global_buffer
      - .actual_access:  write_only
        .address_space:  global
        .offset:         72
        .size:           8
        .value_kind:     global_buffer
      - .offset:         80
        .size:           4
        .value_kind:     hidden_block_count_x
      - .offset:         84
        .size:           4
        .value_kind:     hidden_block_count_y
      - .offset:         88
        .size:           4
        .value_kind:     hidden_block_count_z
      - .offset:         92
        .size:           2
        .value_kind:     hidden_group_size_x
      - .offset:         94
        .size:           2
        .value_kind:     hidden_group_size_y
      - .offset:         96
        .size:           2
        .value_kind:     hidden_group_size_z
      - .offset:         98
        .size:           2
        .value_kind:     hidden_remainder_x
      - .offset:         100
        .size:           2
        .value_kind:     hidden_remainder_y
      - .offset:         102
        .size:           2
        .value_kind:     hidden_remainder_z
      - .offset:         120
        .size:           8
        .value_kind:     hidden_global_offset_x
      - .offset:         128
        .size:           8
        .value_kind:     hidden_global_offset_y
      - .offset:         136
        .size:           8
        .value_kind:     hidden_global_offset_z
      - .offset:         144
        .size:           2
        .value_kind:     hidden_grid_dims
    .group_segment_fixed_size: 512
    .kernarg_segment_align: 8
    .kernarg_segment_size: 336
    .language:       OpenCL C
    .language_version:
      - 2
      - 0
    .max_flat_workgroup_size: 512
    .name:           _ZL23rocblas_dot_kernel_inc1ILb0ELi512ELi2ELb1E19rocblas_complex_numIdEPKS1_S1_EviT4_llS4_lliPT5_PT3_
    .private_segment_fixed_size: 0
    .sgpr_count:     24
    .sgpr_spill_count: 0
    .symbol:         _ZL23rocblas_dot_kernel_inc1ILb0ELi512ELi2ELb1E19rocblas_complex_numIdEPKS1_S1_EviT4_llS4_lliPT5_PT3_.kd
    .uniform_work_group_size: 1
    .uses_dynamic_stack: false
    .vgpr_count:     15
    .vgpr_spill_count: 0
    .wavefront_size: 32
    .workgroup_processor_mode: 1
  - .args:
      - .offset:         0
        .size:           4
        .value_kind:     by_value
      - .actual_access:  read_only
        .address_space:  global
        .offset:         8
        .size:           8
        .value_kind:     global_buffer
      - .offset:         16
        .size:           8
        .value_kind:     by_value
      - .offset:         24
        .size:           4
        .value_kind:     by_value
      - .offset:         32
        .size:           8
        .value_kind:     by_value
      - .actual_access:  read_only
        .address_space:  global
        .offset:         40
        .size:           8
        .value_kind:     global_buffer
      - .offset:         48
        .size:           8
        .value_kind:     by_value
      - .offset:         56
        .size:           4
        .value_kind:     by_value
      - .offset:         64
        .size:           8
        .value_kind:     by_value
      - .offset:         72
        .size:           4
        .value_kind:     by_value
      - .actual_access:  write_only
        .address_space:  global
        .offset:         80
        .size:           8
        .value_kind:     global_buffer
      - .actual_access:  write_only
        .address_space:  global
        .offset:         88
        .size:           8
        .value_kind:     global_buffer
      - .offset:         96
        .size:           4
        .value_kind:     hidden_block_count_x
      - .offset:         100
        .size:           4
        .value_kind:     hidden_block_count_y
      - .offset:         104
        .size:           4
        .value_kind:     hidden_block_count_z
      - .offset:         108
        .size:           2
        .value_kind:     hidden_group_size_x
      - .offset:         110
        .size:           2
        .value_kind:     hidden_group_size_y
      - .offset:         112
        .size:           2
        .value_kind:     hidden_group_size_z
      - .offset:         114
        .size:           2
        .value_kind:     hidden_remainder_x
      - .offset:         116
        .size:           2
        .value_kind:     hidden_remainder_y
      - .offset:         118
        .size:           2
        .value_kind:     hidden_remainder_z
      - .offset:         136
        .size:           8
        .value_kind:     hidden_global_offset_x
      - .offset:         144
        .size:           8
        .value_kind:     hidden_global_offset_y
      - .offset:         152
        .size:           8
        .value_kind:     hidden_global_offset_z
      - .offset:         160
        .size:           2
        .value_kind:     hidden_grid_dims
    .group_segment_fixed_size: 512
    .kernarg_segment_align: 8
    .kernarg_segment_size: 352
    .language:       OpenCL C
    .language_version:
      - 2
      - 0
    .max_flat_workgroup_size: 512
    .name:           _ZL18rocblas_dot_kernelIiLb0ELi512ELi2ELb1E19rocblas_complex_numIdEPKS1_S1_EviT5_lT_lS4_lS5_liPT6_PT4_
    .private_segment_fixed_size: 0
    .sgpr_count:     26
    .sgpr_spill_count: 0
    .symbol:         _ZL18rocblas_dot_kernelIiLb0ELi512ELi2ELb1E19rocblas_complex_numIdEPKS1_S1_EviT5_lT_lS4_lS5_liPT6_PT4_.kd
    .uniform_work_group_size: 1
    .uses_dynamic_stack: false
    .vgpr_count:     15
    .vgpr_spill_count: 0
    .wavefront_size: 32
    .workgroup_processor_mode: 1
  - .args:
      - .offset:         0
        .size:           4
        .value_kind:     by_value
      - .actual_access:  read_only
        .address_space:  global
        .offset:         8
        .size:           8
        .value_kind:     global_buffer
      - .offset:         16
        .size:           8
        .value_kind:     by_value
      - .offset:         24
        .size:           4
        .value_kind:     by_value
      - .offset:         32
        .size:           8
        .value_kind:     by_value
      - .offset:         40
        .size:           4
        .value_kind:     by_value
      - .actual_access:  write_only
        .address_space:  global
        .offset:         48
        .size:           8
        .value_kind:     global_buffer
      - .actual_access:  write_only
        .address_space:  global
        .offset:         56
        .size:           8
        .value_kind:     global_buffer
      - .offset:         64
        .size:           4
        .value_kind:     hidden_block_count_x
      - .offset:         68
        .size:           4
        .value_kind:     hidden_block_count_y
      - .offset:         72
        .size:           4
        .value_kind:     hidden_block_count_z
      - .offset:         76
        .size:           2
        .value_kind:     hidden_group_size_x
      - .offset:         78
        .size:           2
        .value_kind:     hidden_group_size_y
      - .offset:         80
        .size:           2
        .value_kind:     hidden_group_size_z
      - .offset:         82
        .size:           2
        .value_kind:     hidden_remainder_x
      - .offset:         84
        .size:           2
        .value_kind:     hidden_remainder_y
      - .offset:         86
        .size:           2
        .value_kind:     hidden_remainder_z
      - .offset:         104
        .size:           8
        .value_kind:     hidden_global_offset_x
      - .offset:         112
        .size:           8
        .value_kind:     hidden_global_offset_y
      - .offset:         120
        .size:           8
        .value_kind:     hidden_global_offset_z
      - .offset:         128
        .size:           2
        .value_kind:     hidden_grid_dims
    .group_segment_fixed_size: 512
    .kernarg_segment_align: 8
    .kernarg_segment_size: 320
    .language:       OpenCL C
    .language_version:
      - 2
      - 0
    .max_flat_workgroup_size: 512
    .name:           _ZL24rocblas_dot_kernel_magsqIiLb0ELi512ELi2ELb1E19rocblas_complex_numIdEPKS1_S1_EviT5_lT_liPT6_PT4_
    .private_segment_fixed_size: 0
    .sgpr_count:     18
    .sgpr_spill_count: 0
    .symbol:         _ZL24rocblas_dot_kernel_magsqIiLb0ELi512ELi2ELb1E19rocblas_complex_numIdEPKS1_S1_EviT5_lT_liPT6_PT4_.kd
    .uniform_work_group_size: 1
    .uses_dynamic_stack: false
    .vgpr_count:     15
    .vgpr_spill_count: 0
    .wavefront_size: 32
    .workgroup_processor_mode: 1
  - .args:
      - .offset:         0
        .size:           4
        .value_kind:     by_value
      - .actual_access:  read_only
        .address_space:  global
        .offset:         8
        .size:           8
        .value_kind:     global_buffer
      - .offset:         16
        .size:           8
        .value_kind:     by_value
      - .offset:         24
        .size:           8
        .value_kind:     by_value
      - .offset:         32
        .size:           8
        .value_kind:     by_value
      - .actual_access:  read_only
        .address_space:  global
        .offset:         40
        .size:           8
        .value_kind:     global_buffer
      - .offset:         48
        .size:           8
        .value_kind:     by_value
      - .offset:         56
        .size:           8
        .value_kind:     by_value
      - .offset:         64
        .size:           8
        .value_kind:     by_value
      - .offset:         72
        .size:           4
        .value_kind:     by_value
      - .actual_access:  write_only
        .address_space:  global
        .offset:         80
        .size:           8
        .value_kind:     global_buffer
    .group_segment_fixed_size: 0
    .kernarg_segment_align: 8
    .kernarg_segment_size: 88
    .language:       OpenCL C
    .language_version:
      - 2
      - 0
    .max_flat_workgroup_size: 128
    .name:           _ZL28rocblas_dot_batched_4_kernelIlLi32ELi4ELb1E19rocblas_complex_numIdES1_PKS1_EviT5_lT_lS4_lS5_liPT4_
    .private_segment_fixed_size: 0
    .sgpr_count:     22
    .sgpr_spill_count: 0
    .symbol:         _ZL28rocblas_dot_batched_4_kernelIlLi32ELi4ELb1E19rocblas_complex_numIdES1_PKS1_EviT5_lT_lS4_lS5_liPT4_.kd
    .uniform_work_group_size: 1
    .uses_dynamic_stack: false
    .vgpr_count:     22
    .vgpr_spill_count: 0
    .wavefront_size: 32
    .workgroup_processor_mode: 1
  - .args:
      - .offset:         0
        .size:           4
        .value_kind:     by_value
      - .actual_access:  read_only
        .address_space:  global
        .offset:         8
        .size:           8
        .value_kind:     global_buffer
      - .offset:         16
        .size:           8
        .value_kind:     by_value
      - .offset:         24
        .size:           8
        .value_kind:     by_value
      - .offset:         32
        .size:           8
        .value_kind:     by_value
      - .actual_access:  read_only
        .address_space:  global
        .offset:         40
        .size:           8
        .value_kind:     global_buffer
      - .offset:         48
        .size:           8
        .value_kind:     by_value
      - .offset:         56
        .size:           8
        .value_kind:     by_value
      - .offset:         64
        .size:           8
        .value_kind:     by_value
      - .offset:         72
        .size:           4
        .value_kind:     by_value
      - .actual_access:  write_only
        .address_space:  global
        .offset:         80
        .size:           8
        .value_kind:     global_buffer
    .group_segment_fixed_size: 0
    .kernarg_segment_align: 8
    .kernarg_segment_size: 88
    .language:       OpenCL C
    .language_version:
      - 2
      - 0
    .max_flat_workgroup_size: 256
    .name:           _ZL28rocblas_dot_batched_4_kernelIlLi64ELi4ELb1E19rocblas_complex_numIdES1_PKS1_EviT5_lT_lS4_lS5_liPT4_
    .private_segment_fixed_size: 0
    .sgpr_count:     22
    .sgpr_spill_count: 0
    .symbol:         _ZL28rocblas_dot_batched_4_kernelIlLi64ELi4ELb1E19rocblas_complex_numIdES1_PKS1_EviT5_lT_lS4_lS5_liPT4_.kd
    .uniform_work_group_size: 1
    .uses_dynamic_stack: false
    .vgpr_count:     22
    .vgpr_spill_count: 0
    .wavefront_size: 32
    .workgroup_processor_mode: 1
  - .args:
      - .offset:         0
        .size:           4
        .value_kind:     by_value
      - .actual_access:  read_only
        .address_space:  global
        .offset:         8
        .size:           8
        .value_kind:     global_buffer
      - .offset:         16
        .size:           8
        .value_kind:     by_value
      - .offset:         24
        .size:           8
        .value_kind:     by_value
      - .offset:         32
        .size:           8
        .value_kind:     by_value
      - .actual_access:  read_only
        .address_space:  global
        .offset:         40
        .size:           8
        .value_kind:     global_buffer
      - .offset:         48
        .size:           8
        .value_kind:     by_value
      - .offset:         56
        .size:           8
        .value_kind:     by_value
      - .offset:         64
        .size:           8
        .value_kind:     by_value
      - .offset:         72
        .size:           4
        .value_kind:     by_value
      - .actual_access:  read_only
        .address_space:  global
        .offset:         80
        .size:           8
        .value_kind:     global_buffer
      - .actual_access:  write_only
        .address_space:  global
        .offset:         88
        .size:           8
        .value_kind:     global_buffer
      - .offset:         96
        .size:           4
        .value_kind:     hidden_block_count_x
      - .offset:         100
        .size:           4
        .value_kind:     hidden_block_count_y
      - .offset:         104
        .size:           4
        .value_kind:     hidden_block_count_z
      - .offset:         108
        .size:           2
        .value_kind:     hidden_group_size_x
      - .offset:         110
        .size:           2
        .value_kind:     hidden_group_size_y
      - .offset:         112
        .size:           2
        .value_kind:     hidden_group_size_z
      - .offset:         114
        .size:           2
        .value_kind:     hidden_remainder_x
      - .offset:         116
        .size:           2
        .value_kind:     hidden_remainder_y
      - .offset:         118
        .size:           2
        .value_kind:     hidden_remainder_z
      - .offset:         136
        .size:           8
        .value_kind:     hidden_global_offset_x
      - .offset:         144
        .size:           8
        .value_kind:     hidden_global_offset_y
      - .offset:         152
        .size:           8
        .value_kind:     hidden_global_offset_z
      - .offset:         160
        .size:           2
        .value_kind:     hidden_grid_dims
    .group_segment_fixed_size: 512
    .kernarg_segment_align: 8
    .kernarg_segment_size: 352
    .language:       OpenCL C
    .language_version:
      - 2
      - 0
    .max_flat_workgroup_size: 1024
    .name:           _ZL18rocblas_dot_kernelIlLb1ELi1024ELi32ELb1E19rocblas_complex_numIdEPKS1_S1_EviT5_lT_lS4_lS5_liPT6_PT4_
    .private_segment_fixed_size: 0
    .sgpr_count:     29
    .sgpr_spill_count: 0
    .symbol:         _ZL18rocblas_dot_kernelIlLb1ELi1024ELi32ELb1E19rocblas_complex_numIdEPKS1_S1_EviT5_lT_lS4_lS5_liPT6_PT4_.kd
    .uniform_work_group_size: 1
    .uses_dynamic_stack: false
    .vgpr_count:     20
    .vgpr_spill_count: 0
    .wavefront_size: 32
    .workgroup_processor_mode: 1
  - .args:
      - .offset:         0
        .size:           4
        .value_kind:     by_value
      - .actual_access:  read_only
        .address_space:  global
        .offset:         8
        .size:           8
        .value_kind:     global_buffer
      - .offset:         16
        .size:           8
        .value_kind:     by_value
      - .offset:         24
        .size:           8
        .value_kind:     by_value
      - .offset:         32
        .size:           8
        .value_kind:     by_value
      - .offset:         40
        .size:           4
        .value_kind:     by_value
      - .actual_access:  read_only
        .address_space:  global
        .offset:         48
        .size:           8
        .value_kind:     global_buffer
      - .actual_access:  write_only
        .address_space:  global
        .offset:         56
        .size:           8
        .value_kind:     global_buffer
      - .offset:         64
        .size:           4
        .value_kind:     hidden_block_count_x
      - .offset:         68
        .size:           4
        .value_kind:     hidden_block_count_y
      - .offset:         72
        .size:           4
        .value_kind:     hidden_block_count_z
      - .offset:         76
        .size:           2
        .value_kind:     hidden_group_size_x
      - .offset:         78
        .size:           2
        .value_kind:     hidden_group_size_y
      - .offset:         80
        .size:           2
        .value_kind:     hidden_group_size_z
      - .offset:         82
        .size:           2
        .value_kind:     hidden_remainder_x
      - .offset:         84
        .size:           2
        .value_kind:     hidden_remainder_y
      - .offset:         86
        .size:           2
        .value_kind:     hidden_remainder_z
      - .offset:         104
        .size:           8
        .value_kind:     hidden_global_offset_x
      - .offset:         112
        .size:           8
        .value_kind:     hidden_global_offset_y
      - .offset:         120
        .size:           8
        .value_kind:     hidden_global_offset_z
      - .offset:         128
        .size:           2
        .value_kind:     hidden_grid_dims
    .group_segment_fixed_size: 512
    .kernarg_segment_align: 8
    .kernarg_segment_size: 320
    .language:       OpenCL C
    .language_version:
      - 2
      - 0
    .max_flat_workgroup_size: 1024
    .name:           _ZL24rocblas_dot_kernel_magsqIlLb1ELi1024ELi32ELb1E19rocblas_complex_numIdEPKS1_S1_EviT5_lT_liPT6_PT4_
    .private_segment_fixed_size: 0
    .sgpr_count:     19
    .sgpr_spill_count: 0
    .symbol:         _ZL24rocblas_dot_kernel_magsqIlLb1ELi1024ELi32ELb1E19rocblas_complex_numIdEPKS1_S1_EviT5_lT_liPT6_PT4_.kd
    .uniform_work_group_size: 1
    .uses_dynamic_stack: false
    .vgpr_count:     16
    .vgpr_spill_count: 0
    .wavefront_size: 32
    .workgroup_processor_mode: 1
  - .args:
      - .offset:         0
        .size:           4
        .value_kind:     by_value
      - .actual_access:  read_only
        .address_space:  global
        .offset:         8
        .size:           8
        .value_kind:     global_buffer
      - .offset:         16
        .size:           8
        .value_kind:     by_value
      - .offset:         24
        .size:           8
        .value_kind:     by_value
      - .offset:         32
        .size:           8
        .value_kind:     by_value
      - .actual_access:  read_only
        .address_space:  global
        .offset:         40
        .size:           8
        .value_kind:     global_buffer
      - .offset:         48
        .size:           8
        .value_kind:     by_value
      - .offset:         56
        .size:           8
        .value_kind:     by_value
      - .offset:         64
        .size:           8
        .value_kind:     by_value
      - .offset:         72
        .size:           4
        .value_kind:     by_value
      - .actual_access:  write_only
        .address_space:  global
        .offset:         80
        .size:           8
        .value_kind:     global_buffer
      - .actual_access:  write_only
        .address_space:  global
        .offset:         88
        .size:           8
        .value_kind:     global_buffer
      - .offset:         96
        .size:           4
        .value_kind:     hidden_block_count_x
      - .offset:         100
        .size:           4
        .value_kind:     hidden_block_count_y
      - .offset:         104
        .size:           4
        .value_kind:     hidden_block_count_z
      - .offset:         108
        .size:           2
        .value_kind:     hidden_group_size_x
      - .offset:         110
        .size:           2
        .value_kind:     hidden_group_size_y
      - .offset:         112
        .size:           2
        .value_kind:     hidden_group_size_z
      - .offset:         114
        .size:           2
        .value_kind:     hidden_remainder_x
      - .offset:         116
        .size:           2
        .value_kind:     hidden_remainder_y
      - .offset:         118
        .size:           2
        .value_kind:     hidden_remainder_z
      - .offset:         136
        .size:           8
        .value_kind:     hidden_global_offset_x
      - .offset:         144
        .size:           8
        .value_kind:     hidden_global_offset_y
      - .offset:         152
        .size:           8
        .value_kind:     hidden_global_offset_z
      - .offset:         160
        .size:           2
        .value_kind:     hidden_grid_dims
    .group_segment_fixed_size: 512
    .kernarg_segment_align: 8
    .kernarg_segment_size: 352
    .language:       OpenCL C
    .language_version:
      - 2
      - 0
    .max_flat_workgroup_size: 512
    .name:           _ZL18rocblas_dot_kernelIlLb0ELi512ELi2ELb1E19rocblas_complex_numIdEPKS1_S1_EviT5_lT_lS4_lS5_liPT6_PT4_
    .private_segment_fixed_size: 0
    .sgpr_count:     28
    .sgpr_spill_count: 0
    .symbol:         _ZL18rocblas_dot_kernelIlLb0ELi512ELi2ELb1E19rocblas_complex_numIdEPKS1_S1_EviT5_lT_lS4_lS5_liPT6_PT4_.kd
    .uniform_work_group_size: 1
    .uses_dynamic_stack: false
    .vgpr_count:     15
    .vgpr_spill_count: 0
    .wavefront_size: 32
    .workgroup_processor_mode: 1
  - .args:
      - .offset:         0
        .size:           4
        .value_kind:     by_value
      - .actual_access:  read_only
        .address_space:  global
        .offset:         8
        .size:           8
        .value_kind:     global_buffer
      - .offset:         16
        .size:           8
        .value_kind:     by_value
      - .offset:         24
        .size:           8
        .value_kind:     by_value
      - .offset:         32
        .size:           8
        .value_kind:     by_value
      - .offset:         40
        .size:           4
        .value_kind:     by_value
      - .actual_access:  write_only
        .address_space:  global
        .offset:         48
        .size:           8
        .value_kind:     global_buffer
      - .actual_access:  write_only
        .address_space:  global
        .offset:         56
        .size:           8
        .value_kind:     global_buffer
      - .offset:         64
        .size:           4
        .value_kind:     hidden_block_count_x
      - .offset:         68
        .size:           4
        .value_kind:     hidden_block_count_y
      - .offset:         72
        .size:           4
        .value_kind:     hidden_block_count_z
      - .offset:         76
        .size:           2
        .value_kind:     hidden_group_size_x
      - .offset:         78
        .size:           2
        .value_kind:     hidden_group_size_y
      - .offset:         80
        .size:           2
        .value_kind:     hidden_group_size_z
      - .offset:         82
        .size:           2
        .value_kind:     hidden_remainder_x
      - .offset:         84
        .size:           2
        .value_kind:     hidden_remainder_y
      - .offset:         86
        .size:           2
        .value_kind:     hidden_remainder_z
      - .offset:         104
        .size:           8
        .value_kind:     hidden_global_offset_x
      - .offset:         112
        .size:           8
        .value_kind:     hidden_global_offset_y
      - .offset:         120
        .size:           8
        .value_kind:     hidden_global_offset_z
      - .offset:         128
        .size:           2
        .value_kind:     hidden_grid_dims
    .group_segment_fixed_size: 512
    .kernarg_segment_align: 8
    .kernarg_segment_size: 320
    .language:       OpenCL C
    .language_version:
      - 2
      - 0
    .max_flat_workgroup_size: 512
    .name:           _ZL24rocblas_dot_kernel_magsqIlLb0ELi512ELi2ELb1E19rocblas_complex_numIdEPKS1_S1_EviT5_lT_liPT6_PT4_
    .private_segment_fixed_size: 0
    .sgpr_count:     20
    .sgpr_spill_count: 0
    .symbol:         _ZL24rocblas_dot_kernel_magsqIlLb0ELi512ELi2ELb1E19rocblas_complex_numIdEPKS1_S1_EviT5_lT_liPT6_PT4_.kd
    .uniform_work_group_size: 1
    .uses_dynamic_stack: false
    .vgpr_count:     15
    .vgpr_spill_count: 0
    .wavefront_size: 32
    .workgroup_processor_mode: 1
  - .args:
      - .offset:         0
        .size:           4
        .value_kind:     by_value
      - .actual_access:  read_only
        .address_space:  global
        .offset:         8
        .size:           8
        .value_kind:     global_buffer
      - .offset:         16
        .size:           8
        .value_kind:     by_value
      - .offset:         24
        .size:           4
        .value_kind:     by_value
      - .offset:         32
        .size:           8
        .value_kind:     by_value
      - .actual_access:  read_only
        .address_space:  global
        .offset:         40
        .size:           8
        .value_kind:     global_buffer
      - .offset:         48
        .size:           8
        .value_kind:     by_value
      - .offset:         56
        .size:           4
        .value_kind:     by_value
      - .offset:         64
        .size:           8
        .value_kind:     by_value
      - .offset:         72
        .size:           4
        .value_kind:     by_value
      - .actual_access:  write_only
        .address_space:  global
        .offset:         80
        .size:           8
        .value_kind:     global_buffer
    .group_segment_fixed_size: 0
    .kernarg_segment_align: 8
    .kernarg_segment_size: 88
    .language:       OpenCL C
    .language_version:
      - 2
      - 0
    .max_flat_workgroup_size: 128
    .name:           _ZL28rocblas_dot_batched_4_kernelIiLi32ELi4ELb0EDF16_DF16_PKPKDF16_EviT5_lT_lS4_lS5_liPT4_
    .private_segment_fixed_size: 0
    .sgpr_count:     18
    .sgpr_spill_count: 0
    .symbol:         _ZL28rocblas_dot_batched_4_kernelIiLi32ELi4ELb0EDF16_DF16_PKPKDF16_EviT5_lT_lS4_lS5_liPT4_.kd
    .uniform_work_group_size: 1
    .uses_dynamic_stack: false
    .vgpr_count:     12
    .vgpr_spill_count: 0
    .wavefront_size: 32
    .workgroup_processor_mode: 1
  - .args:
      - .offset:         0
        .size:           4
        .value_kind:     by_value
      - .actual_access:  read_only
        .address_space:  global
        .offset:         8
        .size:           8
        .value_kind:     global_buffer
      - .offset:         16
        .size:           8
        .value_kind:     by_value
      - .offset:         24
        .size:           4
        .value_kind:     by_value
      - .offset:         32
        .size:           8
        .value_kind:     by_value
      - .actual_access:  read_only
        .address_space:  global
        .offset:         40
        .size:           8
        .value_kind:     global_buffer
      - .offset:         48
        .size:           8
        .value_kind:     by_value
      - .offset:         56
        .size:           4
        .value_kind:     by_value
      - .offset:         64
        .size:           8
        .value_kind:     by_value
      - .offset:         72
        .size:           4
        .value_kind:     by_value
      - .actual_access:  write_only
        .address_space:  global
        .offset:         80
        .size:           8
        .value_kind:     global_buffer
    .group_segment_fixed_size: 0
    .kernarg_segment_align: 8
    .kernarg_segment_size: 88
    .language:       OpenCL C
    .language_version:
      - 2
      - 0
    .max_flat_workgroup_size: 256
    .name:           _ZL28rocblas_dot_batched_4_kernelIiLi64ELi4ELb0EDF16_DF16_PKPKDF16_EviT5_lT_lS4_lS5_liPT4_
    .private_segment_fixed_size: 0
    .sgpr_count:     18
    .sgpr_spill_count: 0
    .symbol:         _ZL28rocblas_dot_batched_4_kernelIiLi64ELi4ELb0EDF16_DF16_PKPKDF16_EviT5_lT_lS4_lS5_liPT4_.kd
    .uniform_work_group_size: 1
    .uses_dynamic_stack: false
    .vgpr_count:     12
    .vgpr_spill_count: 0
    .wavefront_size: 32
    .workgroup_processor_mode: 1
  - .args:
      - .offset:         0
        .size:           4
        .value_kind:     by_value
      - .actual_access:  read_only
        .address_space:  global
        .offset:         8
        .size:           8
        .value_kind:     global_buffer
      - .offset:         16
        .size:           8
        .value_kind:     by_value
      - .offset:         24
        .size:           8
        .value_kind:     by_value
      - .actual_access:  read_only
        .address_space:  global
        .offset:         32
        .size:           8
        .value_kind:     global_buffer
      - .offset:         40
        .size:           8
        .value_kind:     by_value
      - .offset:         48
        .size:           8
        .value_kind:     by_value
      - .offset:         56
        .size:           4
        .value_kind:     by_value
      - .actual_access:  read_only
        .address_space:  global
        .offset:         64
        .size:           8
        .value_kind:     global_buffer
      - .actual_access:  write_only
        .address_space:  global
        .offset:         72
        .size:           8
        .value_kind:     global_buffer
    .group_segment_fixed_size: 64
    .kernarg_segment_align: 8
    .kernarg_segment_size: 80
    .language:       OpenCL C
    .language_version:
      - 2
      - 0
    .max_flat_workgroup_size: 1024
    .name:           _ZL26rocblas_dot_kernel_inc1by2ILb1ELi1024ELi32ELb0EDF16_PKPKDF16_DF16_EviT4_llS4_lliPT5_PT3_
    .private_segment_fixed_size: 0
    .sgpr_count:     21
    .sgpr_spill_count: 0
    .symbol:         _ZL26rocblas_dot_kernel_inc1by2ILb1ELi1024ELi32ELb0EDF16_PKPKDF16_DF16_EviT4_llS4_lliPT5_PT3_.kd
    .uniform_work_group_size: 1
    .uses_dynamic_stack: false
    .vgpr_count:     11
    .vgpr_spill_count: 0
    .wavefront_size: 32
    .workgroup_processor_mode: 1
  - .args:
      - .offset:         0
        .size:           4
        .value_kind:     by_value
      - .actual_access:  read_only
        .address_space:  global
        .offset:         8
        .size:           8
        .value_kind:     global_buffer
      - .offset:         16
        .size:           8
        .value_kind:     by_value
      - .offset:         24
        .size:           4
        .value_kind:     by_value
      - .offset:         32
        .size:           8
        .value_kind:     by_value
      - .actual_access:  read_only
        .address_space:  global
        .offset:         40
        .size:           8
        .value_kind:     global_buffer
      - .offset:         48
        .size:           8
        .value_kind:     by_value
      - .offset:         56
        .size:           4
        .value_kind:     by_value
      - .offset:         64
        .size:           8
        .value_kind:     by_value
      - .offset:         72
        .size:           4
        .value_kind:     by_value
      - .actual_access:  read_only
        .address_space:  global
        .offset:         80
        .size:           8
        .value_kind:     global_buffer
      - .actual_access:  write_only
        .address_space:  global
        .offset:         88
        .size:           8
        .value_kind:     global_buffer
      - .offset:         96
        .size:           4
        .value_kind:     hidden_block_count_x
      - .offset:         100
        .size:           4
        .value_kind:     hidden_block_count_y
      - .offset:         104
        .size:           4
        .value_kind:     hidden_block_count_z
      - .offset:         108
        .size:           2
        .value_kind:     hidden_group_size_x
      - .offset:         110
        .size:           2
        .value_kind:     hidden_group_size_y
      - .offset:         112
        .size:           2
        .value_kind:     hidden_group_size_z
      - .offset:         114
        .size:           2
        .value_kind:     hidden_remainder_x
      - .offset:         116
        .size:           2
        .value_kind:     hidden_remainder_y
      - .offset:         118
        .size:           2
        .value_kind:     hidden_remainder_z
      - .offset:         136
        .size:           8
        .value_kind:     hidden_global_offset_x
      - .offset:         144
        .size:           8
        .value_kind:     hidden_global_offset_y
      - .offset:         152
        .size:           8
        .value_kind:     hidden_global_offset_z
      - .offset:         160
        .size:           2
        .value_kind:     hidden_grid_dims
    .group_segment_fixed_size: 64
    .kernarg_segment_align: 8
    .kernarg_segment_size: 352
    .language:       OpenCL C
    .language_version:
      - 2
      - 0
    .max_flat_workgroup_size: 1024
    .name:           _ZL18rocblas_dot_kernelIiLb1ELi1024ELi32ELb0EDF16_PKPKDF16_DF16_EviT5_lT_lS4_lS5_liPT6_PT4_
    .private_segment_fixed_size: 0
    .sgpr_count:     23
    .sgpr_spill_count: 0
    .symbol:         _ZL18rocblas_dot_kernelIiLb1ELi1024ELi32ELb0EDF16_PKPKDF16_DF16_EviT5_lT_lS4_lS5_liPT6_PT4_.kd
    .uniform_work_group_size: 1
    .uses_dynamic_stack: false
    .vgpr_count:     11
    .vgpr_spill_count: 0
    .wavefront_size: 32
    .workgroup_processor_mode: 1
  - .args:
      - .offset:         0
        .size:           4
        .value_kind:     by_value
      - .actual_access:  read_only
        .address_space:  global
        .offset:         8
        .size:           8
        .value_kind:     global_buffer
      - .offset:         16
        .size:           8
        .value_kind:     by_value
      - .offset:         24
        .size:           4
        .value_kind:     by_value
      - .offset:         32
        .size:           8
        .value_kind:     by_value
      - .offset:         40
        .size:           4
        .value_kind:     by_value
      - .actual_access:  read_only
        .address_space:  global
        .offset:         48
        .size:           8
        .value_kind:     global_buffer
      - .actual_access:  write_only
        .address_space:  global
        .offset:         56
        .size:           8
        .value_kind:     global_buffer
      - .offset:         64
        .size:           4
        .value_kind:     hidden_block_count_x
      - .offset:         68
        .size:           4
        .value_kind:     hidden_block_count_y
      - .offset:         72
        .size:           4
        .value_kind:     hidden_block_count_z
      - .offset:         76
        .size:           2
        .value_kind:     hidden_group_size_x
      - .offset:         78
        .size:           2
        .value_kind:     hidden_group_size_y
      - .offset:         80
        .size:           2
        .value_kind:     hidden_group_size_z
      - .offset:         82
        .size:           2
        .value_kind:     hidden_remainder_x
      - .offset:         84
        .size:           2
        .value_kind:     hidden_remainder_y
      - .offset:         86
        .size:           2
        .value_kind:     hidden_remainder_z
      - .offset:         104
        .size:           8
        .value_kind:     hidden_global_offset_x
      - .offset:         112
        .size:           8
        .value_kind:     hidden_global_offset_y
      - .offset:         120
        .size:           8
        .value_kind:     hidden_global_offset_z
      - .offset:         128
        .size:           2
        .value_kind:     hidden_grid_dims
    .group_segment_fixed_size: 64
    .kernarg_segment_align: 8
    .kernarg_segment_size: 320
    .language:       OpenCL C
    .language_version:
      - 2
      - 0
    .max_flat_workgroup_size: 1024
    .name:           _ZL24rocblas_dot_kernel_magsqIiLb1ELi1024ELi32ELb0EDF16_PKPKDF16_DF16_EviT5_lT_liPT6_PT4_
    .private_segment_fixed_size: 0
    .sgpr_count:     19
    .sgpr_spill_count: 0
    .symbol:         _ZL24rocblas_dot_kernel_magsqIiLb1ELi1024ELi32ELb0EDF16_PKPKDF16_DF16_EviT5_lT_liPT6_PT4_.kd
    .uniform_work_group_size: 1
    .uses_dynamic_stack: false
    .vgpr_count:     11
    .vgpr_spill_count: 0
    .wavefront_size: 32
    .workgroup_processor_mode: 1
  - .args:
      - .offset:         0
        .size:           4
        .value_kind:     by_value
      - .actual_access:  read_only
        .address_space:  global
        .offset:         8
        .size:           8
        .value_kind:     global_buffer
      - .offset:         16
        .size:           8
        .value_kind:     by_value
      - .offset:         24
        .size:           4
        .value_kind:     by_value
      - .offset:         32
        .size:           8
        .value_kind:     by_value
      - .actual_access:  read_only
        .address_space:  global
        .offset:         40
        .size:           8
        .value_kind:     global_buffer
      - .offset:         48
        .size:           8
        .value_kind:     by_value
      - .offset:         56
        .size:           4
        .value_kind:     by_value
      - .offset:         64
        .size:           8
        .value_kind:     by_value
      - .actual_access:  read_only
        .address_space:  global
        .offset:         72
        .size:           8
        .value_kind:     global_buffer
      - .actual_access:  read_only
        .address_space:  global
        .offset:         80
        .size:           8
        .value_kind:     global_buffer
    .group_segment_fixed_size: 0
    .kernarg_segment_align: 8
    .kernarg_segment_size: 88
    .language:       OpenCL C
    .language_version:
      - 2
      - 0
    .max_flat_workgroup_size: 1024
    .name:           _ZL38rocblas_dot_kernel_gfx942_float_doubleIiLi1024EDF16_PKPKDF16_DF16_EviT2_lT_lS4_lS5_lPT3_PT1_
    .private_segment_fixed_size: 0
    .sgpr_count:     0
    .sgpr_spill_count: 0
    .symbol:         _ZL38rocblas_dot_kernel_gfx942_float_doubleIiLi1024EDF16_PKPKDF16_DF16_EviT2_lT_lS4_lS5_lPT3_PT1_.kd
    .uniform_work_group_size: 1
    .uses_dynamic_stack: false
    .vgpr_count:     0
    .vgpr_spill_count: 0
    .wavefront_size: 32
    .workgroup_processor_mode: 1
  - .args:
      - .offset:         0
        .size:           4
        .value_kind:     by_value
      - .actual_access:  read_only
        .address_space:  global
        .offset:         8
        .size:           8
        .value_kind:     global_buffer
      - .offset:         16
        .size:           8
        .value_kind:     by_value
      - .offset:         24
        .size:           8
        .value_kind:     by_value
      - .actual_access:  read_only
        .address_space:  global
        .offset:         32
        .size:           8
        .value_kind:     global_buffer
      - .offset:         40
        .size:           8
        .value_kind:     by_value
      - .offset:         48
        .size:           8
        .value_kind:     by_value
      - .offset:         56
        .size:           4
        .value_kind:     by_value
      - .actual_access:  write_only
        .address_space:  global
        .offset:         64
        .size:           8
        .value_kind:     global_buffer
      - .actual_access:  write_only
        .address_space:  global
        .offset:         72
        .size:           8
        .value_kind:     global_buffer
      - .offset:         80
        .size:           4
        .value_kind:     hidden_block_count_x
      - .offset:         84
        .size:           4
        .value_kind:     hidden_block_count_y
      - .offset:         88
        .size:           4
        .value_kind:     hidden_block_count_z
      - .offset:         92
        .size:           2
        .value_kind:     hidden_group_size_x
      - .offset:         94
        .size:           2
        .value_kind:     hidden_group_size_y
      - .offset:         96
        .size:           2
        .value_kind:     hidden_group_size_z
      - .offset:         98
        .size:           2
        .value_kind:     hidden_remainder_x
      - .offset:         100
        .size:           2
        .value_kind:     hidden_remainder_y
      - .offset:         102
        .size:           2
        .value_kind:     hidden_remainder_z
      - .offset:         120
        .size:           8
        .value_kind:     hidden_global_offset_x
      - .offset:         128
        .size:           8
        .value_kind:     hidden_global_offset_y
      - .offset:         136
        .size:           8
        .value_kind:     hidden_global_offset_z
      - .offset:         144
        .size:           2
        .value_kind:     hidden_grid_dims
    .group_segment_fixed_size: 64
    .kernarg_segment_align: 8
    .kernarg_segment_size: 336
    .language:       OpenCL C
    .language_version:
      - 2
      - 0
    .max_flat_workgroup_size: 512
    .name:           _ZL23rocblas_dot_kernel_inc1ILb0ELi512ELi8ELb0EDF16_PKPKDF16_DF16_EviT4_llS4_lliPT5_PT3_
    .private_segment_fixed_size: 0
    .sgpr_count:     26
    .sgpr_spill_count: 0
    .symbol:         _ZL23rocblas_dot_kernel_inc1ILb0ELi512ELi8ELb0EDF16_PKPKDF16_DF16_EviT4_llS4_lliPT5_PT3_.kd
    .uniform_work_group_size: 1
    .uses_dynamic_stack: false
    .vgpr_count:     10
    .vgpr_spill_count: 0
    .wavefront_size: 32
    .workgroup_processor_mode: 1
  - .args:
      - .offset:         0
        .size:           4
        .value_kind:     by_value
      - .actual_access:  read_only
        .address_space:  global
        .offset:         8
        .size:           8
        .value_kind:     global_buffer
      - .offset:         16
        .size:           8
        .value_kind:     by_value
      - .offset:         24
        .size:           4
        .value_kind:     by_value
      - .offset:         32
        .size:           8
        .value_kind:     by_value
      - .actual_access:  read_only
        .address_space:  global
        .offset:         40
        .size:           8
        .value_kind:     global_buffer
      - .offset:         48
        .size:           8
        .value_kind:     by_value
      - .offset:         56
        .size:           4
        .value_kind:     by_value
      - .offset:         64
        .size:           8
        .value_kind:     by_value
      - .offset:         72
        .size:           4
        .value_kind:     by_value
      - .actual_access:  write_only
        .address_space:  global
        .offset:         80
        .size:           8
        .value_kind:     global_buffer
      - .actual_access:  write_only
        .address_space:  global
        .offset:         88
        .size:           8
        .value_kind:     global_buffer
      - .offset:         96
        .size:           4
        .value_kind:     hidden_block_count_x
      - .offset:         100
        .size:           4
        .value_kind:     hidden_block_count_y
      - .offset:         104
        .size:           4
        .value_kind:     hidden_block_count_z
      - .offset:         108
        .size:           2
        .value_kind:     hidden_group_size_x
      - .offset:         110
        .size:           2
        .value_kind:     hidden_group_size_y
      - .offset:         112
        .size:           2
        .value_kind:     hidden_group_size_z
      - .offset:         114
        .size:           2
        .value_kind:     hidden_remainder_x
      - .offset:         116
        .size:           2
        .value_kind:     hidden_remainder_y
      - .offset:         118
        .size:           2
        .value_kind:     hidden_remainder_z
      - .offset:         136
        .size:           8
        .value_kind:     hidden_global_offset_x
      - .offset:         144
        .size:           8
        .value_kind:     hidden_global_offset_y
      - .offset:         152
        .size:           8
        .value_kind:     hidden_global_offset_z
      - .offset:         160
        .size:           2
        .value_kind:     hidden_grid_dims
    .group_segment_fixed_size: 64
    .kernarg_segment_align: 8
    .kernarg_segment_size: 352
    .language:       OpenCL C
    .language_version:
      - 2
      - 0
    .max_flat_workgroup_size: 512
    .name:           _ZL18rocblas_dot_kernelIiLb0ELi512ELi8ELb0EDF16_PKPKDF16_DF16_EviT5_lT_lS4_lS5_liPT6_PT4_
    .private_segment_fixed_size: 0
    .sgpr_count:     27
    .sgpr_spill_count: 0
    .symbol:         _ZL18rocblas_dot_kernelIiLb0ELi512ELi8ELb0EDF16_PKPKDF16_DF16_EviT5_lT_lS4_lS5_liPT6_PT4_.kd
    .uniform_work_group_size: 1
    .uses_dynamic_stack: false
    .vgpr_count:     10
    .vgpr_spill_count: 0
    .wavefront_size: 32
    .workgroup_processor_mode: 1
  - .args:
      - .offset:         0
        .size:           4
        .value_kind:     by_value
      - .actual_access:  read_only
        .address_space:  global
        .offset:         8
        .size:           8
        .value_kind:     global_buffer
      - .offset:         16
        .size:           8
        .value_kind:     by_value
      - .offset:         24
        .size:           4
        .value_kind:     by_value
      - .offset:         32
        .size:           8
        .value_kind:     by_value
      - .offset:         40
        .size:           4
        .value_kind:     by_value
      - .actual_access:  write_only
        .address_space:  global
        .offset:         48
        .size:           8
        .value_kind:     global_buffer
      - .actual_access:  write_only
        .address_space:  global
        .offset:         56
        .size:           8
        .value_kind:     global_buffer
      - .offset:         64
        .size:           4
        .value_kind:     hidden_block_count_x
      - .offset:         68
        .size:           4
        .value_kind:     hidden_block_count_y
      - .offset:         72
        .size:           4
        .value_kind:     hidden_block_count_z
      - .offset:         76
        .size:           2
        .value_kind:     hidden_group_size_x
      - .offset:         78
        .size:           2
        .value_kind:     hidden_group_size_y
      - .offset:         80
        .size:           2
        .value_kind:     hidden_group_size_z
      - .offset:         82
        .size:           2
        .value_kind:     hidden_remainder_x
      - .offset:         84
        .size:           2
        .value_kind:     hidden_remainder_y
      - .offset:         86
        .size:           2
        .value_kind:     hidden_remainder_z
      - .offset:         104
        .size:           8
        .value_kind:     hidden_global_offset_x
      - .offset:         112
        .size:           8
        .value_kind:     hidden_global_offset_y
      - .offset:         120
        .size:           8
        .value_kind:     hidden_global_offset_z
      - .offset:         128
        .size:           2
        .value_kind:     hidden_grid_dims
    .group_segment_fixed_size: 64
    .kernarg_segment_align: 8
    .kernarg_segment_size: 320
    .language:       OpenCL C
    .language_version:
      - 2
      - 0
    .max_flat_workgroup_size: 512
    .name:           _ZL24rocblas_dot_kernel_magsqIiLb0ELi512ELi8ELb0EDF16_PKPKDF16_DF16_EviT5_lT_liPT6_PT4_
    .private_segment_fixed_size: 0
    .sgpr_count:     22
    .sgpr_spill_count: 0
    .symbol:         _ZL24rocblas_dot_kernel_magsqIiLb0ELi512ELi8ELb0EDF16_PKPKDF16_DF16_EviT5_lT_liPT6_PT4_.kd
    .uniform_work_group_size: 1
    .uses_dynamic_stack: false
    .vgpr_count:     10
    .vgpr_spill_count: 0
    .wavefront_size: 32
    .workgroup_processor_mode: 1
  - .args:
      - .offset:         0
        .size:           4
        .value_kind:     by_value
      - .actual_access:  read_only
        .address_space:  global
        .offset:         8
        .size:           8
        .value_kind:     global_buffer
      - .offset:         16
        .size:           8
        .value_kind:     by_value
      - .offset:         24
        .size:           8
        .value_kind:     by_value
      - .offset:         32
        .size:           8
        .value_kind:     by_value
      - .actual_access:  read_only
        .address_space:  global
        .offset:         40
        .size:           8
        .value_kind:     global_buffer
      - .offset:         48
        .size:           8
        .value_kind:     by_value
      - .offset:         56
        .size:           8
        .value_kind:     by_value
      - .offset:         64
        .size:           8
        .value_kind:     by_value
      - .offset:         72
        .size:           4
        .value_kind:     by_value
      - .actual_access:  write_only
        .address_space:  global
        .offset:         80
        .size:           8
        .value_kind:     global_buffer
    .group_segment_fixed_size: 0
    .kernarg_segment_align: 8
    .kernarg_segment_size: 88
    .language:       OpenCL C
    .language_version:
      - 2
      - 0
    .max_flat_workgroup_size: 128
    .name:           _ZL28rocblas_dot_batched_4_kernelIlLi32ELi4ELb0EDF16_DF16_PKPKDF16_EviT5_lT_lS4_lS5_liPT4_
    .private_segment_fixed_size: 0
    .sgpr_count:     18
    .sgpr_spill_count: 0
    .symbol:         _ZL28rocblas_dot_batched_4_kernelIlLi32ELi4ELb0EDF16_DF16_PKPKDF16_EviT5_lT_lS4_lS5_liPT4_.kd
    .uniform_work_group_size: 1
    .uses_dynamic_stack: false
    .vgpr_count:     14
    .vgpr_spill_count: 0
    .wavefront_size: 32
    .workgroup_processor_mode: 1
  - .args:
      - .offset:         0
        .size:           4
        .value_kind:     by_value
      - .actual_access:  read_only
        .address_space:  global
        .offset:         8
        .size:           8
        .value_kind:     global_buffer
      - .offset:         16
        .size:           8
        .value_kind:     by_value
      - .offset:         24
        .size:           8
        .value_kind:     by_value
      - .offset:         32
        .size:           8
        .value_kind:     by_value
      - .actual_access:  read_only
        .address_space:  global
        .offset:         40
        .size:           8
        .value_kind:     global_buffer
      - .offset:         48
        .size:           8
        .value_kind:     by_value
      - .offset:         56
        .size:           8
        .value_kind:     by_value
      - .offset:         64
        .size:           8
        .value_kind:     by_value
      - .offset:         72
        .size:           4
        .value_kind:     by_value
      - .actual_access:  write_only
        .address_space:  global
        .offset:         80
        .size:           8
        .value_kind:     global_buffer
    .group_segment_fixed_size: 0
    .kernarg_segment_align: 8
    .kernarg_segment_size: 88
    .language:       OpenCL C
    .language_version:
      - 2
      - 0
    .max_flat_workgroup_size: 256
    .name:           _ZL28rocblas_dot_batched_4_kernelIlLi64ELi4ELb0EDF16_DF16_PKPKDF16_EviT5_lT_lS4_lS5_liPT4_
    .private_segment_fixed_size: 0
    .sgpr_count:     18
    .sgpr_spill_count: 0
    .symbol:         _ZL28rocblas_dot_batched_4_kernelIlLi64ELi4ELb0EDF16_DF16_PKPKDF16_EviT5_lT_lS4_lS5_liPT4_.kd
    .uniform_work_group_size: 1
    .uses_dynamic_stack: false
    .vgpr_count:     14
    .vgpr_spill_count: 0
    .wavefront_size: 32
    .workgroup_processor_mode: 1
  - .args:
      - .offset:         0
        .size:           4
        .value_kind:     by_value
      - .actual_access:  read_only
        .address_space:  global
        .offset:         8
        .size:           8
        .value_kind:     global_buffer
      - .offset:         16
        .size:           8
        .value_kind:     by_value
      - .offset:         24
        .size:           8
        .value_kind:     by_value
      - .offset:         32
        .size:           8
        .value_kind:     by_value
      - .actual_access:  read_only
        .address_space:  global
        .offset:         40
        .size:           8
        .value_kind:     global_buffer
      - .offset:         48
        .size:           8
        .value_kind:     by_value
      - .offset:         56
        .size:           8
        .value_kind:     by_value
      - .offset:         64
        .size:           8
        .value_kind:     by_value
      - .offset:         72
        .size:           4
        .value_kind:     by_value
      - .actual_access:  read_only
        .address_space:  global
        .offset:         80
        .size:           8
        .value_kind:     global_buffer
      - .actual_access:  write_only
        .address_space:  global
        .offset:         88
        .size:           8
        .value_kind:     global_buffer
      - .offset:         96
        .size:           4
        .value_kind:     hidden_block_count_x
      - .offset:         100
        .size:           4
        .value_kind:     hidden_block_count_y
      - .offset:         104
        .size:           4
        .value_kind:     hidden_block_count_z
      - .offset:         108
        .size:           2
        .value_kind:     hidden_group_size_x
      - .offset:         110
        .size:           2
        .value_kind:     hidden_group_size_y
      - .offset:         112
        .size:           2
        .value_kind:     hidden_group_size_z
      - .offset:         114
        .size:           2
        .value_kind:     hidden_remainder_x
      - .offset:         116
        .size:           2
        .value_kind:     hidden_remainder_y
      - .offset:         118
        .size:           2
        .value_kind:     hidden_remainder_z
      - .offset:         136
        .size:           8
        .value_kind:     hidden_global_offset_x
      - .offset:         144
        .size:           8
        .value_kind:     hidden_global_offset_y
      - .offset:         152
        .size:           8
        .value_kind:     hidden_global_offset_z
      - .offset:         160
        .size:           2
        .value_kind:     hidden_grid_dims
    .group_segment_fixed_size: 64
    .kernarg_segment_align: 8
    .kernarg_segment_size: 352
    .language:       OpenCL C
    .language_version:
      - 2
      - 0
    .max_flat_workgroup_size: 1024
    .name:           _ZL18rocblas_dot_kernelIlLb1ELi1024ELi32ELb0EDF16_PKPKDF16_DF16_EviT5_lT_lS4_lS5_liPT6_PT4_
    .private_segment_fixed_size: 0
    .sgpr_count:     27
    .sgpr_spill_count: 0
    .symbol:         _ZL18rocblas_dot_kernelIlLb1ELi1024ELi32ELb0EDF16_PKPKDF16_DF16_EviT5_lT_lS4_lS5_liPT6_PT4_.kd
    .uniform_work_group_size: 1
    .uses_dynamic_stack: false
    .vgpr_count:     11
    .vgpr_spill_count: 0
    .wavefront_size: 32
    .workgroup_processor_mode: 1
  - .args:
      - .offset:         0
        .size:           4
        .value_kind:     by_value
      - .actual_access:  read_only
        .address_space:  global
        .offset:         8
        .size:           8
        .value_kind:     global_buffer
      - .offset:         16
        .size:           8
        .value_kind:     by_value
      - .offset:         24
        .size:           8
        .value_kind:     by_value
      - .offset:         32
        .size:           8
        .value_kind:     by_value
      - .offset:         40
        .size:           4
        .value_kind:     by_value
      - .actual_access:  read_only
        .address_space:  global
        .offset:         48
        .size:           8
        .value_kind:     global_buffer
      - .actual_access:  write_only
        .address_space:  global
        .offset:         56
        .size:           8
        .value_kind:     global_buffer
      - .offset:         64
        .size:           4
        .value_kind:     hidden_block_count_x
      - .offset:         68
        .size:           4
        .value_kind:     hidden_block_count_y
      - .offset:         72
        .size:           4
        .value_kind:     hidden_block_count_z
      - .offset:         76
        .size:           2
        .value_kind:     hidden_group_size_x
      - .offset:         78
        .size:           2
        .value_kind:     hidden_group_size_y
      - .offset:         80
        .size:           2
        .value_kind:     hidden_group_size_z
      - .offset:         82
        .size:           2
        .value_kind:     hidden_remainder_x
      - .offset:         84
        .size:           2
        .value_kind:     hidden_remainder_y
      - .offset:         86
        .size:           2
        .value_kind:     hidden_remainder_z
      - .offset:         104
        .size:           8
        .value_kind:     hidden_global_offset_x
      - .offset:         112
        .size:           8
        .value_kind:     hidden_global_offset_y
      - .offset:         120
        .size:           8
        .value_kind:     hidden_global_offset_z
      - .offset:         128
        .size:           2
        .value_kind:     hidden_grid_dims
    .group_segment_fixed_size: 64
    .kernarg_segment_align: 8
    .kernarg_segment_size: 320
    .language:       OpenCL C
    .language_version:
      - 2
      - 0
    .max_flat_workgroup_size: 1024
    .name:           _ZL24rocblas_dot_kernel_magsqIlLb1ELi1024ELi32ELb0EDF16_PKPKDF16_DF16_EviT5_lT_liPT6_PT4_
    .private_segment_fixed_size: 0
    .sgpr_count:     19
    .sgpr_spill_count: 0
    .symbol:         _ZL24rocblas_dot_kernel_magsqIlLb1ELi1024ELi32ELb0EDF16_PKPKDF16_DF16_EviT5_lT_liPT6_PT4_.kd
    .uniform_work_group_size: 1
    .uses_dynamic_stack: false
    .vgpr_count:     11
    .vgpr_spill_count: 0
    .wavefront_size: 32
    .workgroup_processor_mode: 1
  - .args:
      - .offset:         0
        .size:           4
        .value_kind:     by_value
      - .actual_access:  read_only
        .address_space:  global
        .offset:         8
        .size:           8
        .value_kind:     global_buffer
      - .offset:         16
        .size:           8
        .value_kind:     by_value
      - .offset:         24
        .size:           8
        .value_kind:     by_value
      - .offset:         32
        .size:           8
        .value_kind:     by_value
      - .actual_access:  read_only
        .address_space:  global
        .offset:         40
        .size:           8
        .value_kind:     global_buffer
      - .offset:         48
        .size:           8
        .value_kind:     by_value
      - .offset:         56
        .size:           8
        .value_kind:     by_value
      - .offset:         64
        .size:           8
        .value_kind:     by_value
      - .actual_access:  read_only
        .address_space:  global
        .offset:         72
        .size:           8
        .value_kind:     global_buffer
      - .actual_access:  read_only
        .address_space:  global
        .offset:         80
        .size:           8
        .value_kind:     global_buffer
    .group_segment_fixed_size: 0
    .kernarg_segment_align: 8
    .kernarg_segment_size: 88
    .language:       OpenCL C
    .language_version:
      - 2
      - 0
    .max_flat_workgroup_size: 1024
    .name:           _ZL38rocblas_dot_kernel_gfx942_float_doubleIlLi1024EDF16_PKPKDF16_DF16_EviT2_lT_lS4_lS5_lPT3_PT1_
    .private_segment_fixed_size: 0
    .sgpr_count:     0
    .sgpr_spill_count: 0
    .symbol:         _ZL38rocblas_dot_kernel_gfx942_float_doubleIlLi1024EDF16_PKPKDF16_DF16_EviT2_lT_lS4_lS5_lPT3_PT1_.kd
    .uniform_work_group_size: 1
    .uses_dynamic_stack: false
    .vgpr_count:     0
    .vgpr_spill_count: 0
    .wavefront_size: 32
    .workgroup_processor_mode: 1
  - .args:
      - .offset:         0
        .size:           4
        .value_kind:     by_value
      - .actual_access:  read_only
        .address_space:  global
        .offset:         8
        .size:           8
        .value_kind:     global_buffer
      - .offset:         16
        .size:           8
        .value_kind:     by_value
      - .offset:         24
        .size:           8
        .value_kind:     by_value
      - .offset:         32
        .size:           8
        .value_kind:     by_value
      - .actual_access:  read_only
        .address_space:  global
        .offset:         40
        .size:           8
        .value_kind:     global_buffer
      - .offset:         48
        .size:           8
        .value_kind:     by_value
      - .offset:         56
        .size:           8
        .value_kind:     by_value
      - .offset:         64
        .size:           8
        .value_kind:     by_value
      - .offset:         72
        .size:           4
        .value_kind:     by_value
      - .actual_access:  write_only
        .address_space:  global
        .offset:         80
        .size:           8
        .value_kind:     global_buffer
      - .actual_access:  write_only
        .address_space:  global
        .offset:         88
        .size:           8
        .value_kind:     global_buffer
      - .offset:         96
        .size:           4
        .value_kind:     hidden_block_count_x
      - .offset:         100
        .size:           4
        .value_kind:     hidden_block_count_y
      - .offset:         104
        .size:           4
        .value_kind:     hidden_block_count_z
      - .offset:         108
        .size:           2
        .value_kind:     hidden_group_size_x
      - .offset:         110
        .size:           2
        .value_kind:     hidden_group_size_y
      - .offset:         112
        .size:           2
        .value_kind:     hidden_group_size_z
      - .offset:         114
        .size:           2
        .value_kind:     hidden_remainder_x
      - .offset:         116
        .size:           2
        .value_kind:     hidden_remainder_y
      - .offset:         118
        .size:           2
        .value_kind:     hidden_remainder_z
      - .offset:         136
        .size:           8
        .value_kind:     hidden_global_offset_x
      - .offset:         144
        .size:           8
        .value_kind:     hidden_global_offset_y
      - .offset:         152
        .size:           8
        .value_kind:     hidden_global_offset_z
      - .offset:         160
        .size:           2
        .value_kind:     hidden_grid_dims
    .group_segment_fixed_size: 64
    .kernarg_segment_align: 8
    .kernarg_segment_size: 352
    .language:       OpenCL C
    .language_version:
      - 2
      - 0
    .max_flat_workgroup_size: 512
    .name:           _ZL18rocblas_dot_kernelIlLb0ELi512ELi8ELb0EDF16_PKPKDF16_DF16_EviT5_lT_lS4_lS5_liPT6_PT4_
    .private_segment_fixed_size: 0
    .sgpr_count:     31
    .sgpr_spill_count: 0
    .symbol:         _ZL18rocblas_dot_kernelIlLb0ELi512ELi8ELb0EDF16_PKPKDF16_DF16_EviT5_lT_lS4_lS5_liPT6_PT4_.kd
    .uniform_work_group_size: 1
    .uses_dynamic_stack: false
    .vgpr_count:     12
    .vgpr_spill_count: 0
    .wavefront_size: 32
    .workgroup_processor_mode: 1
  - .args:
      - .offset:         0
        .size:           4
        .value_kind:     by_value
      - .actual_access:  read_only
        .address_space:  global
        .offset:         8
        .size:           8
        .value_kind:     global_buffer
      - .offset:         16
        .size:           8
        .value_kind:     by_value
      - .offset:         24
        .size:           8
        .value_kind:     by_value
      - .offset:         32
        .size:           8
        .value_kind:     by_value
      - .offset:         40
        .size:           4
        .value_kind:     by_value
      - .actual_access:  write_only
        .address_space:  global
        .offset:         48
        .size:           8
        .value_kind:     global_buffer
      - .actual_access:  write_only
        .address_space:  global
        .offset:         56
        .size:           8
        .value_kind:     global_buffer
      - .offset:         64
        .size:           4
        .value_kind:     hidden_block_count_x
      - .offset:         68
        .size:           4
        .value_kind:     hidden_block_count_y
      - .offset:         72
        .size:           4
        .value_kind:     hidden_block_count_z
      - .offset:         76
        .size:           2
        .value_kind:     hidden_group_size_x
      - .offset:         78
        .size:           2
        .value_kind:     hidden_group_size_y
      - .offset:         80
        .size:           2
        .value_kind:     hidden_group_size_z
      - .offset:         82
        .size:           2
        .value_kind:     hidden_remainder_x
      - .offset:         84
        .size:           2
        .value_kind:     hidden_remainder_y
      - .offset:         86
        .size:           2
        .value_kind:     hidden_remainder_z
      - .offset:         104
        .size:           8
        .value_kind:     hidden_global_offset_x
      - .offset:         112
        .size:           8
        .value_kind:     hidden_global_offset_y
      - .offset:         120
        .size:           8
        .value_kind:     hidden_global_offset_z
      - .offset:         128
        .size:           2
        .value_kind:     hidden_grid_dims
    .group_segment_fixed_size: 64
    .kernarg_segment_align: 8
    .kernarg_segment_size: 320
    .language:       OpenCL C
    .language_version:
      - 2
      - 0
    .max_flat_workgroup_size: 512
    .name:           _ZL24rocblas_dot_kernel_magsqIlLb0ELi512ELi8ELb0EDF16_PKPKDF16_DF16_EviT5_lT_liPT6_PT4_
    .private_segment_fixed_size: 0
    .sgpr_count:     22
    .sgpr_spill_count: 0
    .symbol:         _ZL24rocblas_dot_kernel_magsqIlLb0ELi512ELi8ELb0EDF16_PKPKDF16_DF16_EviT5_lT_liPT6_PT4_.kd
    .uniform_work_group_size: 1
    .uses_dynamic_stack: false
    .vgpr_count:     10
    .vgpr_spill_count: 0
    .wavefront_size: 32
    .workgroup_processor_mode: 1
  - .args:
      - .offset:         0
        .size:           4
        .value_kind:     by_value
      - .actual_access:  read_only
        .address_space:  global
        .offset:         8
        .size:           8
        .value_kind:     global_buffer
      - .offset:         16
        .size:           8
        .value_kind:     by_value
      - .offset:         24
        .size:           4
        .value_kind:     by_value
      - .offset:         32
        .size:           8
        .value_kind:     by_value
      - .actual_access:  read_only
        .address_space:  global
        .offset:         40
        .size:           8
        .value_kind:     global_buffer
      - .offset:         48
        .size:           8
        .value_kind:     by_value
      - .offset:         56
        .size:           4
        .value_kind:     by_value
      - .offset:         64
        .size:           8
        .value_kind:     by_value
      - .offset:         72
        .size:           4
        .value_kind:     by_value
      - .actual_access:  write_only
        .address_space:  global
        .offset:         80
        .size:           8
        .value_kind:     global_buffer
    .group_segment_fixed_size: 0
    .kernarg_segment_align: 8
    .kernarg_segment_size: 88
    .language:       OpenCL C
    .language_version:
      - 2
      - 0
    .max_flat_workgroup_size: 128
    .name:           _ZL28rocblas_dot_batched_4_kernelIiLi32ELi4ELb0Ef16rocblas_bfloat16PKPKS0_EviT5_lT_lS5_lS6_liPT4_
    .private_segment_fixed_size: 0
    .sgpr_count:     18
    .sgpr_spill_count: 0
    .symbol:         _ZL28rocblas_dot_batched_4_kernelIiLi32ELi4ELb0Ef16rocblas_bfloat16PKPKS0_EviT5_lT_lS5_lS6_liPT4_.kd
    .uniform_work_group_size: 1
    .uses_dynamic_stack: false
    .vgpr_count:     12
    .vgpr_spill_count: 0
    .wavefront_size: 32
    .workgroup_processor_mode: 1
  - .args:
      - .offset:         0
        .size:           4
        .value_kind:     by_value
      - .actual_access:  read_only
        .address_space:  global
        .offset:         8
        .size:           8
        .value_kind:     global_buffer
      - .offset:         16
        .size:           8
        .value_kind:     by_value
      - .offset:         24
        .size:           4
        .value_kind:     by_value
      - .offset:         32
        .size:           8
        .value_kind:     by_value
      - .actual_access:  read_only
        .address_space:  global
        .offset:         40
        .size:           8
        .value_kind:     global_buffer
      - .offset:         48
        .size:           8
        .value_kind:     by_value
      - .offset:         56
        .size:           4
        .value_kind:     by_value
      - .offset:         64
        .size:           8
        .value_kind:     by_value
      - .offset:         72
        .size:           4
        .value_kind:     by_value
      - .actual_access:  write_only
        .address_space:  global
        .offset:         80
        .size:           8
        .value_kind:     global_buffer
    .group_segment_fixed_size: 0
    .kernarg_segment_align: 8
    .kernarg_segment_size: 88
    .language:       OpenCL C
    .language_version:
      - 2
      - 0
    .max_flat_workgroup_size: 256
    .name:           _ZL28rocblas_dot_batched_4_kernelIiLi64ELi4ELb0Ef16rocblas_bfloat16PKPKS0_EviT5_lT_lS5_lS6_liPT4_
    .private_segment_fixed_size: 0
    .sgpr_count:     18
    .sgpr_spill_count: 0
    .symbol:         _ZL28rocblas_dot_batched_4_kernelIiLi64ELi4ELb0Ef16rocblas_bfloat16PKPKS0_EviT5_lT_lS5_lS6_liPT4_.kd
    .uniform_work_group_size: 1
    .uses_dynamic_stack: false
    .vgpr_count:     12
    .vgpr_spill_count: 0
    .wavefront_size: 32
    .workgroup_processor_mode: 1
  - .args:
      - .offset:         0
        .size:           4
        .value_kind:     by_value
      - .actual_access:  read_only
        .address_space:  global
        .offset:         8
        .size:           8
        .value_kind:     global_buffer
      - .offset:         16
        .size:           8
        .value_kind:     by_value
      - .offset:         24
        .size:           8
        .value_kind:     by_value
      - .actual_access:  read_only
        .address_space:  global
        .offset:         32
        .size:           8
        .value_kind:     global_buffer
      - .offset:         40
        .size:           8
        .value_kind:     by_value
      - .offset:         48
        .size:           8
        .value_kind:     by_value
      - .offset:         56
        .size:           4
        .value_kind:     by_value
      - .actual_access:  read_only
        .address_space:  global
        .offset:         64
        .size:           8
        .value_kind:     global_buffer
      - .actual_access:  write_only
        .address_space:  global
        .offset:         72
        .size:           8
        .value_kind:     global_buffer
    .group_segment_fixed_size: 128
    .kernarg_segment_align: 8
    .kernarg_segment_size: 80
    .language:       OpenCL C
    .language_version:
      - 2
      - 0
    .max_flat_workgroup_size: 1024
    .name:           _ZL26rocblas_dot_kernel_inc1by2ILb1ELi1024ELi32ELb0E16rocblas_bfloat16PKPKS0_fEviT4_llS5_lliPT5_PT3_
    .private_segment_fixed_size: 0
    .sgpr_count:     21
    .sgpr_spill_count: 0
    .symbol:         _ZL26rocblas_dot_kernel_inc1by2ILb1ELi1024ELi32ELb0E16rocblas_bfloat16PKPKS0_fEviT4_llS5_lliPT5_PT3_.kd
    .uniform_work_group_size: 1
    .uses_dynamic_stack: false
    .vgpr_count:     11
    .vgpr_spill_count: 0
    .wavefront_size: 32
    .workgroup_processor_mode: 1
  - .args:
      - .offset:         0
        .size:           4
        .value_kind:     by_value
      - .actual_access:  read_only
        .address_space:  global
        .offset:         8
        .size:           8
        .value_kind:     global_buffer
      - .offset:         16
        .size:           8
        .value_kind:     by_value
      - .offset:         24
        .size:           4
        .value_kind:     by_value
      - .offset:         32
        .size:           8
        .value_kind:     by_value
      - .actual_access:  read_only
        .address_space:  global
        .offset:         40
        .size:           8
        .value_kind:     global_buffer
      - .offset:         48
        .size:           8
        .value_kind:     by_value
      - .offset:         56
        .size:           4
        .value_kind:     by_value
      - .offset:         64
        .size:           8
        .value_kind:     by_value
      - .offset:         72
        .size:           4
        .value_kind:     by_value
      - .actual_access:  read_only
        .address_space:  global
        .offset:         80
        .size:           8
        .value_kind:     global_buffer
      - .actual_access:  write_only
        .address_space:  global
        .offset:         88
        .size:           8
        .value_kind:     global_buffer
      - .offset:         96
        .size:           4
        .value_kind:     hidden_block_count_x
      - .offset:         100
        .size:           4
        .value_kind:     hidden_block_count_y
      - .offset:         104
        .size:           4
        .value_kind:     hidden_block_count_z
      - .offset:         108
        .size:           2
        .value_kind:     hidden_group_size_x
      - .offset:         110
        .size:           2
        .value_kind:     hidden_group_size_y
      - .offset:         112
        .size:           2
        .value_kind:     hidden_group_size_z
      - .offset:         114
        .size:           2
        .value_kind:     hidden_remainder_x
      - .offset:         116
        .size:           2
        .value_kind:     hidden_remainder_y
      - .offset:         118
        .size:           2
        .value_kind:     hidden_remainder_z
      - .offset:         136
        .size:           8
        .value_kind:     hidden_global_offset_x
      - .offset:         144
        .size:           8
        .value_kind:     hidden_global_offset_y
      - .offset:         152
        .size:           8
        .value_kind:     hidden_global_offset_z
      - .offset:         160
        .size:           2
        .value_kind:     hidden_grid_dims
    .group_segment_fixed_size: 128
    .kernarg_segment_align: 8
    .kernarg_segment_size: 352
    .language:       OpenCL C
    .language_version:
      - 2
      - 0
    .max_flat_workgroup_size: 1024
    .name:           _ZL18rocblas_dot_kernelIiLb1ELi1024ELi32ELb0E16rocblas_bfloat16PKPKS0_fEviT5_lT_lS5_lS6_liPT6_PT4_
    .private_segment_fixed_size: 0
    .sgpr_count:     23
    .sgpr_spill_count: 0
    .symbol:         _ZL18rocblas_dot_kernelIiLb1ELi1024ELi32ELb0E16rocblas_bfloat16PKPKS0_fEviT5_lT_lS5_lS6_liPT6_PT4_.kd
    .uniform_work_group_size: 1
    .uses_dynamic_stack: false
    .vgpr_count:     10
    .vgpr_spill_count: 0
    .wavefront_size: 32
    .workgroup_processor_mode: 1
  - .args:
      - .offset:         0
        .size:           4
        .value_kind:     by_value
      - .actual_access:  read_only
        .address_space:  global
        .offset:         8
        .size:           8
        .value_kind:     global_buffer
      - .offset:         16
        .size:           8
        .value_kind:     by_value
      - .offset:         24
        .size:           4
        .value_kind:     by_value
      - .offset:         32
        .size:           8
        .value_kind:     by_value
      - .offset:         40
        .size:           4
        .value_kind:     by_value
      - .actual_access:  read_only
        .address_space:  global
        .offset:         48
        .size:           8
        .value_kind:     global_buffer
      - .actual_access:  write_only
        .address_space:  global
        .offset:         56
        .size:           8
        .value_kind:     global_buffer
      - .offset:         64
        .size:           4
        .value_kind:     hidden_block_count_x
      - .offset:         68
        .size:           4
        .value_kind:     hidden_block_count_y
      - .offset:         72
        .size:           4
        .value_kind:     hidden_block_count_z
      - .offset:         76
        .size:           2
        .value_kind:     hidden_group_size_x
      - .offset:         78
        .size:           2
        .value_kind:     hidden_group_size_y
      - .offset:         80
        .size:           2
        .value_kind:     hidden_group_size_z
      - .offset:         82
        .size:           2
        .value_kind:     hidden_remainder_x
      - .offset:         84
        .size:           2
        .value_kind:     hidden_remainder_y
      - .offset:         86
        .size:           2
        .value_kind:     hidden_remainder_z
      - .offset:         104
        .size:           8
        .value_kind:     hidden_global_offset_x
      - .offset:         112
        .size:           8
        .value_kind:     hidden_global_offset_y
      - .offset:         120
        .size:           8
        .value_kind:     hidden_global_offset_z
      - .offset:         128
        .size:           2
        .value_kind:     hidden_grid_dims
    .group_segment_fixed_size: 128
    .kernarg_segment_align: 8
    .kernarg_segment_size: 320
    .language:       OpenCL C
    .language_version:
      - 2
      - 0
    .max_flat_workgroup_size: 1024
    .name:           _ZL24rocblas_dot_kernel_magsqIiLb1ELi1024ELi32ELb0E16rocblas_bfloat16PKPKS0_fEviT5_lT_liPT6_PT4_
    .private_segment_fixed_size: 0
    .sgpr_count:     19
    .sgpr_spill_count: 0
    .symbol:         _ZL24rocblas_dot_kernel_magsqIiLb1ELi1024ELi32ELb0E16rocblas_bfloat16PKPKS0_fEviT5_lT_liPT6_PT4_.kd
    .uniform_work_group_size: 1
    .uses_dynamic_stack: false
    .vgpr_count:     10
    .vgpr_spill_count: 0
    .wavefront_size: 32
    .workgroup_processor_mode: 1
  - .args:
      - .offset:         0
        .size:           4
        .value_kind:     by_value
      - .actual_access:  read_only
        .address_space:  global
        .offset:         8
        .size:           8
        .value_kind:     global_buffer
      - .offset:         16
        .size:           8
        .value_kind:     by_value
      - .offset:         24
        .size:           4
        .value_kind:     by_value
      - .offset:         32
        .size:           8
        .value_kind:     by_value
      - .actual_access:  read_only
        .address_space:  global
        .offset:         40
        .size:           8
        .value_kind:     global_buffer
      - .offset:         48
        .size:           8
        .value_kind:     by_value
      - .offset:         56
        .size:           4
        .value_kind:     by_value
      - .offset:         64
        .size:           8
        .value_kind:     by_value
      - .actual_access:  read_only
        .address_space:  global
        .offset:         72
        .size:           8
        .value_kind:     global_buffer
      - .actual_access:  read_only
        .address_space:  global
        .offset:         80
        .size:           8
        .value_kind:     global_buffer
    .group_segment_fixed_size: 0
    .kernarg_segment_align: 8
    .kernarg_segment_size: 88
    .language:       OpenCL C
    .language_version:
      - 2
      - 0
    .max_flat_workgroup_size: 1024
    .name:           _ZL38rocblas_dot_kernel_gfx942_float_doubleIiLi1024E16rocblas_bfloat16PKPKS0_fEviT2_lT_lS5_lS6_lPT3_PT1_
    .private_segment_fixed_size: 0
    .sgpr_count:     0
    .sgpr_spill_count: 0
    .symbol:         _ZL38rocblas_dot_kernel_gfx942_float_doubleIiLi1024E16rocblas_bfloat16PKPKS0_fEviT2_lT_lS5_lS6_lPT3_PT1_.kd
    .uniform_work_group_size: 1
    .uses_dynamic_stack: false
    .vgpr_count:     0
    .vgpr_spill_count: 0
    .wavefront_size: 32
    .workgroup_processor_mode: 1
  - .args:
      - .offset:         0
        .size:           4
        .value_kind:     by_value
      - .actual_access:  read_only
        .address_space:  global
        .offset:         8
        .size:           8
        .value_kind:     global_buffer
      - .offset:         16
        .size:           8
        .value_kind:     by_value
      - .offset:         24
        .size:           8
        .value_kind:     by_value
      - .actual_access:  read_only
        .address_space:  global
        .offset:         32
        .size:           8
        .value_kind:     global_buffer
      - .offset:         40
        .size:           8
        .value_kind:     by_value
      - .offset:         48
        .size:           8
        .value_kind:     by_value
      - .offset:         56
        .size:           4
        .value_kind:     by_value
      - .actual_access:  write_only
        .address_space:  global
        .offset:         64
        .size:           8
        .value_kind:     global_buffer
      - .actual_access:  write_only
        .address_space:  global
        .offset:         72
        .size:           8
        .value_kind:     global_buffer
      - .offset:         80
        .size:           4
        .value_kind:     hidden_block_count_x
      - .offset:         84
        .size:           4
        .value_kind:     hidden_block_count_y
      - .offset:         88
        .size:           4
        .value_kind:     hidden_block_count_z
      - .offset:         92
        .size:           2
        .value_kind:     hidden_group_size_x
      - .offset:         94
        .size:           2
        .value_kind:     hidden_group_size_y
      - .offset:         96
        .size:           2
        .value_kind:     hidden_group_size_z
      - .offset:         98
        .size:           2
        .value_kind:     hidden_remainder_x
      - .offset:         100
        .size:           2
        .value_kind:     hidden_remainder_y
      - .offset:         102
        .size:           2
        .value_kind:     hidden_remainder_z
      - .offset:         120
        .size:           8
        .value_kind:     hidden_global_offset_x
      - .offset:         128
        .size:           8
        .value_kind:     hidden_global_offset_y
      - .offset:         136
        .size:           8
        .value_kind:     hidden_global_offset_z
      - .offset:         144
        .size:           2
        .value_kind:     hidden_grid_dims
    .group_segment_fixed_size: 128
    .kernarg_segment_align: 8
    .kernarg_segment_size: 336
    .language:       OpenCL C
    .language_version:
      - 2
      - 0
    .max_flat_workgroup_size: 512
    .name:           _ZL23rocblas_dot_kernel_inc1ILb0ELi512ELi8ELb0E16rocblas_bfloat16PKPKS0_fEviT4_llS5_lliPT5_PT3_
    .private_segment_fixed_size: 0
    .sgpr_count:     26
    .sgpr_spill_count: 0
    .symbol:         _ZL23rocblas_dot_kernel_inc1ILb0ELi512ELi8ELb0E16rocblas_bfloat16PKPKS0_fEviT4_llS5_lliPT5_PT3_.kd
    .uniform_work_group_size: 1
    .uses_dynamic_stack: false
    .vgpr_count:     10
    .vgpr_spill_count: 0
    .wavefront_size: 32
    .workgroup_processor_mode: 1
  - .args:
      - .offset:         0
        .size:           4
        .value_kind:     by_value
      - .actual_access:  read_only
        .address_space:  global
        .offset:         8
        .size:           8
        .value_kind:     global_buffer
      - .offset:         16
        .size:           8
        .value_kind:     by_value
      - .offset:         24
        .size:           4
        .value_kind:     by_value
      - .offset:         32
        .size:           8
        .value_kind:     by_value
      - .actual_access:  read_only
        .address_space:  global
        .offset:         40
        .size:           8
        .value_kind:     global_buffer
      - .offset:         48
        .size:           8
        .value_kind:     by_value
      - .offset:         56
        .size:           4
        .value_kind:     by_value
      - .offset:         64
        .size:           8
        .value_kind:     by_value
      - .offset:         72
        .size:           4
        .value_kind:     by_value
      - .actual_access:  write_only
        .address_space:  global
        .offset:         80
        .size:           8
        .value_kind:     global_buffer
      - .actual_access:  write_only
        .address_space:  global
        .offset:         88
        .size:           8
        .value_kind:     global_buffer
      - .offset:         96
        .size:           4
        .value_kind:     hidden_block_count_x
      - .offset:         100
        .size:           4
        .value_kind:     hidden_block_count_y
      - .offset:         104
        .size:           4
        .value_kind:     hidden_block_count_z
      - .offset:         108
        .size:           2
        .value_kind:     hidden_group_size_x
      - .offset:         110
        .size:           2
        .value_kind:     hidden_group_size_y
      - .offset:         112
        .size:           2
        .value_kind:     hidden_group_size_z
      - .offset:         114
        .size:           2
        .value_kind:     hidden_remainder_x
      - .offset:         116
        .size:           2
        .value_kind:     hidden_remainder_y
      - .offset:         118
        .size:           2
        .value_kind:     hidden_remainder_z
      - .offset:         136
        .size:           8
        .value_kind:     hidden_global_offset_x
      - .offset:         144
        .size:           8
        .value_kind:     hidden_global_offset_y
      - .offset:         152
        .size:           8
        .value_kind:     hidden_global_offset_z
      - .offset:         160
        .size:           2
        .value_kind:     hidden_grid_dims
    .group_segment_fixed_size: 128
    .kernarg_segment_align: 8
    .kernarg_segment_size: 352
    .language:       OpenCL C
    .language_version:
      - 2
      - 0
    .max_flat_workgroup_size: 512
    .name:           _ZL18rocblas_dot_kernelIiLb0ELi512ELi8ELb0E16rocblas_bfloat16PKPKS0_fEviT5_lT_lS5_lS6_liPT6_PT4_
    .private_segment_fixed_size: 0
    .sgpr_count:     27
    .sgpr_spill_count: 0
    .symbol:         _ZL18rocblas_dot_kernelIiLb0ELi512ELi8ELb0E16rocblas_bfloat16PKPKS0_fEviT5_lT_lS5_lS6_liPT6_PT4_.kd
    .uniform_work_group_size: 1
    .uses_dynamic_stack: false
    .vgpr_count:     9
    .vgpr_spill_count: 0
    .wavefront_size: 32
    .workgroup_processor_mode: 1
  - .args:
      - .offset:         0
        .size:           4
        .value_kind:     by_value
      - .actual_access:  read_only
        .address_space:  global
        .offset:         8
        .size:           8
        .value_kind:     global_buffer
      - .offset:         16
        .size:           8
        .value_kind:     by_value
      - .offset:         24
        .size:           4
        .value_kind:     by_value
      - .offset:         32
        .size:           8
        .value_kind:     by_value
      - .offset:         40
        .size:           4
        .value_kind:     by_value
      - .actual_access:  write_only
        .address_space:  global
        .offset:         48
        .size:           8
        .value_kind:     global_buffer
      - .actual_access:  write_only
        .address_space:  global
        .offset:         56
        .size:           8
        .value_kind:     global_buffer
      - .offset:         64
        .size:           4
        .value_kind:     hidden_block_count_x
      - .offset:         68
        .size:           4
        .value_kind:     hidden_block_count_y
      - .offset:         72
        .size:           4
        .value_kind:     hidden_block_count_z
      - .offset:         76
        .size:           2
        .value_kind:     hidden_group_size_x
      - .offset:         78
        .size:           2
        .value_kind:     hidden_group_size_y
      - .offset:         80
        .size:           2
        .value_kind:     hidden_group_size_z
      - .offset:         82
        .size:           2
        .value_kind:     hidden_remainder_x
      - .offset:         84
        .size:           2
        .value_kind:     hidden_remainder_y
      - .offset:         86
        .size:           2
        .value_kind:     hidden_remainder_z
      - .offset:         104
        .size:           8
        .value_kind:     hidden_global_offset_x
      - .offset:         112
        .size:           8
        .value_kind:     hidden_global_offset_y
      - .offset:         120
        .size:           8
        .value_kind:     hidden_global_offset_z
      - .offset:         128
        .size:           2
        .value_kind:     hidden_grid_dims
    .group_segment_fixed_size: 128
    .kernarg_segment_align: 8
    .kernarg_segment_size: 320
    .language:       OpenCL C
    .language_version:
      - 2
      - 0
    .max_flat_workgroup_size: 512
    .name:           _ZL24rocblas_dot_kernel_magsqIiLb0ELi512ELi8ELb0E16rocblas_bfloat16PKPKS0_fEviT5_lT_liPT6_PT4_
    .private_segment_fixed_size: 0
    .sgpr_count:     22
    .sgpr_spill_count: 0
    .symbol:         _ZL24rocblas_dot_kernel_magsqIiLb0ELi512ELi8ELb0E16rocblas_bfloat16PKPKS0_fEviT5_lT_liPT6_PT4_.kd
    .uniform_work_group_size: 1
    .uses_dynamic_stack: false
    .vgpr_count:     9
    .vgpr_spill_count: 0
    .wavefront_size: 32
    .workgroup_processor_mode: 1
  - .args:
      - .offset:         0
        .size:           4
        .value_kind:     by_value
      - .actual_access:  read_only
        .address_space:  global
        .offset:         8
        .size:           8
        .value_kind:     global_buffer
      - .offset:         16
        .size:           8
        .value_kind:     by_value
      - .offset:         24
        .size:           4
        .value_kind:     by_value
      - .offset:         32
        .size:           8
        .value_kind:     by_value
      - .actual_access:  read_only
        .address_space:  global
        .offset:         40
        .size:           8
        .value_kind:     global_buffer
      - .offset:         48
        .size:           8
        .value_kind:     by_value
      - .offset:         56
        .size:           4
        .value_kind:     by_value
      - .offset:         64
        .size:           8
        .value_kind:     by_value
      - .offset:         72
        .size:           4
        .value_kind:     by_value
      - .actual_access:  write_only
        .address_space:  global
        .offset:         80
        .size:           8
        .value_kind:     global_buffer
    .group_segment_fixed_size: 0
    .kernarg_segment_align: 8
    .kernarg_segment_size: 88
    .language:       OpenCL C
    .language_version:
      - 2
      - 0
    .max_flat_workgroup_size: 128
    .name:           _ZL28rocblas_dot_batched_4_kernelIiLi32ELi4ELb0EffPKPK16rocblas_bfloat16EviT5_lT_lS5_lS6_liPT4_
    .private_segment_fixed_size: 0
    .sgpr_count:     18
    .sgpr_spill_count: 0
    .symbol:         _ZL28rocblas_dot_batched_4_kernelIiLi32ELi4ELb0EffPKPK16rocblas_bfloat16EviT5_lT_lS5_lS6_liPT4_.kd
    .uniform_work_group_size: 1
    .uses_dynamic_stack: false
    .vgpr_count:     12
    .vgpr_spill_count: 0
    .wavefront_size: 32
    .workgroup_processor_mode: 1
  - .args:
      - .offset:         0
        .size:           4
        .value_kind:     by_value
      - .actual_access:  read_only
        .address_space:  global
        .offset:         8
        .size:           8
        .value_kind:     global_buffer
      - .offset:         16
        .size:           8
        .value_kind:     by_value
      - .offset:         24
        .size:           4
        .value_kind:     by_value
      - .offset:         32
        .size:           8
        .value_kind:     by_value
      - .actual_access:  read_only
        .address_space:  global
        .offset:         40
        .size:           8
        .value_kind:     global_buffer
      - .offset:         48
        .size:           8
        .value_kind:     by_value
      - .offset:         56
        .size:           4
        .value_kind:     by_value
      - .offset:         64
        .size:           8
        .value_kind:     by_value
      - .offset:         72
        .size:           4
        .value_kind:     by_value
      - .actual_access:  write_only
        .address_space:  global
        .offset:         80
        .size:           8
        .value_kind:     global_buffer
    .group_segment_fixed_size: 0
    .kernarg_segment_align: 8
    .kernarg_segment_size: 88
    .language:       OpenCL C
    .language_version:
      - 2
      - 0
    .max_flat_workgroup_size: 256
    .name:           _ZL28rocblas_dot_batched_4_kernelIiLi64ELi4ELb0EffPKPK16rocblas_bfloat16EviT5_lT_lS5_lS6_liPT4_
    .private_segment_fixed_size: 0
    .sgpr_count:     18
    .sgpr_spill_count: 0
    .symbol:         _ZL28rocblas_dot_batched_4_kernelIiLi64ELi4ELb0EffPKPK16rocblas_bfloat16EviT5_lT_lS5_lS6_liPT4_.kd
    .uniform_work_group_size: 1
    .uses_dynamic_stack: false
    .vgpr_count:     12
    .vgpr_spill_count: 0
    .wavefront_size: 32
    .workgroup_processor_mode: 1
  - .args:
      - .offset:         0
        .size:           4
        .value_kind:     by_value
      - .actual_access:  read_only
        .address_space:  global
        .offset:         8
        .size:           8
        .value_kind:     global_buffer
      - .offset:         16
        .size:           8
        .value_kind:     by_value
      - .offset:         24
        .size:           4
        .value_kind:     by_value
      - .offset:         32
        .size:           8
        .value_kind:     by_value
      - .actual_access:  read_only
        .address_space:  global
        .offset:         40
        .size:           8
        .value_kind:     global_buffer
      - .offset:         48
        .size:           8
        .value_kind:     by_value
      - .offset:         56
        .size:           4
        .value_kind:     by_value
      - .offset:         64
        .size:           8
        .value_kind:     by_value
      - .offset:         72
        .size:           4
        .value_kind:     by_value
      - .actual_access:  read_only
        .address_space:  global
        .offset:         80
        .size:           8
        .value_kind:     global_buffer
      - .actual_access:  write_only
        .address_space:  global
        .offset:         88
        .size:           8
        .value_kind:     global_buffer
      - .offset:         96
        .size:           4
        .value_kind:     hidden_block_count_x
      - .offset:         100
        .size:           4
        .value_kind:     hidden_block_count_y
      - .offset:         104
        .size:           4
        .value_kind:     hidden_block_count_z
      - .offset:         108
        .size:           2
        .value_kind:     hidden_group_size_x
      - .offset:         110
        .size:           2
        .value_kind:     hidden_group_size_y
      - .offset:         112
        .size:           2
        .value_kind:     hidden_group_size_z
      - .offset:         114
        .size:           2
        .value_kind:     hidden_remainder_x
      - .offset:         116
        .size:           2
        .value_kind:     hidden_remainder_y
      - .offset:         118
        .size:           2
        .value_kind:     hidden_remainder_z
      - .offset:         136
        .size:           8
        .value_kind:     hidden_global_offset_x
      - .offset:         144
        .size:           8
        .value_kind:     hidden_global_offset_y
      - .offset:         152
        .size:           8
        .value_kind:     hidden_global_offset_z
      - .offset:         160
        .size:           2
        .value_kind:     hidden_grid_dims
    .group_segment_fixed_size: 128
    .kernarg_segment_align: 8
    .kernarg_segment_size: 352
    .language:       OpenCL C
    .language_version:
      - 2
      - 0
    .max_flat_workgroup_size: 1024
    .name:           _ZL18rocblas_dot_kernelIiLb1ELi1024ELi32ELb0EfPKPK16rocblas_bfloat16fEviT5_lT_lS5_lS6_liPT6_PT4_
    .private_segment_fixed_size: 0
    .sgpr_count:     23
    .sgpr_spill_count: 0
    .symbol:         _ZL18rocblas_dot_kernelIiLb1ELi1024ELi32ELb0EfPKPK16rocblas_bfloat16fEviT5_lT_lS5_lS6_liPT6_PT4_.kd
    .uniform_work_group_size: 1
    .uses_dynamic_stack: false
    .vgpr_count:     10
    .vgpr_spill_count: 0
    .wavefront_size: 32
    .workgroup_processor_mode: 1
  - .args:
      - .offset:         0
        .size:           4
        .value_kind:     by_value
      - .actual_access:  read_only
        .address_space:  global
        .offset:         8
        .size:           8
        .value_kind:     global_buffer
      - .offset:         16
        .size:           8
        .value_kind:     by_value
      - .offset:         24
        .size:           4
        .value_kind:     by_value
      - .offset:         32
        .size:           8
        .value_kind:     by_value
      - .offset:         40
        .size:           4
        .value_kind:     by_value
      - .actual_access:  read_only
        .address_space:  global
        .offset:         48
        .size:           8
        .value_kind:     global_buffer
      - .actual_access:  write_only
        .address_space:  global
        .offset:         56
        .size:           8
        .value_kind:     global_buffer
      - .offset:         64
        .size:           4
        .value_kind:     hidden_block_count_x
      - .offset:         68
        .size:           4
        .value_kind:     hidden_block_count_y
      - .offset:         72
        .size:           4
        .value_kind:     hidden_block_count_z
      - .offset:         76
        .size:           2
        .value_kind:     hidden_group_size_x
      - .offset:         78
        .size:           2
        .value_kind:     hidden_group_size_y
      - .offset:         80
        .size:           2
        .value_kind:     hidden_group_size_z
      - .offset:         82
        .size:           2
        .value_kind:     hidden_remainder_x
      - .offset:         84
        .size:           2
        .value_kind:     hidden_remainder_y
      - .offset:         86
        .size:           2
        .value_kind:     hidden_remainder_z
      - .offset:         104
        .size:           8
        .value_kind:     hidden_global_offset_x
      - .offset:         112
        .size:           8
        .value_kind:     hidden_global_offset_y
      - .offset:         120
        .size:           8
        .value_kind:     hidden_global_offset_z
      - .offset:         128
        .size:           2
        .value_kind:     hidden_grid_dims
    .group_segment_fixed_size: 128
    .kernarg_segment_align: 8
    .kernarg_segment_size: 320
    .language:       OpenCL C
    .language_version:
      - 2
      - 0
    .max_flat_workgroup_size: 1024
    .name:           _ZL24rocblas_dot_kernel_magsqIiLb1ELi1024ELi32ELb0EfPKPK16rocblas_bfloat16fEviT5_lT_liPT6_PT4_
    .private_segment_fixed_size: 0
    .sgpr_count:     19
    .sgpr_spill_count: 0
    .symbol:         _ZL24rocblas_dot_kernel_magsqIiLb1ELi1024ELi32ELb0EfPKPK16rocblas_bfloat16fEviT5_lT_liPT6_PT4_.kd
    .uniform_work_group_size: 1
    .uses_dynamic_stack: false
    .vgpr_count:     10
    .vgpr_spill_count: 0
    .wavefront_size: 32
    .workgroup_processor_mode: 1
  - .args:
      - .offset:         0
        .size:           4
        .value_kind:     by_value
      - .actual_access:  read_only
        .address_space:  global
        .offset:         8
        .size:           8
        .value_kind:     global_buffer
      - .offset:         16
        .size:           8
        .value_kind:     by_value
      - .offset:         24
        .size:           4
        .value_kind:     by_value
      - .offset:         32
        .size:           8
        .value_kind:     by_value
      - .actual_access:  read_only
        .address_space:  global
        .offset:         40
        .size:           8
        .value_kind:     global_buffer
      - .offset:         48
        .size:           8
        .value_kind:     by_value
      - .offset:         56
        .size:           4
        .value_kind:     by_value
      - .offset:         64
        .size:           8
        .value_kind:     by_value
      - .actual_access:  read_only
        .address_space:  global
        .offset:         72
        .size:           8
        .value_kind:     global_buffer
      - .actual_access:  read_only
        .address_space:  global
        .offset:         80
        .size:           8
        .value_kind:     global_buffer
    .group_segment_fixed_size: 0
    .kernarg_segment_align: 8
    .kernarg_segment_size: 88
    .language:       OpenCL C
    .language_version:
      - 2
      - 0
    .max_flat_workgroup_size: 1024
    .name:           _ZL38rocblas_dot_kernel_gfx942_float_doubleIiLi1024EfPKPK16rocblas_bfloat16fEviT2_lT_lS5_lS6_lPT3_PT1_
    .private_segment_fixed_size: 0
    .sgpr_count:     0
    .sgpr_spill_count: 0
    .symbol:         _ZL38rocblas_dot_kernel_gfx942_float_doubleIiLi1024EfPKPK16rocblas_bfloat16fEviT2_lT_lS5_lS6_lPT3_PT1_.kd
    .uniform_work_group_size: 1
    .uses_dynamic_stack: false
    .vgpr_count:     0
    .vgpr_spill_count: 0
    .wavefront_size: 32
    .workgroup_processor_mode: 1
  - .args:
      - .offset:         0
        .size:           4
        .value_kind:     by_value
      - .actual_access:  read_only
        .address_space:  global
        .offset:         8
        .size:           8
        .value_kind:     global_buffer
      - .offset:         16
        .size:           8
        .value_kind:     by_value
      - .offset:         24
        .size:           4
        .value_kind:     by_value
      - .offset:         32
        .size:           8
        .value_kind:     by_value
      - .actual_access:  read_only
        .address_space:  global
        .offset:         40
        .size:           8
        .value_kind:     global_buffer
      - .offset:         48
        .size:           8
        .value_kind:     by_value
      - .offset:         56
        .size:           4
        .value_kind:     by_value
      - .offset:         64
        .size:           8
        .value_kind:     by_value
      - .offset:         72
        .size:           4
        .value_kind:     by_value
      - .actual_access:  write_only
        .address_space:  global
        .offset:         80
        .size:           8
        .value_kind:     global_buffer
      - .actual_access:  write_only
        .address_space:  global
        .offset:         88
        .size:           8
        .value_kind:     global_buffer
      - .offset:         96
        .size:           4
        .value_kind:     hidden_block_count_x
      - .offset:         100
        .size:           4
        .value_kind:     hidden_block_count_y
      - .offset:         104
        .size:           4
        .value_kind:     hidden_block_count_z
      - .offset:         108
        .size:           2
        .value_kind:     hidden_group_size_x
      - .offset:         110
        .size:           2
        .value_kind:     hidden_group_size_y
      - .offset:         112
        .size:           2
        .value_kind:     hidden_group_size_z
      - .offset:         114
        .size:           2
        .value_kind:     hidden_remainder_x
      - .offset:         116
        .size:           2
        .value_kind:     hidden_remainder_y
      - .offset:         118
        .size:           2
        .value_kind:     hidden_remainder_z
      - .offset:         136
        .size:           8
        .value_kind:     hidden_global_offset_x
      - .offset:         144
        .size:           8
        .value_kind:     hidden_global_offset_y
      - .offset:         152
        .size:           8
        .value_kind:     hidden_global_offset_z
      - .offset:         160
        .size:           2
        .value_kind:     hidden_grid_dims
    .group_segment_fixed_size: 128
    .kernarg_segment_align: 8
    .kernarg_segment_size: 352
    .language:       OpenCL C
    .language_version:
      - 2
      - 0
    .max_flat_workgroup_size: 512
    .name:           _ZL18rocblas_dot_kernelIiLb0ELi512ELi4ELb0EfPKPK16rocblas_bfloat16fEviT5_lT_lS5_lS6_liPT6_PT4_
    .private_segment_fixed_size: 0
    .sgpr_count:     27
    .sgpr_spill_count: 0
    .symbol:         _ZL18rocblas_dot_kernelIiLb0ELi512ELi4ELb0EfPKPK16rocblas_bfloat16fEviT5_lT_lS5_lS6_liPT6_PT4_.kd
    .uniform_work_group_size: 1
    .uses_dynamic_stack: false
    .vgpr_count:     9
    .vgpr_spill_count: 0
    .wavefront_size: 32
    .workgroup_processor_mode: 1
  - .args:
      - .offset:         0
        .size:           4
        .value_kind:     by_value
      - .actual_access:  read_only
        .address_space:  global
        .offset:         8
        .size:           8
        .value_kind:     global_buffer
      - .offset:         16
        .size:           8
        .value_kind:     by_value
      - .offset:         24
        .size:           4
        .value_kind:     by_value
      - .offset:         32
        .size:           8
        .value_kind:     by_value
      - .offset:         40
        .size:           4
        .value_kind:     by_value
      - .actual_access:  write_only
        .address_space:  global
        .offset:         48
        .size:           8
        .value_kind:     global_buffer
      - .actual_access:  write_only
        .address_space:  global
        .offset:         56
        .size:           8
        .value_kind:     global_buffer
      - .offset:         64
        .size:           4
        .value_kind:     hidden_block_count_x
      - .offset:         68
        .size:           4
        .value_kind:     hidden_block_count_y
      - .offset:         72
        .size:           4
        .value_kind:     hidden_block_count_z
      - .offset:         76
        .size:           2
        .value_kind:     hidden_group_size_x
      - .offset:         78
        .size:           2
        .value_kind:     hidden_group_size_y
      - .offset:         80
        .size:           2
        .value_kind:     hidden_group_size_z
      - .offset:         82
        .size:           2
        .value_kind:     hidden_remainder_x
      - .offset:         84
        .size:           2
        .value_kind:     hidden_remainder_y
      - .offset:         86
        .size:           2
        .value_kind:     hidden_remainder_z
      - .offset:         104
        .size:           8
        .value_kind:     hidden_global_offset_x
      - .offset:         112
        .size:           8
        .value_kind:     hidden_global_offset_y
      - .offset:         120
        .size:           8
        .value_kind:     hidden_global_offset_z
      - .offset:         128
        .size:           2
        .value_kind:     hidden_grid_dims
    .group_segment_fixed_size: 128
    .kernarg_segment_align: 8
    .kernarg_segment_size: 320
    .language:       OpenCL C
    .language_version:
      - 2
      - 0
    .max_flat_workgroup_size: 512
    .name:           _ZL24rocblas_dot_kernel_magsqIiLb0ELi512ELi4ELb0EfPKPK16rocblas_bfloat16fEviT5_lT_liPT6_PT4_
    .private_segment_fixed_size: 0
    .sgpr_count:     22
    .sgpr_spill_count: 0
    .symbol:         _ZL24rocblas_dot_kernel_magsqIiLb0ELi512ELi4ELb0EfPKPK16rocblas_bfloat16fEviT5_lT_liPT6_PT4_.kd
    .uniform_work_group_size: 1
    .uses_dynamic_stack: false
    .vgpr_count:     9
    .vgpr_spill_count: 0
    .wavefront_size: 32
    .workgroup_processor_mode: 1
  - .args:
      - .offset:         0
        .size:           4
        .value_kind:     by_value
      - .actual_access:  read_only
        .address_space:  global
        .offset:         8
        .size:           8
        .value_kind:     global_buffer
      - .offset:         16
        .size:           8
        .value_kind:     by_value
      - .offset:         24
        .size:           8
        .value_kind:     by_value
      - .offset:         32
        .size:           8
        .value_kind:     by_value
      - .actual_access:  read_only
        .address_space:  global
        .offset:         40
        .size:           8
        .value_kind:     global_buffer
      - .offset:         48
        .size:           8
        .value_kind:     by_value
      - .offset:         56
        .size:           8
        .value_kind:     by_value
      - .offset:         64
        .size:           8
        .value_kind:     by_value
      - .offset:         72
        .size:           4
        .value_kind:     by_value
      - .actual_access:  write_only
        .address_space:  global
        .offset:         80
        .size:           8
        .value_kind:     global_buffer
    .group_segment_fixed_size: 0
    .kernarg_segment_align: 8
    .kernarg_segment_size: 88
    .language:       OpenCL C
    .language_version:
      - 2
      - 0
    .max_flat_workgroup_size: 128
    .name:           _ZL28rocblas_dot_batched_4_kernelIlLi32ELi4ELb0Ef16rocblas_bfloat16PKPKS0_EviT5_lT_lS5_lS6_liPT4_
    .private_segment_fixed_size: 0
    .sgpr_count:     18
    .sgpr_spill_count: 0
    .symbol:         _ZL28rocblas_dot_batched_4_kernelIlLi32ELi4ELb0Ef16rocblas_bfloat16PKPKS0_EviT5_lT_lS5_lS6_liPT4_.kd
    .uniform_work_group_size: 1
    .uses_dynamic_stack: false
    .vgpr_count:     14
    .vgpr_spill_count: 0
    .wavefront_size: 32
    .workgroup_processor_mode: 1
  - .args:
      - .offset:         0
        .size:           4
        .value_kind:     by_value
      - .actual_access:  read_only
        .address_space:  global
        .offset:         8
        .size:           8
        .value_kind:     global_buffer
      - .offset:         16
        .size:           8
        .value_kind:     by_value
      - .offset:         24
        .size:           8
        .value_kind:     by_value
      - .offset:         32
        .size:           8
        .value_kind:     by_value
      - .actual_access:  read_only
        .address_space:  global
        .offset:         40
        .size:           8
        .value_kind:     global_buffer
      - .offset:         48
        .size:           8
        .value_kind:     by_value
      - .offset:         56
        .size:           8
        .value_kind:     by_value
      - .offset:         64
        .size:           8
        .value_kind:     by_value
      - .offset:         72
        .size:           4
        .value_kind:     by_value
      - .actual_access:  write_only
        .address_space:  global
        .offset:         80
        .size:           8
        .value_kind:     global_buffer
    .group_segment_fixed_size: 0
    .kernarg_segment_align: 8
    .kernarg_segment_size: 88
    .language:       OpenCL C
    .language_version:
      - 2
      - 0
    .max_flat_workgroup_size: 256
    .name:           _ZL28rocblas_dot_batched_4_kernelIlLi64ELi4ELb0Ef16rocblas_bfloat16PKPKS0_EviT5_lT_lS5_lS6_liPT4_
    .private_segment_fixed_size: 0
    .sgpr_count:     18
    .sgpr_spill_count: 0
    .symbol:         _ZL28rocblas_dot_batched_4_kernelIlLi64ELi4ELb0Ef16rocblas_bfloat16PKPKS0_EviT5_lT_lS5_lS6_liPT4_.kd
    .uniform_work_group_size: 1
    .uses_dynamic_stack: false
    .vgpr_count:     14
    .vgpr_spill_count: 0
    .wavefront_size: 32
    .workgroup_processor_mode: 1
  - .args:
      - .offset:         0
        .size:           4
        .value_kind:     by_value
      - .actual_access:  read_only
        .address_space:  global
        .offset:         8
        .size:           8
        .value_kind:     global_buffer
      - .offset:         16
        .size:           8
        .value_kind:     by_value
      - .offset:         24
        .size:           8
        .value_kind:     by_value
      - .offset:         32
        .size:           8
        .value_kind:     by_value
      - .actual_access:  read_only
        .address_space:  global
        .offset:         40
        .size:           8
        .value_kind:     global_buffer
      - .offset:         48
        .size:           8
        .value_kind:     by_value
      - .offset:         56
        .size:           8
        .value_kind:     by_value
      - .offset:         64
        .size:           8
        .value_kind:     by_value
      - .offset:         72
        .size:           4
        .value_kind:     by_value
      - .actual_access:  read_only
        .address_space:  global
        .offset:         80
        .size:           8
        .value_kind:     global_buffer
      - .actual_access:  write_only
        .address_space:  global
        .offset:         88
        .size:           8
        .value_kind:     global_buffer
      - .offset:         96
        .size:           4
        .value_kind:     hidden_block_count_x
      - .offset:         100
        .size:           4
        .value_kind:     hidden_block_count_y
      - .offset:         104
        .size:           4
        .value_kind:     hidden_block_count_z
      - .offset:         108
        .size:           2
        .value_kind:     hidden_group_size_x
      - .offset:         110
        .size:           2
        .value_kind:     hidden_group_size_y
      - .offset:         112
        .size:           2
        .value_kind:     hidden_group_size_z
      - .offset:         114
        .size:           2
        .value_kind:     hidden_remainder_x
      - .offset:         116
        .size:           2
        .value_kind:     hidden_remainder_y
      - .offset:         118
        .size:           2
        .value_kind:     hidden_remainder_z
      - .offset:         136
        .size:           8
        .value_kind:     hidden_global_offset_x
      - .offset:         144
        .size:           8
        .value_kind:     hidden_global_offset_y
      - .offset:         152
        .size:           8
        .value_kind:     hidden_global_offset_z
      - .offset:         160
        .size:           2
        .value_kind:     hidden_grid_dims
    .group_segment_fixed_size: 128
    .kernarg_segment_align: 8
    .kernarg_segment_size: 352
    .language:       OpenCL C
    .language_version:
      - 2
      - 0
    .max_flat_workgroup_size: 1024
    .name:           _ZL18rocblas_dot_kernelIlLb1ELi1024ELi32ELb0E16rocblas_bfloat16PKPKS0_fEviT5_lT_lS5_lS6_liPT6_PT4_
    .private_segment_fixed_size: 0
    .sgpr_count:     27
    .sgpr_spill_count: 0
    .symbol:         _ZL18rocblas_dot_kernelIlLb1ELi1024ELi32ELb0E16rocblas_bfloat16PKPKS0_fEviT5_lT_lS5_lS6_liPT6_PT4_.kd
    .uniform_work_group_size: 1
    .uses_dynamic_stack: false
    .vgpr_count:     10
    .vgpr_spill_count: 0
    .wavefront_size: 32
    .workgroup_processor_mode: 1
  - .args:
      - .offset:         0
        .size:           4
        .value_kind:     by_value
      - .actual_access:  read_only
        .address_space:  global
        .offset:         8
        .size:           8
        .value_kind:     global_buffer
      - .offset:         16
        .size:           8
        .value_kind:     by_value
      - .offset:         24
        .size:           8
        .value_kind:     by_value
      - .offset:         32
        .size:           8
        .value_kind:     by_value
      - .offset:         40
        .size:           4
        .value_kind:     by_value
      - .actual_access:  read_only
        .address_space:  global
        .offset:         48
        .size:           8
        .value_kind:     global_buffer
      - .actual_access:  write_only
        .address_space:  global
        .offset:         56
        .size:           8
        .value_kind:     global_buffer
      - .offset:         64
        .size:           4
        .value_kind:     hidden_block_count_x
      - .offset:         68
        .size:           4
        .value_kind:     hidden_block_count_y
      - .offset:         72
        .size:           4
        .value_kind:     hidden_block_count_z
      - .offset:         76
        .size:           2
        .value_kind:     hidden_group_size_x
      - .offset:         78
        .size:           2
        .value_kind:     hidden_group_size_y
      - .offset:         80
        .size:           2
        .value_kind:     hidden_group_size_z
      - .offset:         82
        .size:           2
        .value_kind:     hidden_remainder_x
      - .offset:         84
        .size:           2
        .value_kind:     hidden_remainder_y
      - .offset:         86
        .size:           2
        .value_kind:     hidden_remainder_z
      - .offset:         104
        .size:           8
        .value_kind:     hidden_global_offset_x
      - .offset:         112
        .size:           8
        .value_kind:     hidden_global_offset_y
      - .offset:         120
        .size:           8
        .value_kind:     hidden_global_offset_z
      - .offset:         128
        .size:           2
        .value_kind:     hidden_grid_dims
    .group_segment_fixed_size: 128
    .kernarg_segment_align: 8
    .kernarg_segment_size: 320
    .language:       OpenCL C
    .language_version:
      - 2
      - 0
    .max_flat_workgroup_size: 1024
    .name:           _ZL24rocblas_dot_kernel_magsqIlLb1ELi1024ELi32ELb0E16rocblas_bfloat16PKPKS0_fEviT5_lT_liPT6_PT4_
    .private_segment_fixed_size: 0
    .sgpr_count:     19
    .sgpr_spill_count: 0
    .symbol:         _ZL24rocblas_dot_kernel_magsqIlLb1ELi1024ELi32ELb0E16rocblas_bfloat16PKPKS0_fEviT5_lT_liPT6_PT4_.kd
    .uniform_work_group_size: 1
    .uses_dynamic_stack: false
    .vgpr_count:     10
    .vgpr_spill_count: 0
    .wavefront_size: 32
    .workgroup_processor_mode: 1
  - .args:
      - .offset:         0
        .size:           4
        .value_kind:     by_value
      - .actual_access:  read_only
        .address_space:  global
        .offset:         8
        .size:           8
        .value_kind:     global_buffer
      - .offset:         16
        .size:           8
        .value_kind:     by_value
      - .offset:         24
        .size:           8
        .value_kind:     by_value
      - .offset:         32
        .size:           8
        .value_kind:     by_value
      - .actual_access:  read_only
        .address_space:  global
        .offset:         40
        .size:           8
        .value_kind:     global_buffer
      - .offset:         48
        .size:           8
        .value_kind:     by_value
      - .offset:         56
        .size:           8
        .value_kind:     by_value
      - .offset:         64
        .size:           8
        .value_kind:     by_value
      - .actual_access:  read_only
        .address_space:  global
        .offset:         72
        .size:           8
        .value_kind:     global_buffer
      - .actual_access:  read_only
        .address_space:  global
        .offset:         80
        .size:           8
        .value_kind:     global_buffer
    .group_segment_fixed_size: 0
    .kernarg_segment_align: 8
    .kernarg_segment_size: 88
    .language:       OpenCL C
    .language_version:
      - 2
      - 0
    .max_flat_workgroup_size: 1024
    .name:           _ZL38rocblas_dot_kernel_gfx942_float_doubleIlLi1024E16rocblas_bfloat16PKPKS0_fEviT2_lT_lS5_lS6_lPT3_PT1_
    .private_segment_fixed_size: 0
    .sgpr_count:     0
    .sgpr_spill_count: 0
    .symbol:         _ZL38rocblas_dot_kernel_gfx942_float_doubleIlLi1024E16rocblas_bfloat16PKPKS0_fEviT2_lT_lS5_lS6_lPT3_PT1_.kd
    .uniform_work_group_size: 1
    .uses_dynamic_stack: false
    .vgpr_count:     0
    .vgpr_spill_count: 0
    .wavefront_size: 32
    .workgroup_processor_mode: 1
  - .args:
      - .offset:         0
        .size:           4
        .value_kind:     by_value
      - .actual_access:  read_only
        .address_space:  global
        .offset:         8
        .size:           8
        .value_kind:     global_buffer
      - .offset:         16
        .size:           8
        .value_kind:     by_value
      - .offset:         24
        .size:           8
        .value_kind:     by_value
      - .offset:         32
        .size:           8
        .value_kind:     by_value
      - .actual_access:  read_only
        .address_space:  global
        .offset:         40
        .size:           8
        .value_kind:     global_buffer
      - .offset:         48
        .size:           8
        .value_kind:     by_value
      - .offset:         56
        .size:           8
        .value_kind:     by_value
      - .offset:         64
        .size:           8
        .value_kind:     by_value
      - .offset:         72
        .size:           4
        .value_kind:     by_value
      - .actual_access:  write_only
        .address_space:  global
        .offset:         80
        .size:           8
        .value_kind:     global_buffer
      - .actual_access:  write_only
        .address_space:  global
        .offset:         88
        .size:           8
        .value_kind:     global_buffer
      - .offset:         96
        .size:           4
        .value_kind:     hidden_block_count_x
      - .offset:         100
        .size:           4
        .value_kind:     hidden_block_count_y
      - .offset:         104
        .size:           4
        .value_kind:     hidden_block_count_z
      - .offset:         108
        .size:           2
        .value_kind:     hidden_group_size_x
      - .offset:         110
        .size:           2
        .value_kind:     hidden_group_size_y
      - .offset:         112
        .size:           2
        .value_kind:     hidden_group_size_z
      - .offset:         114
        .size:           2
        .value_kind:     hidden_remainder_x
      - .offset:         116
        .size:           2
        .value_kind:     hidden_remainder_y
      - .offset:         118
        .size:           2
        .value_kind:     hidden_remainder_z
      - .offset:         136
        .size:           8
        .value_kind:     hidden_global_offset_x
      - .offset:         144
        .size:           8
        .value_kind:     hidden_global_offset_y
      - .offset:         152
        .size:           8
        .value_kind:     hidden_global_offset_z
      - .offset:         160
        .size:           2
        .value_kind:     hidden_grid_dims
    .group_segment_fixed_size: 128
    .kernarg_segment_align: 8
    .kernarg_segment_size: 352
    .language:       OpenCL C
    .language_version:
      - 2
      - 0
    .max_flat_workgroup_size: 512
    .name:           _ZL18rocblas_dot_kernelIlLb0ELi512ELi8ELb0E16rocblas_bfloat16PKPKS0_fEviT5_lT_lS5_lS6_liPT6_PT4_
    .private_segment_fixed_size: 0
    .sgpr_count:     31
    .sgpr_spill_count: 0
    .symbol:         _ZL18rocblas_dot_kernelIlLb0ELi512ELi8ELb0E16rocblas_bfloat16PKPKS0_fEviT5_lT_lS5_lS6_liPT6_PT4_.kd
    .uniform_work_group_size: 1
    .uses_dynamic_stack: false
    .vgpr_count:     12
    .vgpr_spill_count: 0
    .wavefront_size: 32
    .workgroup_processor_mode: 1
  - .args:
      - .offset:         0
        .size:           4
        .value_kind:     by_value
      - .actual_access:  read_only
        .address_space:  global
        .offset:         8
        .size:           8
        .value_kind:     global_buffer
      - .offset:         16
        .size:           8
        .value_kind:     by_value
      - .offset:         24
        .size:           8
        .value_kind:     by_value
      - .offset:         32
        .size:           8
        .value_kind:     by_value
      - .offset:         40
        .size:           4
        .value_kind:     by_value
      - .actual_access:  write_only
        .address_space:  global
        .offset:         48
        .size:           8
        .value_kind:     global_buffer
      - .actual_access:  write_only
        .address_space:  global
        .offset:         56
        .size:           8
        .value_kind:     global_buffer
      - .offset:         64
        .size:           4
        .value_kind:     hidden_block_count_x
      - .offset:         68
        .size:           4
        .value_kind:     hidden_block_count_y
      - .offset:         72
        .size:           4
        .value_kind:     hidden_block_count_z
      - .offset:         76
        .size:           2
        .value_kind:     hidden_group_size_x
      - .offset:         78
        .size:           2
        .value_kind:     hidden_group_size_y
      - .offset:         80
        .size:           2
        .value_kind:     hidden_group_size_z
      - .offset:         82
        .size:           2
        .value_kind:     hidden_remainder_x
      - .offset:         84
        .size:           2
        .value_kind:     hidden_remainder_y
      - .offset:         86
        .size:           2
        .value_kind:     hidden_remainder_z
      - .offset:         104
        .size:           8
        .value_kind:     hidden_global_offset_x
      - .offset:         112
        .size:           8
        .value_kind:     hidden_global_offset_y
      - .offset:         120
        .size:           8
        .value_kind:     hidden_global_offset_z
      - .offset:         128
        .size:           2
        .value_kind:     hidden_grid_dims
    .group_segment_fixed_size: 128
    .kernarg_segment_align: 8
    .kernarg_segment_size: 320
    .language:       OpenCL C
    .language_version:
      - 2
      - 0
    .max_flat_workgroup_size: 512
    .name:           _ZL24rocblas_dot_kernel_magsqIlLb0ELi512ELi8ELb0E16rocblas_bfloat16PKPKS0_fEviT5_lT_liPT6_PT4_
    .private_segment_fixed_size: 0
    .sgpr_count:     22
    .sgpr_spill_count: 0
    .symbol:         _ZL24rocblas_dot_kernel_magsqIlLb0ELi512ELi8ELb0E16rocblas_bfloat16PKPKS0_fEviT5_lT_liPT6_PT4_.kd
    .uniform_work_group_size: 1
    .uses_dynamic_stack: false
    .vgpr_count:     9
    .vgpr_spill_count: 0
    .wavefront_size: 32
    .workgroup_processor_mode: 1
  - .args:
      - .offset:         0
        .size:           4
        .value_kind:     by_value
      - .actual_access:  read_only
        .address_space:  global
        .offset:         8
        .size:           8
        .value_kind:     global_buffer
      - .offset:         16
        .size:           8
        .value_kind:     by_value
      - .offset:         24
        .size:           4
        .value_kind:     by_value
      - .offset:         32
        .size:           8
        .value_kind:     by_value
      - .actual_access:  read_only
        .address_space:  global
        .offset:         40
        .size:           8
        .value_kind:     global_buffer
      - .offset:         48
        .size:           8
        .value_kind:     by_value
      - .offset:         56
        .size:           4
        .value_kind:     by_value
      - .offset:         64
        .size:           8
        .value_kind:     by_value
      - .offset:         72
        .size:           4
        .value_kind:     by_value
      - .actual_access:  write_only
        .address_space:  global
        .offset:         80
        .size:           8
        .value_kind:     global_buffer
    .group_segment_fixed_size: 0
    .kernarg_segment_align: 8
    .kernarg_segment_size: 88
    .language:       OpenCL C
    .language_version:
      - 2
      - 0
    .max_flat_workgroup_size: 128
    .name:           _ZL28rocblas_dot_batched_4_kernelIiLi32ELi4ELb0EffPKPKfEviT5_lT_lS4_lS5_liPT4_
    .private_segment_fixed_size: 0
    .sgpr_count:     18
    .sgpr_spill_count: 0
    .symbol:         _ZL28rocblas_dot_batched_4_kernelIiLi32ELi4ELb0EffPKPKfEviT5_lT_lS4_lS5_liPT4_.kd
    .uniform_work_group_size: 1
    .uses_dynamic_stack: false
    .vgpr_count:     12
    .vgpr_spill_count: 0
    .wavefront_size: 32
    .workgroup_processor_mode: 1
  - .args:
      - .offset:         0
        .size:           4
        .value_kind:     by_value
      - .actual_access:  read_only
        .address_space:  global
        .offset:         8
        .size:           8
        .value_kind:     global_buffer
      - .offset:         16
        .size:           8
        .value_kind:     by_value
      - .offset:         24
        .size:           4
        .value_kind:     by_value
      - .offset:         32
        .size:           8
        .value_kind:     by_value
      - .actual_access:  read_only
        .address_space:  global
        .offset:         40
        .size:           8
        .value_kind:     global_buffer
      - .offset:         48
        .size:           8
        .value_kind:     by_value
      - .offset:         56
        .size:           4
        .value_kind:     by_value
      - .offset:         64
        .size:           8
        .value_kind:     by_value
      - .offset:         72
        .size:           4
        .value_kind:     by_value
      - .actual_access:  write_only
        .address_space:  global
        .offset:         80
        .size:           8
        .value_kind:     global_buffer
    .group_segment_fixed_size: 0
    .kernarg_segment_align: 8
    .kernarg_segment_size: 88
    .language:       OpenCL C
    .language_version:
      - 2
      - 0
    .max_flat_workgroup_size: 256
    .name:           _ZL28rocblas_dot_batched_4_kernelIiLi64ELi4ELb0EffPKPKfEviT5_lT_lS4_lS5_liPT4_
    .private_segment_fixed_size: 0
    .sgpr_count:     18
    .sgpr_spill_count: 0
    .symbol:         _ZL28rocblas_dot_batched_4_kernelIiLi64ELi4ELb0EffPKPKfEviT5_lT_lS4_lS5_liPT4_.kd
    .uniform_work_group_size: 1
    .uses_dynamic_stack: false
    .vgpr_count:     12
    .vgpr_spill_count: 0
    .wavefront_size: 32
    .workgroup_processor_mode: 1
  - .args:
      - .offset:         0
        .size:           4
        .value_kind:     by_value
      - .actual_access:  read_only
        .address_space:  global
        .offset:         8
        .size:           8
        .value_kind:     global_buffer
      - .offset:         16
        .size:           8
        .value_kind:     by_value
      - .offset:         24
        .size:           8
        .value_kind:     by_value
      - .actual_access:  read_only
        .address_space:  global
        .offset:         32
        .size:           8
        .value_kind:     global_buffer
      - .offset:         40
        .size:           8
        .value_kind:     by_value
      - .offset:         48
        .size:           8
        .value_kind:     by_value
      - .offset:         56
        .size:           4
        .value_kind:     by_value
      - .actual_access:  read_only
        .address_space:  global
        .offset:         64
        .size:           8
        .value_kind:     global_buffer
      - .actual_access:  write_only
        .address_space:  global
        .offset:         72
        .size:           8
        .value_kind:     global_buffer
    .group_segment_fixed_size: 128
    .kernarg_segment_align: 8
    .kernarg_segment_size: 80
    .language:       OpenCL C
    .language_version:
      - 2
      - 0
    .max_flat_workgroup_size: 1024
    .name:           _ZL26rocblas_dot_kernel_inc1by2ILb1ELi1024ELi32ELb0EfPKPKffEviT4_llS4_lliPT5_PT3_
    .private_segment_fixed_size: 0
    .sgpr_count:     21
    .sgpr_spill_count: 0
    .symbol:         _ZL26rocblas_dot_kernel_inc1by2ILb1ELi1024ELi32ELb0EfPKPKffEviT4_llS4_lliPT5_PT3_.kd
    .uniform_work_group_size: 1
    .uses_dynamic_stack: false
    .vgpr_count:     11
    .vgpr_spill_count: 0
    .wavefront_size: 32
    .workgroup_processor_mode: 1
  - .args:
      - .offset:         0
        .size:           4
        .value_kind:     by_value
      - .actual_access:  read_only
        .address_space:  global
        .offset:         8
        .size:           8
        .value_kind:     global_buffer
      - .offset:         16
        .size:           8
        .value_kind:     by_value
      - .offset:         24
        .size:           4
        .value_kind:     by_value
      - .offset:         32
        .size:           8
        .value_kind:     by_value
      - .actual_access:  read_only
        .address_space:  global
        .offset:         40
        .size:           8
        .value_kind:     global_buffer
      - .offset:         48
        .size:           8
        .value_kind:     by_value
      - .offset:         56
        .size:           4
        .value_kind:     by_value
      - .offset:         64
        .size:           8
        .value_kind:     by_value
      - .offset:         72
        .size:           4
        .value_kind:     by_value
      - .actual_access:  read_only
        .address_space:  global
        .offset:         80
        .size:           8
        .value_kind:     global_buffer
      - .actual_access:  write_only
        .address_space:  global
        .offset:         88
        .size:           8
        .value_kind:     global_buffer
      - .offset:         96
        .size:           4
        .value_kind:     hidden_block_count_x
      - .offset:         100
        .size:           4
        .value_kind:     hidden_block_count_y
      - .offset:         104
        .size:           4
        .value_kind:     hidden_block_count_z
      - .offset:         108
        .size:           2
        .value_kind:     hidden_group_size_x
      - .offset:         110
        .size:           2
        .value_kind:     hidden_group_size_y
      - .offset:         112
        .size:           2
        .value_kind:     hidden_group_size_z
      - .offset:         114
        .size:           2
        .value_kind:     hidden_remainder_x
      - .offset:         116
        .size:           2
        .value_kind:     hidden_remainder_y
      - .offset:         118
        .size:           2
        .value_kind:     hidden_remainder_z
      - .offset:         136
        .size:           8
        .value_kind:     hidden_global_offset_x
      - .offset:         144
        .size:           8
        .value_kind:     hidden_global_offset_y
      - .offset:         152
        .size:           8
        .value_kind:     hidden_global_offset_z
      - .offset:         160
        .size:           2
        .value_kind:     hidden_grid_dims
    .group_segment_fixed_size: 128
    .kernarg_segment_align: 8
    .kernarg_segment_size: 352
    .language:       OpenCL C
    .language_version:
      - 2
      - 0
    .max_flat_workgroup_size: 1024
    .name:           _ZL18rocblas_dot_kernelIiLb1ELi1024ELi32ELb0EfPKPKffEviT5_lT_lS4_lS5_liPT6_PT4_
    .private_segment_fixed_size: 0
    .sgpr_count:     23
    .sgpr_spill_count: 0
    .symbol:         _ZL18rocblas_dot_kernelIiLb1ELi1024ELi32ELb0EfPKPKffEviT5_lT_lS4_lS5_liPT6_PT4_.kd
    .uniform_work_group_size: 1
    .uses_dynamic_stack: false
    .vgpr_count:     10
    .vgpr_spill_count: 0
    .wavefront_size: 32
    .workgroup_processor_mode: 1
  - .args:
      - .offset:         0
        .size:           4
        .value_kind:     by_value
      - .actual_access:  read_only
        .address_space:  global
        .offset:         8
        .size:           8
        .value_kind:     global_buffer
      - .offset:         16
        .size:           8
        .value_kind:     by_value
      - .offset:         24
        .size:           4
        .value_kind:     by_value
      - .offset:         32
        .size:           8
        .value_kind:     by_value
      - .offset:         40
        .size:           4
        .value_kind:     by_value
      - .actual_access:  read_only
        .address_space:  global
        .offset:         48
        .size:           8
        .value_kind:     global_buffer
      - .actual_access:  write_only
        .address_space:  global
        .offset:         56
        .size:           8
        .value_kind:     global_buffer
      - .offset:         64
        .size:           4
        .value_kind:     hidden_block_count_x
      - .offset:         68
        .size:           4
        .value_kind:     hidden_block_count_y
      - .offset:         72
        .size:           4
        .value_kind:     hidden_block_count_z
      - .offset:         76
        .size:           2
        .value_kind:     hidden_group_size_x
      - .offset:         78
        .size:           2
        .value_kind:     hidden_group_size_y
      - .offset:         80
        .size:           2
        .value_kind:     hidden_group_size_z
      - .offset:         82
        .size:           2
        .value_kind:     hidden_remainder_x
      - .offset:         84
        .size:           2
        .value_kind:     hidden_remainder_y
      - .offset:         86
        .size:           2
        .value_kind:     hidden_remainder_z
      - .offset:         104
        .size:           8
        .value_kind:     hidden_global_offset_x
      - .offset:         112
        .size:           8
        .value_kind:     hidden_global_offset_y
      - .offset:         120
        .size:           8
        .value_kind:     hidden_global_offset_z
      - .offset:         128
        .size:           2
        .value_kind:     hidden_grid_dims
    .group_segment_fixed_size: 128
    .kernarg_segment_align: 8
    .kernarg_segment_size: 320
    .language:       OpenCL C
    .language_version:
      - 2
      - 0
    .max_flat_workgroup_size: 1024
    .name:           _ZL24rocblas_dot_kernel_magsqIiLb1ELi1024ELi32ELb0EfPKPKffEviT5_lT_liPT6_PT4_
    .private_segment_fixed_size: 0
    .sgpr_count:     19
    .sgpr_spill_count: 0
    .symbol:         _ZL24rocblas_dot_kernel_magsqIiLb1ELi1024ELi32ELb0EfPKPKffEviT5_lT_liPT6_PT4_.kd
    .uniform_work_group_size: 1
    .uses_dynamic_stack: false
    .vgpr_count:     10
    .vgpr_spill_count: 0
    .wavefront_size: 32
    .workgroup_processor_mode: 1
  - .args:
      - .offset:         0
        .size:           4
        .value_kind:     by_value
      - .actual_access:  read_only
        .address_space:  global
        .offset:         8
        .size:           8
        .value_kind:     global_buffer
      - .offset:         16
        .size:           8
        .value_kind:     by_value
      - .offset:         24
        .size:           4
        .value_kind:     by_value
      - .offset:         32
        .size:           8
        .value_kind:     by_value
      - .actual_access:  read_only
        .address_space:  global
        .offset:         40
        .size:           8
        .value_kind:     global_buffer
      - .offset:         48
        .size:           8
        .value_kind:     by_value
      - .offset:         56
        .size:           4
        .value_kind:     by_value
      - .offset:         64
        .size:           8
        .value_kind:     by_value
      - .actual_access:  read_only
        .address_space:  global
        .offset:         72
        .size:           8
        .value_kind:     global_buffer
      - .actual_access:  read_only
        .address_space:  global
        .offset:         80
        .size:           8
        .value_kind:     global_buffer
    .group_segment_fixed_size: 0
    .kernarg_segment_align: 8
    .kernarg_segment_size: 88
    .language:       OpenCL C
    .language_version:
      - 2
      - 0
    .max_flat_workgroup_size: 1024
    .name:           _ZL38rocblas_dot_kernel_gfx942_float_doubleIiLi1024EfPKPKffEviT2_lT_lS4_lS5_lPT3_PT1_
    .private_segment_fixed_size: 0
    .sgpr_count:     0
    .sgpr_spill_count: 0
    .symbol:         _ZL38rocblas_dot_kernel_gfx942_float_doubleIiLi1024EfPKPKffEviT2_lT_lS4_lS5_lPT3_PT1_.kd
    .uniform_work_group_size: 1
    .uses_dynamic_stack: false
    .vgpr_count:     0
    .vgpr_spill_count: 0
    .wavefront_size: 32
    .workgroup_processor_mode: 1
  - .args:
      - .offset:         0
        .size:           4
        .value_kind:     by_value
      - .actual_access:  read_only
        .address_space:  global
        .offset:         8
        .size:           8
        .value_kind:     global_buffer
      - .offset:         16
        .size:           8
        .value_kind:     by_value
      - .offset:         24
        .size:           8
        .value_kind:     by_value
      - .actual_access:  read_only
        .address_space:  global
        .offset:         32
        .size:           8
        .value_kind:     global_buffer
      - .offset:         40
        .size:           8
        .value_kind:     by_value
      - .offset:         48
        .size:           8
        .value_kind:     by_value
      - .offset:         56
        .size:           4
        .value_kind:     by_value
      - .actual_access:  write_only
        .address_space:  global
        .offset:         64
        .size:           8
        .value_kind:     global_buffer
      - .actual_access:  write_only
        .address_space:  global
        .offset:         72
        .size:           8
        .value_kind:     global_buffer
      - .offset:         80
        .size:           4
        .value_kind:     hidden_block_count_x
      - .offset:         84
        .size:           4
        .value_kind:     hidden_block_count_y
      - .offset:         88
        .size:           4
        .value_kind:     hidden_block_count_z
      - .offset:         92
        .size:           2
        .value_kind:     hidden_group_size_x
      - .offset:         94
        .size:           2
        .value_kind:     hidden_group_size_y
      - .offset:         96
        .size:           2
        .value_kind:     hidden_group_size_z
      - .offset:         98
        .size:           2
        .value_kind:     hidden_remainder_x
      - .offset:         100
        .size:           2
        .value_kind:     hidden_remainder_y
      - .offset:         102
        .size:           2
        .value_kind:     hidden_remainder_z
      - .offset:         120
        .size:           8
        .value_kind:     hidden_global_offset_x
      - .offset:         128
        .size:           8
        .value_kind:     hidden_global_offset_y
      - .offset:         136
        .size:           8
        .value_kind:     hidden_global_offset_z
      - .offset:         144
        .size:           2
        .value_kind:     hidden_grid_dims
    .group_segment_fixed_size: 128
    .kernarg_segment_align: 8
    .kernarg_segment_size: 336
    .language:       OpenCL C
    .language_version:
      - 2
      - 0
    .max_flat_workgroup_size: 512
    .name:           _ZL23rocblas_dot_kernel_inc1ILb0ELi512ELi4ELb0EfPKPKffEviT4_llS4_lliPT5_PT3_
    .private_segment_fixed_size: 0
    .sgpr_count:     26
    .sgpr_spill_count: 0
    .symbol:         _ZL23rocblas_dot_kernel_inc1ILb0ELi512ELi4ELb0EfPKPKffEviT4_llS4_lliPT5_PT3_.kd
    .uniform_work_group_size: 1
    .uses_dynamic_stack: false
    .vgpr_count:     10
    .vgpr_spill_count: 0
    .wavefront_size: 32
    .workgroup_processor_mode: 1
  - .args:
      - .offset:         0
        .size:           4
        .value_kind:     by_value
      - .actual_access:  read_only
        .address_space:  global
        .offset:         8
        .size:           8
        .value_kind:     global_buffer
      - .offset:         16
        .size:           8
        .value_kind:     by_value
      - .offset:         24
        .size:           4
        .value_kind:     by_value
      - .offset:         32
        .size:           8
        .value_kind:     by_value
      - .actual_access:  read_only
        .address_space:  global
        .offset:         40
        .size:           8
        .value_kind:     global_buffer
      - .offset:         48
        .size:           8
        .value_kind:     by_value
      - .offset:         56
        .size:           4
        .value_kind:     by_value
      - .offset:         64
        .size:           8
        .value_kind:     by_value
      - .offset:         72
        .size:           4
        .value_kind:     by_value
      - .actual_access:  write_only
        .address_space:  global
        .offset:         80
        .size:           8
        .value_kind:     global_buffer
      - .actual_access:  write_only
        .address_space:  global
        .offset:         88
        .size:           8
        .value_kind:     global_buffer
      - .offset:         96
        .size:           4
        .value_kind:     hidden_block_count_x
      - .offset:         100
        .size:           4
        .value_kind:     hidden_block_count_y
      - .offset:         104
        .size:           4
        .value_kind:     hidden_block_count_z
      - .offset:         108
        .size:           2
        .value_kind:     hidden_group_size_x
      - .offset:         110
        .size:           2
        .value_kind:     hidden_group_size_y
      - .offset:         112
        .size:           2
        .value_kind:     hidden_group_size_z
      - .offset:         114
        .size:           2
        .value_kind:     hidden_remainder_x
      - .offset:         116
        .size:           2
        .value_kind:     hidden_remainder_y
      - .offset:         118
        .size:           2
        .value_kind:     hidden_remainder_z
      - .offset:         136
        .size:           8
        .value_kind:     hidden_global_offset_x
      - .offset:         144
        .size:           8
        .value_kind:     hidden_global_offset_y
      - .offset:         152
        .size:           8
        .value_kind:     hidden_global_offset_z
      - .offset:         160
        .size:           2
        .value_kind:     hidden_grid_dims
    .group_segment_fixed_size: 128
    .kernarg_segment_align: 8
    .kernarg_segment_size: 352
    .language:       OpenCL C
    .language_version:
      - 2
      - 0
    .max_flat_workgroup_size: 512
    .name:           _ZL18rocblas_dot_kernelIiLb0ELi512ELi4ELb0EfPKPKffEviT5_lT_lS4_lS5_liPT6_PT4_
    .private_segment_fixed_size: 0
    .sgpr_count:     27
    .sgpr_spill_count: 0
    .symbol:         _ZL18rocblas_dot_kernelIiLb0ELi512ELi4ELb0EfPKPKffEviT5_lT_lS4_lS5_liPT6_PT4_.kd
    .uniform_work_group_size: 1
    .uses_dynamic_stack: false
    .vgpr_count:     9
    .vgpr_spill_count: 0
    .wavefront_size: 32
    .workgroup_processor_mode: 1
  - .args:
      - .offset:         0
        .size:           4
        .value_kind:     by_value
      - .actual_access:  read_only
        .address_space:  global
        .offset:         8
        .size:           8
        .value_kind:     global_buffer
      - .offset:         16
        .size:           8
        .value_kind:     by_value
      - .offset:         24
        .size:           4
        .value_kind:     by_value
      - .offset:         32
        .size:           8
        .value_kind:     by_value
      - .offset:         40
        .size:           4
        .value_kind:     by_value
      - .actual_access:  write_only
        .address_space:  global
        .offset:         48
        .size:           8
        .value_kind:     global_buffer
      - .actual_access:  write_only
        .address_space:  global
        .offset:         56
        .size:           8
        .value_kind:     global_buffer
      - .offset:         64
        .size:           4
        .value_kind:     hidden_block_count_x
      - .offset:         68
        .size:           4
        .value_kind:     hidden_block_count_y
      - .offset:         72
        .size:           4
        .value_kind:     hidden_block_count_z
      - .offset:         76
        .size:           2
        .value_kind:     hidden_group_size_x
      - .offset:         78
        .size:           2
        .value_kind:     hidden_group_size_y
      - .offset:         80
        .size:           2
        .value_kind:     hidden_group_size_z
      - .offset:         82
        .size:           2
        .value_kind:     hidden_remainder_x
      - .offset:         84
        .size:           2
        .value_kind:     hidden_remainder_y
      - .offset:         86
        .size:           2
        .value_kind:     hidden_remainder_z
      - .offset:         104
        .size:           8
        .value_kind:     hidden_global_offset_x
      - .offset:         112
        .size:           8
        .value_kind:     hidden_global_offset_y
      - .offset:         120
        .size:           8
        .value_kind:     hidden_global_offset_z
      - .offset:         128
        .size:           2
        .value_kind:     hidden_grid_dims
    .group_segment_fixed_size: 128
    .kernarg_segment_align: 8
    .kernarg_segment_size: 320
    .language:       OpenCL C
    .language_version:
      - 2
      - 0
    .max_flat_workgroup_size: 512
    .name:           _ZL24rocblas_dot_kernel_magsqIiLb0ELi512ELi4ELb0EfPKPKffEviT5_lT_liPT6_PT4_
    .private_segment_fixed_size: 0
    .sgpr_count:     22
    .sgpr_spill_count: 0
    .symbol:         _ZL24rocblas_dot_kernel_magsqIiLb0ELi512ELi4ELb0EfPKPKffEviT5_lT_liPT6_PT4_.kd
    .uniform_work_group_size: 1
    .uses_dynamic_stack: false
    .vgpr_count:     9
    .vgpr_spill_count: 0
    .wavefront_size: 32
    .workgroup_processor_mode: 1
  - .args:
      - .offset:         0
        .size:           4
        .value_kind:     by_value
      - .actual_access:  read_only
        .address_space:  global
        .offset:         8
        .size:           8
        .value_kind:     global_buffer
      - .offset:         16
        .size:           8
        .value_kind:     by_value
      - .offset:         24
        .size:           8
        .value_kind:     by_value
      - .offset:         32
        .size:           8
        .value_kind:     by_value
      - .actual_access:  read_only
        .address_space:  global
        .offset:         40
        .size:           8
        .value_kind:     global_buffer
      - .offset:         48
        .size:           8
        .value_kind:     by_value
      - .offset:         56
        .size:           8
        .value_kind:     by_value
      - .offset:         64
        .size:           8
        .value_kind:     by_value
      - .offset:         72
        .size:           4
        .value_kind:     by_value
      - .actual_access:  write_only
        .address_space:  global
        .offset:         80
        .size:           8
        .value_kind:     global_buffer
    .group_segment_fixed_size: 0
    .kernarg_segment_align: 8
    .kernarg_segment_size: 88
    .language:       OpenCL C
    .language_version:
      - 2
      - 0
    .max_flat_workgroup_size: 128
    .name:           _ZL28rocblas_dot_batched_4_kernelIlLi32ELi4ELb0EffPKPKfEviT5_lT_lS4_lS5_liPT4_
    .private_segment_fixed_size: 0
    .sgpr_count:     18
    .sgpr_spill_count: 0
    .symbol:         _ZL28rocblas_dot_batched_4_kernelIlLi32ELi4ELb0EffPKPKfEviT5_lT_lS4_lS5_liPT4_.kd
    .uniform_work_group_size: 1
    .uses_dynamic_stack: false
    .vgpr_count:     14
    .vgpr_spill_count: 0
    .wavefront_size: 32
    .workgroup_processor_mode: 1
  - .args:
      - .offset:         0
        .size:           4
        .value_kind:     by_value
      - .actual_access:  read_only
        .address_space:  global
        .offset:         8
        .size:           8
        .value_kind:     global_buffer
      - .offset:         16
        .size:           8
        .value_kind:     by_value
      - .offset:         24
        .size:           8
        .value_kind:     by_value
      - .offset:         32
        .size:           8
        .value_kind:     by_value
      - .actual_access:  read_only
        .address_space:  global
        .offset:         40
        .size:           8
        .value_kind:     global_buffer
      - .offset:         48
        .size:           8
        .value_kind:     by_value
      - .offset:         56
        .size:           8
        .value_kind:     by_value
      - .offset:         64
        .size:           8
        .value_kind:     by_value
      - .offset:         72
        .size:           4
        .value_kind:     by_value
      - .actual_access:  write_only
        .address_space:  global
        .offset:         80
        .size:           8
        .value_kind:     global_buffer
    .group_segment_fixed_size: 0
    .kernarg_segment_align: 8
    .kernarg_segment_size: 88
    .language:       OpenCL C
    .language_version:
      - 2
      - 0
    .max_flat_workgroup_size: 256
    .name:           _ZL28rocblas_dot_batched_4_kernelIlLi64ELi4ELb0EffPKPKfEviT5_lT_lS4_lS5_liPT4_
    .private_segment_fixed_size: 0
    .sgpr_count:     18
    .sgpr_spill_count: 0
    .symbol:         _ZL28rocblas_dot_batched_4_kernelIlLi64ELi4ELb0EffPKPKfEviT5_lT_lS4_lS5_liPT4_.kd
    .uniform_work_group_size: 1
    .uses_dynamic_stack: false
    .vgpr_count:     14
    .vgpr_spill_count: 0
    .wavefront_size: 32
    .workgroup_processor_mode: 1
  - .args:
      - .offset:         0
        .size:           4
        .value_kind:     by_value
      - .actual_access:  read_only
        .address_space:  global
        .offset:         8
        .size:           8
        .value_kind:     global_buffer
      - .offset:         16
        .size:           8
        .value_kind:     by_value
      - .offset:         24
        .size:           8
        .value_kind:     by_value
      - .offset:         32
        .size:           8
        .value_kind:     by_value
      - .actual_access:  read_only
        .address_space:  global
        .offset:         40
        .size:           8
        .value_kind:     global_buffer
      - .offset:         48
        .size:           8
        .value_kind:     by_value
      - .offset:         56
        .size:           8
        .value_kind:     by_value
      - .offset:         64
        .size:           8
        .value_kind:     by_value
      - .offset:         72
        .size:           4
        .value_kind:     by_value
      - .actual_access:  read_only
        .address_space:  global
        .offset:         80
        .size:           8
        .value_kind:     global_buffer
      - .actual_access:  write_only
        .address_space:  global
        .offset:         88
        .size:           8
        .value_kind:     global_buffer
      - .offset:         96
        .size:           4
        .value_kind:     hidden_block_count_x
      - .offset:         100
        .size:           4
        .value_kind:     hidden_block_count_y
      - .offset:         104
        .size:           4
        .value_kind:     hidden_block_count_z
      - .offset:         108
        .size:           2
        .value_kind:     hidden_group_size_x
      - .offset:         110
        .size:           2
        .value_kind:     hidden_group_size_y
      - .offset:         112
        .size:           2
        .value_kind:     hidden_group_size_z
      - .offset:         114
        .size:           2
        .value_kind:     hidden_remainder_x
      - .offset:         116
        .size:           2
        .value_kind:     hidden_remainder_y
      - .offset:         118
        .size:           2
        .value_kind:     hidden_remainder_z
      - .offset:         136
        .size:           8
        .value_kind:     hidden_global_offset_x
      - .offset:         144
        .size:           8
        .value_kind:     hidden_global_offset_y
      - .offset:         152
        .size:           8
        .value_kind:     hidden_global_offset_z
      - .offset:         160
        .size:           2
        .value_kind:     hidden_grid_dims
    .group_segment_fixed_size: 128
    .kernarg_segment_align: 8
    .kernarg_segment_size: 352
    .language:       OpenCL C
    .language_version:
      - 2
      - 0
    .max_flat_workgroup_size: 1024
    .name:           _ZL18rocblas_dot_kernelIlLb1ELi1024ELi32ELb0EfPKPKffEviT5_lT_lS4_lS5_liPT6_PT4_
    .private_segment_fixed_size: 0
    .sgpr_count:     27
    .sgpr_spill_count: 0
    .symbol:         _ZL18rocblas_dot_kernelIlLb1ELi1024ELi32ELb0EfPKPKffEviT5_lT_lS4_lS5_liPT6_PT4_.kd
    .uniform_work_group_size: 1
    .uses_dynamic_stack: false
    .vgpr_count:     10
    .vgpr_spill_count: 0
    .wavefront_size: 32
    .workgroup_processor_mode: 1
  - .args:
      - .offset:         0
        .size:           4
        .value_kind:     by_value
      - .actual_access:  read_only
        .address_space:  global
        .offset:         8
        .size:           8
        .value_kind:     global_buffer
      - .offset:         16
        .size:           8
        .value_kind:     by_value
      - .offset:         24
        .size:           8
        .value_kind:     by_value
      - .offset:         32
        .size:           8
        .value_kind:     by_value
      - .offset:         40
        .size:           4
        .value_kind:     by_value
      - .actual_access:  read_only
        .address_space:  global
        .offset:         48
        .size:           8
        .value_kind:     global_buffer
      - .actual_access:  write_only
        .address_space:  global
        .offset:         56
        .size:           8
        .value_kind:     global_buffer
      - .offset:         64
        .size:           4
        .value_kind:     hidden_block_count_x
      - .offset:         68
        .size:           4
        .value_kind:     hidden_block_count_y
      - .offset:         72
        .size:           4
        .value_kind:     hidden_block_count_z
      - .offset:         76
        .size:           2
        .value_kind:     hidden_group_size_x
      - .offset:         78
        .size:           2
        .value_kind:     hidden_group_size_y
      - .offset:         80
        .size:           2
        .value_kind:     hidden_group_size_z
      - .offset:         82
        .size:           2
        .value_kind:     hidden_remainder_x
      - .offset:         84
        .size:           2
        .value_kind:     hidden_remainder_y
      - .offset:         86
        .size:           2
        .value_kind:     hidden_remainder_z
      - .offset:         104
        .size:           8
        .value_kind:     hidden_global_offset_x
      - .offset:         112
        .size:           8
        .value_kind:     hidden_global_offset_y
      - .offset:         120
        .size:           8
        .value_kind:     hidden_global_offset_z
      - .offset:         128
        .size:           2
        .value_kind:     hidden_grid_dims
    .group_segment_fixed_size: 128
    .kernarg_segment_align: 8
    .kernarg_segment_size: 320
    .language:       OpenCL C
    .language_version:
      - 2
      - 0
    .max_flat_workgroup_size: 1024
    .name:           _ZL24rocblas_dot_kernel_magsqIlLb1ELi1024ELi32ELb0EfPKPKffEviT5_lT_liPT6_PT4_
    .private_segment_fixed_size: 0
    .sgpr_count:     19
    .sgpr_spill_count: 0
    .symbol:         _ZL24rocblas_dot_kernel_magsqIlLb1ELi1024ELi32ELb0EfPKPKffEviT5_lT_liPT6_PT4_.kd
    .uniform_work_group_size: 1
    .uses_dynamic_stack: false
    .vgpr_count:     10
    .vgpr_spill_count: 0
    .wavefront_size: 32
    .workgroup_processor_mode: 1
  - .args:
      - .offset:         0
        .size:           4
        .value_kind:     by_value
      - .actual_access:  read_only
        .address_space:  global
        .offset:         8
        .size:           8
        .value_kind:     global_buffer
      - .offset:         16
        .size:           8
        .value_kind:     by_value
      - .offset:         24
        .size:           8
        .value_kind:     by_value
      - .offset:         32
        .size:           8
        .value_kind:     by_value
      - .actual_access:  read_only
        .address_space:  global
        .offset:         40
        .size:           8
        .value_kind:     global_buffer
      - .offset:         48
        .size:           8
        .value_kind:     by_value
      - .offset:         56
        .size:           8
        .value_kind:     by_value
      - .offset:         64
        .size:           8
        .value_kind:     by_value
      - .actual_access:  read_only
        .address_space:  global
        .offset:         72
        .size:           8
        .value_kind:     global_buffer
      - .actual_access:  read_only
        .address_space:  global
        .offset:         80
        .size:           8
        .value_kind:     global_buffer
    .group_segment_fixed_size: 0
    .kernarg_segment_align: 8
    .kernarg_segment_size: 88
    .language:       OpenCL C
    .language_version:
      - 2
      - 0
    .max_flat_workgroup_size: 1024
    .name:           _ZL38rocblas_dot_kernel_gfx942_float_doubleIlLi1024EfPKPKffEviT2_lT_lS4_lS5_lPT3_PT1_
    .private_segment_fixed_size: 0
    .sgpr_count:     0
    .sgpr_spill_count: 0
    .symbol:         _ZL38rocblas_dot_kernel_gfx942_float_doubleIlLi1024EfPKPKffEviT2_lT_lS4_lS5_lPT3_PT1_.kd
    .uniform_work_group_size: 1
    .uses_dynamic_stack: false
    .vgpr_count:     0
    .vgpr_spill_count: 0
    .wavefront_size: 32
    .workgroup_processor_mode: 1
  - .args:
      - .offset:         0
        .size:           4
        .value_kind:     by_value
      - .actual_access:  read_only
        .address_space:  global
        .offset:         8
        .size:           8
        .value_kind:     global_buffer
      - .offset:         16
        .size:           8
        .value_kind:     by_value
      - .offset:         24
        .size:           8
        .value_kind:     by_value
      - .offset:         32
        .size:           8
        .value_kind:     by_value
      - .actual_access:  read_only
        .address_space:  global
        .offset:         40
        .size:           8
        .value_kind:     global_buffer
      - .offset:         48
        .size:           8
        .value_kind:     by_value
      - .offset:         56
        .size:           8
        .value_kind:     by_value
      - .offset:         64
        .size:           8
        .value_kind:     by_value
      - .offset:         72
        .size:           4
        .value_kind:     by_value
      - .actual_access:  write_only
        .address_space:  global
        .offset:         80
        .size:           8
        .value_kind:     global_buffer
      - .actual_access:  write_only
        .address_space:  global
        .offset:         88
        .size:           8
        .value_kind:     global_buffer
      - .offset:         96
        .size:           4
        .value_kind:     hidden_block_count_x
      - .offset:         100
        .size:           4
        .value_kind:     hidden_block_count_y
      - .offset:         104
        .size:           4
        .value_kind:     hidden_block_count_z
      - .offset:         108
        .size:           2
        .value_kind:     hidden_group_size_x
      - .offset:         110
        .size:           2
        .value_kind:     hidden_group_size_y
      - .offset:         112
        .size:           2
        .value_kind:     hidden_group_size_z
      - .offset:         114
        .size:           2
        .value_kind:     hidden_remainder_x
      - .offset:         116
        .size:           2
        .value_kind:     hidden_remainder_y
      - .offset:         118
        .size:           2
        .value_kind:     hidden_remainder_z
      - .offset:         136
        .size:           8
        .value_kind:     hidden_global_offset_x
      - .offset:         144
        .size:           8
        .value_kind:     hidden_global_offset_y
      - .offset:         152
        .size:           8
        .value_kind:     hidden_global_offset_z
      - .offset:         160
        .size:           2
        .value_kind:     hidden_grid_dims
    .group_segment_fixed_size: 128
    .kernarg_segment_align: 8
    .kernarg_segment_size: 352
    .language:       OpenCL C
    .language_version:
      - 2
      - 0
    .max_flat_workgroup_size: 512
    .name:           _ZL18rocblas_dot_kernelIlLb0ELi512ELi4ELb0EfPKPKffEviT5_lT_lS4_lS5_liPT6_PT4_
    .private_segment_fixed_size: 0
    .sgpr_count:     31
    .sgpr_spill_count: 0
    .symbol:         _ZL18rocblas_dot_kernelIlLb0ELi512ELi4ELb0EfPKPKffEviT5_lT_lS4_lS5_liPT6_PT4_.kd
    .uniform_work_group_size: 1
    .uses_dynamic_stack: false
    .vgpr_count:     12
    .vgpr_spill_count: 0
    .wavefront_size: 32
    .workgroup_processor_mode: 1
  - .args:
      - .offset:         0
        .size:           4
        .value_kind:     by_value
      - .actual_access:  read_only
        .address_space:  global
        .offset:         8
        .size:           8
        .value_kind:     global_buffer
      - .offset:         16
        .size:           8
        .value_kind:     by_value
      - .offset:         24
        .size:           8
        .value_kind:     by_value
      - .offset:         32
        .size:           8
        .value_kind:     by_value
      - .offset:         40
        .size:           4
        .value_kind:     by_value
      - .actual_access:  write_only
        .address_space:  global
        .offset:         48
        .size:           8
        .value_kind:     global_buffer
      - .actual_access:  write_only
        .address_space:  global
        .offset:         56
        .size:           8
        .value_kind:     global_buffer
      - .offset:         64
        .size:           4
        .value_kind:     hidden_block_count_x
      - .offset:         68
        .size:           4
        .value_kind:     hidden_block_count_y
      - .offset:         72
        .size:           4
        .value_kind:     hidden_block_count_z
      - .offset:         76
        .size:           2
        .value_kind:     hidden_group_size_x
      - .offset:         78
        .size:           2
        .value_kind:     hidden_group_size_y
      - .offset:         80
        .size:           2
        .value_kind:     hidden_group_size_z
      - .offset:         82
        .size:           2
        .value_kind:     hidden_remainder_x
      - .offset:         84
        .size:           2
        .value_kind:     hidden_remainder_y
      - .offset:         86
        .size:           2
        .value_kind:     hidden_remainder_z
      - .offset:         104
        .size:           8
        .value_kind:     hidden_global_offset_x
      - .offset:         112
        .size:           8
        .value_kind:     hidden_global_offset_y
      - .offset:         120
        .size:           8
        .value_kind:     hidden_global_offset_z
      - .offset:         128
        .size:           2
        .value_kind:     hidden_grid_dims
    .group_segment_fixed_size: 128
    .kernarg_segment_align: 8
    .kernarg_segment_size: 320
    .language:       OpenCL C
    .language_version:
      - 2
      - 0
    .max_flat_workgroup_size: 512
    .name:           _ZL24rocblas_dot_kernel_magsqIlLb0ELi512ELi4ELb0EfPKPKffEviT5_lT_liPT6_PT4_
    .private_segment_fixed_size: 0
    .sgpr_count:     22
    .sgpr_spill_count: 0
    .symbol:         _ZL24rocblas_dot_kernel_magsqIlLb0ELi512ELi4ELb0EfPKPKffEviT5_lT_liPT6_PT4_.kd
    .uniform_work_group_size: 1
    .uses_dynamic_stack: false
    .vgpr_count:     9
    .vgpr_spill_count: 0
    .wavefront_size: 32
    .workgroup_processor_mode: 1
  - .args:
      - .offset:         0
        .size:           4
        .value_kind:     by_value
      - .actual_access:  read_only
        .address_space:  global
        .offset:         8
        .size:           8
        .value_kind:     global_buffer
      - .offset:         16
        .size:           8
        .value_kind:     by_value
      - .offset:         24
        .size:           4
        .value_kind:     by_value
      - .offset:         32
        .size:           8
        .value_kind:     by_value
      - .actual_access:  read_only
        .address_space:  global
        .offset:         40
        .size:           8
        .value_kind:     global_buffer
      - .offset:         48
        .size:           8
        .value_kind:     by_value
      - .offset:         56
        .size:           4
        .value_kind:     by_value
      - .offset:         64
        .size:           8
        .value_kind:     by_value
      - .offset:         72
        .size:           4
        .value_kind:     by_value
      - .actual_access:  write_only
        .address_space:  global
        .offset:         80
        .size:           8
        .value_kind:     global_buffer
    .group_segment_fixed_size: 0
    .kernarg_segment_align: 8
    .kernarg_segment_size: 88
    .language:       OpenCL C
    .language_version:
      - 2
      - 0
    .max_flat_workgroup_size: 128
    .name:           _ZL28rocblas_dot_batched_4_kernelIiLi32ELi4ELb0EddPKPKdEviT5_lT_lS4_lS5_liPT4_
    .private_segment_fixed_size: 0
    .sgpr_count:     18
    .sgpr_spill_count: 0
    .symbol:         _ZL28rocblas_dot_batched_4_kernelIiLi32ELi4ELb0EddPKPKdEviT5_lT_lS4_lS5_liPT4_.kd
    .uniform_work_group_size: 1
    .uses_dynamic_stack: false
    .vgpr_count:     14
    .vgpr_spill_count: 0
    .wavefront_size: 32
    .workgroup_processor_mode: 1
  - .args:
      - .offset:         0
        .size:           4
        .value_kind:     by_value
      - .actual_access:  read_only
        .address_space:  global
        .offset:         8
        .size:           8
        .value_kind:     global_buffer
      - .offset:         16
        .size:           8
        .value_kind:     by_value
      - .offset:         24
        .size:           4
        .value_kind:     by_value
      - .offset:         32
        .size:           8
        .value_kind:     by_value
      - .actual_access:  read_only
        .address_space:  global
        .offset:         40
        .size:           8
        .value_kind:     global_buffer
      - .offset:         48
        .size:           8
        .value_kind:     by_value
      - .offset:         56
        .size:           4
        .value_kind:     by_value
      - .offset:         64
        .size:           8
        .value_kind:     by_value
      - .offset:         72
        .size:           4
        .value_kind:     by_value
      - .actual_access:  write_only
        .address_space:  global
        .offset:         80
        .size:           8
        .value_kind:     global_buffer
    .group_segment_fixed_size: 0
    .kernarg_segment_align: 8
    .kernarg_segment_size: 88
    .language:       OpenCL C
    .language_version:
      - 2
      - 0
    .max_flat_workgroup_size: 256
    .name:           _ZL28rocblas_dot_batched_4_kernelIiLi64ELi4ELb0EddPKPKdEviT5_lT_lS4_lS5_liPT4_
    .private_segment_fixed_size: 0
    .sgpr_count:     18
    .sgpr_spill_count: 0
    .symbol:         _ZL28rocblas_dot_batched_4_kernelIiLi64ELi4ELb0EddPKPKdEviT5_lT_lS4_lS5_liPT4_.kd
    .uniform_work_group_size: 1
    .uses_dynamic_stack: false
    .vgpr_count:     14
    .vgpr_spill_count: 0
    .wavefront_size: 32
    .workgroup_processor_mode: 1
  - .args:
      - .offset:         0
        .size:           4
        .value_kind:     by_value
      - .actual_access:  read_only
        .address_space:  global
        .offset:         8
        .size:           8
        .value_kind:     global_buffer
      - .offset:         16
        .size:           8
        .value_kind:     by_value
      - .offset:         24
        .size:           8
        .value_kind:     by_value
      - .actual_access:  read_only
        .address_space:  global
        .offset:         32
        .size:           8
        .value_kind:     global_buffer
      - .offset:         40
        .size:           8
        .value_kind:     by_value
      - .offset:         48
        .size:           8
        .value_kind:     by_value
      - .offset:         56
        .size:           4
        .value_kind:     by_value
      - .actual_access:  read_only
        .address_space:  global
        .offset:         64
        .size:           8
        .value_kind:     global_buffer
      - .actual_access:  write_only
        .address_space:  global
        .offset:         72
        .size:           8
        .value_kind:     global_buffer
    .group_segment_fixed_size: 256
    .kernarg_segment_align: 8
    .kernarg_segment_size: 80
    .language:       OpenCL C
    .language_version:
      - 2
      - 0
    .max_flat_workgroup_size: 1024
    .name:           _ZL26rocblas_dot_kernel_inc1by2ILb1ELi1024ELi32ELb0EdPKPKddEviT4_llS4_lliPT5_PT3_
    .private_segment_fixed_size: 0
    .sgpr_count:     18
    .sgpr_spill_count: 0
    .symbol:         _ZL26rocblas_dot_kernel_inc1by2ILb1ELi1024ELi32ELb0EdPKPKddEviT4_llS4_lliPT5_PT3_.kd
    .uniform_work_group_size: 1
    .uses_dynamic_stack: false
    .vgpr_count:     12
    .vgpr_spill_count: 0
    .wavefront_size: 32
    .workgroup_processor_mode: 1
  - .args:
      - .offset:         0
        .size:           4
        .value_kind:     by_value
      - .actual_access:  read_only
        .address_space:  global
        .offset:         8
        .size:           8
        .value_kind:     global_buffer
      - .offset:         16
        .size:           8
        .value_kind:     by_value
      - .offset:         24
        .size:           4
        .value_kind:     by_value
      - .offset:         32
        .size:           8
        .value_kind:     by_value
      - .actual_access:  read_only
        .address_space:  global
        .offset:         40
        .size:           8
        .value_kind:     global_buffer
      - .offset:         48
        .size:           8
        .value_kind:     by_value
      - .offset:         56
        .size:           4
        .value_kind:     by_value
      - .offset:         64
        .size:           8
        .value_kind:     by_value
      - .offset:         72
        .size:           4
        .value_kind:     by_value
      - .actual_access:  read_only
        .address_space:  global
        .offset:         80
        .size:           8
        .value_kind:     global_buffer
      - .actual_access:  write_only
        .address_space:  global
        .offset:         88
        .size:           8
        .value_kind:     global_buffer
      - .offset:         96
        .size:           4
        .value_kind:     hidden_block_count_x
      - .offset:         100
        .size:           4
        .value_kind:     hidden_block_count_y
      - .offset:         104
        .size:           4
        .value_kind:     hidden_block_count_z
      - .offset:         108
        .size:           2
        .value_kind:     hidden_group_size_x
      - .offset:         110
        .size:           2
        .value_kind:     hidden_group_size_y
      - .offset:         112
        .size:           2
        .value_kind:     hidden_group_size_z
      - .offset:         114
        .size:           2
        .value_kind:     hidden_remainder_x
      - .offset:         116
        .size:           2
        .value_kind:     hidden_remainder_y
      - .offset:         118
        .size:           2
        .value_kind:     hidden_remainder_z
      - .offset:         136
        .size:           8
        .value_kind:     hidden_global_offset_x
      - .offset:         144
        .size:           8
        .value_kind:     hidden_global_offset_y
      - .offset:         152
        .size:           8
        .value_kind:     hidden_global_offset_z
      - .offset:         160
        .size:           2
        .value_kind:     hidden_grid_dims
    .group_segment_fixed_size: 256
    .kernarg_segment_align: 8
    .kernarg_segment_size: 352
    .language:       OpenCL C
    .language_version:
      - 2
      - 0
    .max_flat_workgroup_size: 1024
    .name:           _ZL18rocblas_dot_kernelIiLb1ELi1024ELi32ELb0EdPKPKddEviT5_lT_lS4_lS5_liPT6_PT4_
    .private_segment_fixed_size: 0
    .sgpr_count:     23
    .sgpr_spill_count: 0
    .symbol:         _ZL18rocblas_dot_kernelIiLb1ELi1024ELi32ELb0EdPKPKddEviT5_lT_lS4_lS5_liPT6_PT4_.kd
    .uniform_work_group_size: 1
    .uses_dynamic_stack: false
    .vgpr_count:     12
    .vgpr_spill_count: 0
    .wavefront_size: 32
    .workgroup_processor_mode: 1
  - .args:
      - .offset:         0
        .size:           4
        .value_kind:     by_value
      - .actual_access:  read_only
        .address_space:  global
        .offset:         8
        .size:           8
        .value_kind:     global_buffer
      - .offset:         16
        .size:           8
        .value_kind:     by_value
      - .offset:         24
        .size:           4
        .value_kind:     by_value
      - .offset:         32
        .size:           8
        .value_kind:     by_value
      - .offset:         40
        .size:           4
        .value_kind:     by_value
      - .actual_access:  read_only
        .address_space:  global
        .offset:         48
        .size:           8
        .value_kind:     global_buffer
      - .actual_access:  write_only
        .address_space:  global
        .offset:         56
        .size:           8
        .value_kind:     global_buffer
      - .offset:         64
        .size:           4
        .value_kind:     hidden_block_count_x
      - .offset:         68
        .size:           4
        .value_kind:     hidden_block_count_y
      - .offset:         72
        .size:           4
        .value_kind:     hidden_block_count_z
      - .offset:         76
        .size:           2
        .value_kind:     hidden_group_size_x
      - .offset:         78
        .size:           2
        .value_kind:     hidden_group_size_y
      - .offset:         80
        .size:           2
        .value_kind:     hidden_group_size_z
      - .offset:         82
        .size:           2
        .value_kind:     hidden_remainder_x
      - .offset:         84
        .size:           2
        .value_kind:     hidden_remainder_y
      - .offset:         86
        .size:           2
        .value_kind:     hidden_remainder_z
      - .offset:         104
        .size:           8
        .value_kind:     hidden_global_offset_x
      - .offset:         112
        .size:           8
        .value_kind:     hidden_global_offset_y
      - .offset:         120
        .size:           8
        .value_kind:     hidden_global_offset_z
      - .offset:         128
        .size:           2
        .value_kind:     hidden_grid_dims
    .group_segment_fixed_size: 256
    .kernarg_segment_align: 8
    .kernarg_segment_size: 320
    .language:       OpenCL C
    .language_version:
      - 2
      - 0
    .max_flat_workgroup_size: 1024
    .name:           _ZL24rocblas_dot_kernel_magsqIiLb1ELi1024ELi32ELb0EdPKPKddEviT5_lT_liPT6_PT4_
    .private_segment_fixed_size: 0
    .sgpr_count:     19
    .sgpr_spill_count: 0
    .symbol:         _ZL24rocblas_dot_kernel_magsqIiLb1ELi1024ELi32ELb0EdPKPKddEviT5_lT_liPT6_PT4_.kd
    .uniform_work_group_size: 1
    .uses_dynamic_stack: false
    .vgpr_count:     12
    .vgpr_spill_count: 0
    .wavefront_size: 32
    .workgroup_processor_mode: 1
  - .args:
      - .offset:         0
        .size:           4
        .value_kind:     by_value
      - .actual_access:  read_only
        .address_space:  global
        .offset:         8
        .size:           8
        .value_kind:     global_buffer
      - .offset:         16
        .size:           8
        .value_kind:     by_value
      - .offset:         24
        .size:           4
        .value_kind:     by_value
      - .offset:         32
        .size:           8
        .value_kind:     by_value
      - .actual_access:  read_only
        .address_space:  global
        .offset:         40
        .size:           8
        .value_kind:     global_buffer
      - .offset:         48
        .size:           8
        .value_kind:     by_value
      - .offset:         56
        .size:           4
        .value_kind:     by_value
      - .offset:         64
        .size:           8
        .value_kind:     by_value
      - .actual_access:  read_only
        .address_space:  global
        .offset:         72
        .size:           8
        .value_kind:     global_buffer
      - .actual_access:  read_only
        .address_space:  global
        .offset:         80
        .size:           8
        .value_kind:     global_buffer
    .group_segment_fixed_size: 0
    .kernarg_segment_align: 8
    .kernarg_segment_size: 88
    .language:       OpenCL C
    .language_version:
      - 2
      - 0
    .max_flat_workgroup_size: 1024
    .name:           _ZL38rocblas_dot_kernel_gfx942_float_doubleIiLi1024EdPKPKddEviT2_lT_lS4_lS5_lPT3_PT1_
    .private_segment_fixed_size: 0
    .sgpr_count:     0
    .sgpr_spill_count: 0
    .symbol:         _ZL38rocblas_dot_kernel_gfx942_float_doubleIiLi1024EdPKPKddEviT2_lT_lS4_lS5_lPT3_PT1_.kd
    .uniform_work_group_size: 1
    .uses_dynamic_stack: false
    .vgpr_count:     0
    .vgpr_spill_count: 0
    .wavefront_size: 32
    .workgroup_processor_mode: 1
  - .args:
      - .offset:         0
        .size:           4
        .value_kind:     by_value
      - .actual_access:  read_only
        .address_space:  global
        .offset:         8
        .size:           8
        .value_kind:     global_buffer
      - .offset:         16
        .size:           8
        .value_kind:     by_value
      - .offset:         24
        .size:           8
        .value_kind:     by_value
      - .actual_access:  read_only
        .address_space:  global
        .offset:         32
        .size:           8
        .value_kind:     global_buffer
      - .offset:         40
        .size:           8
        .value_kind:     by_value
      - .offset:         48
        .size:           8
        .value_kind:     by_value
      - .offset:         56
        .size:           4
        .value_kind:     by_value
      - .actual_access:  write_only
        .address_space:  global
        .offset:         64
        .size:           8
        .value_kind:     global_buffer
      - .actual_access:  write_only
        .address_space:  global
        .offset:         72
        .size:           8
        .value_kind:     global_buffer
      - .offset:         80
        .size:           4
        .value_kind:     hidden_block_count_x
      - .offset:         84
        .size:           4
        .value_kind:     hidden_block_count_y
      - .offset:         88
        .size:           4
        .value_kind:     hidden_block_count_z
      - .offset:         92
        .size:           2
        .value_kind:     hidden_group_size_x
      - .offset:         94
        .size:           2
        .value_kind:     hidden_group_size_y
      - .offset:         96
        .size:           2
        .value_kind:     hidden_group_size_z
      - .offset:         98
        .size:           2
        .value_kind:     hidden_remainder_x
      - .offset:         100
        .size:           2
        .value_kind:     hidden_remainder_y
      - .offset:         102
        .size:           2
        .value_kind:     hidden_remainder_z
      - .offset:         120
        .size:           8
        .value_kind:     hidden_global_offset_x
      - .offset:         128
        .size:           8
        .value_kind:     hidden_global_offset_y
      - .offset:         136
        .size:           8
        .value_kind:     hidden_global_offset_z
      - .offset:         144
        .size:           2
        .value_kind:     hidden_grid_dims
    .group_segment_fixed_size: 256
    .kernarg_segment_align: 8
    .kernarg_segment_size: 336
    .language:       OpenCL C
    .language_version:
      - 2
      - 0
    .max_flat_workgroup_size: 512
    .name:           _ZL23rocblas_dot_kernel_inc1ILb0ELi512ELi2ELb0EdPKPKddEviT4_llS4_lliPT5_PT3_
    .private_segment_fixed_size: 0
    .sgpr_count:     22
    .sgpr_spill_count: 0
    .symbol:         _ZL23rocblas_dot_kernel_inc1ILb0ELi512ELi2ELb0EdPKPKddEviT4_llS4_lliPT5_PT3_.kd
    .uniform_work_group_size: 1
    .uses_dynamic_stack: false
    .vgpr_count:     11
    .vgpr_spill_count: 0
    .wavefront_size: 32
    .workgroup_processor_mode: 1
  - .args:
      - .offset:         0
        .size:           4
        .value_kind:     by_value
      - .actual_access:  read_only
        .address_space:  global
        .offset:         8
        .size:           8
        .value_kind:     global_buffer
      - .offset:         16
        .size:           8
        .value_kind:     by_value
      - .offset:         24
        .size:           4
        .value_kind:     by_value
      - .offset:         32
        .size:           8
        .value_kind:     by_value
      - .actual_access:  read_only
        .address_space:  global
        .offset:         40
        .size:           8
        .value_kind:     global_buffer
      - .offset:         48
        .size:           8
        .value_kind:     by_value
      - .offset:         56
        .size:           4
        .value_kind:     by_value
      - .offset:         64
        .size:           8
        .value_kind:     by_value
      - .offset:         72
        .size:           4
        .value_kind:     by_value
      - .actual_access:  write_only
        .address_space:  global
        .offset:         80
        .size:           8
        .value_kind:     global_buffer
      - .actual_access:  write_only
        .address_space:  global
        .offset:         88
        .size:           8
        .value_kind:     global_buffer
      - .offset:         96
        .size:           4
        .value_kind:     hidden_block_count_x
      - .offset:         100
        .size:           4
        .value_kind:     hidden_block_count_y
      - .offset:         104
        .size:           4
        .value_kind:     hidden_block_count_z
      - .offset:         108
        .size:           2
        .value_kind:     hidden_group_size_x
      - .offset:         110
        .size:           2
        .value_kind:     hidden_group_size_y
      - .offset:         112
        .size:           2
        .value_kind:     hidden_group_size_z
      - .offset:         114
        .size:           2
        .value_kind:     hidden_remainder_x
      - .offset:         116
        .size:           2
        .value_kind:     hidden_remainder_y
      - .offset:         118
        .size:           2
        .value_kind:     hidden_remainder_z
      - .offset:         136
        .size:           8
        .value_kind:     hidden_global_offset_x
      - .offset:         144
        .size:           8
        .value_kind:     hidden_global_offset_y
      - .offset:         152
        .size:           8
        .value_kind:     hidden_global_offset_z
      - .offset:         160
        .size:           2
        .value_kind:     hidden_grid_dims
    .group_segment_fixed_size: 256
    .kernarg_segment_align: 8
    .kernarg_segment_size: 352
    .language:       OpenCL C
    .language_version:
      - 2
      - 0
    .max_flat_workgroup_size: 512
    .name:           _ZL18rocblas_dot_kernelIiLb0ELi512ELi2ELb0EdPKPKddEviT5_lT_lS4_lS5_liPT6_PT4_
    .private_segment_fixed_size: 0
    .sgpr_count:     26
    .sgpr_spill_count: 0
    .symbol:         _ZL18rocblas_dot_kernelIiLb0ELi512ELi2ELb0EdPKPKddEviT5_lT_lS4_lS5_liPT6_PT4_.kd
    .uniform_work_group_size: 1
    .uses_dynamic_stack: false
    .vgpr_count:     11
    .vgpr_spill_count: 0
    .wavefront_size: 32
    .workgroup_processor_mode: 1
  - .args:
      - .offset:         0
        .size:           4
        .value_kind:     by_value
      - .actual_access:  read_only
        .address_space:  global
        .offset:         8
        .size:           8
        .value_kind:     global_buffer
      - .offset:         16
        .size:           8
        .value_kind:     by_value
      - .offset:         24
        .size:           4
        .value_kind:     by_value
      - .offset:         32
        .size:           8
        .value_kind:     by_value
      - .offset:         40
        .size:           4
        .value_kind:     by_value
      - .actual_access:  write_only
        .address_space:  global
        .offset:         48
        .size:           8
        .value_kind:     global_buffer
      - .actual_access:  write_only
        .address_space:  global
        .offset:         56
        .size:           8
        .value_kind:     global_buffer
      - .offset:         64
        .size:           4
        .value_kind:     hidden_block_count_x
      - .offset:         68
        .size:           4
        .value_kind:     hidden_block_count_y
      - .offset:         72
        .size:           4
        .value_kind:     hidden_block_count_z
      - .offset:         76
        .size:           2
        .value_kind:     hidden_group_size_x
      - .offset:         78
        .size:           2
        .value_kind:     hidden_group_size_y
      - .offset:         80
        .size:           2
        .value_kind:     hidden_group_size_z
      - .offset:         82
        .size:           2
        .value_kind:     hidden_remainder_x
      - .offset:         84
        .size:           2
        .value_kind:     hidden_remainder_y
      - .offset:         86
        .size:           2
        .value_kind:     hidden_remainder_z
      - .offset:         104
        .size:           8
        .value_kind:     hidden_global_offset_x
      - .offset:         112
        .size:           8
        .value_kind:     hidden_global_offset_y
      - .offset:         120
        .size:           8
        .value_kind:     hidden_global_offset_z
      - .offset:         128
        .size:           2
        .value_kind:     hidden_grid_dims
    .group_segment_fixed_size: 256
    .kernarg_segment_align: 8
    .kernarg_segment_size: 320
    .language:       OpenCL C
    .language_version:
      - 2
      - 0
    .max_flat_workgroup_size: 512
    .name:           _ZL24rocblas_dot_kernel_magsqIiLb0ELi512ELi2ELb0EdPKPKddEviT5_lT_liPT6_PT4_
    .private_segment_fixed_size: 0
    .sgpr_count:     18
    .sgpr_spill_count: 0
    .symbol:         _ZL24rocblas_dot_kernel_magsqIiLb0ELi512ELi2ELb0EdPKPKddEviT5_lT_liPT6_PT4_.kd
    .uniform_work_group_size: 1
    .uses_dynamic_stack: false
    .vgpr_count:     11
    .vgpr_spill_count: 0
    .wavefront_size: 32
    .workgroup_processor_mode: 1
  - .args:
      - .offset:         0
        .size:           4
        .value_kind:     by_value
      - .actual_access:  read_only
        .address_space:  global
        .offset:         8
        .size:           8
        .value_kind:     global_buffer
      - .offset:         16
        .size:           8
        .value_kind:     by_value
      - .offset:         24
        .size:           8
        .value_kind:     by_value
      - .offset:         32
        .size:           8
        .value_kind:     by_value
      - .actual_access:  read_only
        .address_space:  global
        .offset:         40
        .size:           8
        .value_kind:     global_buffer
      - .offset:         48
        .size:           8
        .value_kind:     by_value
      - .offset:         56
        .size:           8
        .value_kind:     by_value
      - .offset:         64
        .size:           8
        .value_kind:     by_value
      - .offset:         72
        .size:           4
        .value_kind:     by_value
      - .actual_access:  write_only
        .address_space:  global
        .offset:         80
        .size:           8
        .value_kind:     global_buffer
    .group_segment_fixed_size: 0
    .kernarg_segment_align: 8
    .kernarg_segment_size: 88
    .language:       OpenCL C
    .language_version:
      - 2
      - 0
    .max_flat_workgroup_size: 128
    .name:           _ZL28rocblas_dot_batched_4_kernelIlLi32ELi4ELb0EddPKPKdEviT5_lT_lS4_lS5_liPT4_
    .private_segment_fixed_size: 0
    .sgpr_count:     18
    .sgpr_spill_count: 0
    .symbol:         _ZL28rocblas_dot_batched_4_kernelIlLi32ELi4ELb0EddPKPKdEviT5_lT_lS4_lS5_liPT4_.kd
    .uniform_work_group_size: 1
    .uses_dynamic_stack: false
    .vgpr_count:     15
    .vgpr_spill_count: 0
    .wavefront_size: 32
    .workgroup_processor_mode: 1
  - .args:
      - .offset:         0
        .size:           4
        .value_kind:     by_value
      - .actual_access:  read_only
        .address_space:  global
        .offset:         8
        .size:           8
        .value_kind:     global_buffer
      - .offset:         16
        .size:           8
        .value_kind:     by_value
      - .offset:         24
        .size:           8
        .value_kind:     by_value
      - .offset:         32
        .size:           8
        .value_kind:     by_value
      - .actual_access:  read_only
        .address_space:  global
        .offset:         40
        .size:           8
        .value_kind:     global_buffer
      - .offset:         48
        .size:           8
        .value_kind:     by_value
      - .offset:         56
        .size:           8
        .value_kind:     by_value
      - .offset:         64
        .size:           8
        .value_kind:     by_value
      - .offset:         72
        .size:           4
        .value_kind:     by_value
      - .actual_access:  write_only
        .address_space:  global
        .offset:         80
        .size:           8
        .value_kind:     global_buffer
    .group_segment_fixed_size: 0
    .kernarg_segment_align: 8
    .kernarg_segment_size: 88
    .language:       OpenCL C
    .language_version:
      - 2
      - 0
    .max_flat_workgroup_size: 256
    .name:           _ZL28rocblas_dot_batched_4_kernelIlLi64ELi4ELb0EddPKPKdEviT5_lT_lS4_lS5_liPT4_
    .private_segment_fixed_size: 0
    .sgpr_count:     18
    .sgpr_spill_count: 0
    .symbol:         _ZL28rocblas_dot_batched_4_kernelIlLi64ELi4ELb0EddPKPKdEviT5_lT_lS4_lS5_liPT4_.kd
    .uniform_work_group_size: 1
    .uses_dynamic_stack: false
    .vgpr_count:     15
    .vgpr_spill_count: 0
    .wavefront_size: 32
    .workgroup_processor_mode: 1
  - .args:
      - .offset:         0
        .size:           4
        .value_kind:     by_value
      - .actual_access:  read_only
        .address_space:  global
        .offset:         8
        .size:           8
        .value_kind:     global_buffer
      - .offset:         16
        .size:           8
        .value_kind:     by_value
      - .offset:         24
        .size:           8
        .value_kind:     by_value
      - .offset:         32
        .size:           8
        .value_kind:     by_value
      - .actual_access:  read_only
        .address_space:  global
        .offset:         40
        .size:           8
        .value_kind:     global_buffer
      - .offset:         48
        .size:           8
        .value_kind:     by_value
      - .offset:         56
        .size:           8
        .value_kind:     by_value
      - .offset:         64
        .size:           8
        .value_kind:     by_value
      - .offset:         72
        .size:           4
        .value_kind:     by_value
      - .actual_access:  read_only
        .address_space:  global
        .offset:         80
        .size:           8
        .value_kind:     global_buffer
      - .actual_access:  write_only
        .address_space:  global
        .offset:         88
        .size:           8
        .value_kind:     global_buffer
      - .offset:         96
        .size:           4
        .value_kind:     hidden_block_count_x
      - .offset:         100
        .size:           4
        .value_kind:     hidden_block_count_y
      - .offset:         104
        .size:           4
        .value_kind:     hidden_block_count_z
      - .offset:         108
        .size:           2
        .value_kind:     hidden_group_size_x
      - .offset:         110
        .size:           2
        .value_kind:     hidden_group_size_y
      - .offset:         112
        .size:           2
        .value_kind:     hidden_group_size_z
      - .offset:         114
        .size:           2
        .value_kind:     hidden_remainder_x
      - .offset:         116
        .size:           2
        .value_kind:     hidden_remainder_y
      - .offset:         118
        .size:           2
        .value_kind:     hidden_remainder_z
      - .offset:         136
        .size:           8
        .value_kind:     hidden_global_offset_x
      - .offset:         144
        .size:           8
        .value_kind:     hidden_global_offset_y
      - .offset:         152
        .size:           8
        .value_kind:     hidden_global_offset_z
      - .offset:         160
        .size:           2
        .value_kind:     hidden_grid_dims
    .group_segment_fixed_size: 256
    .kernarg_segment_align: 8
    .kernarg_segment_size: 352
    .language:       OpenCL C
    .language_version:
      - 2
      - 0
    .max_flat_workgroup_size: 1024
    .name:           _ZL18rocblas_dot_kernelIlLb1ELi1024ELi32ELb0EdPKPKddEviT5_lT_lS4_lS5_liPT6_PT4_
    .private_segment_fixed_size: 0
    .sgpr_count:     27
    .sgpr_spill_count: 0
    .symbol:         _ZL18rocblas_dot_kernelIlLb1ELi1024ELi32ELb0EdPKPKddEviT5_lT_lS4_lS5_liPT6_PT4_.kd
    .uniform_work_group_size: 1
    .uses_dynamic_stack: false
    .vgpr_count:     12
    .vgpr_spill_count: 0
    .wavefront_size: 32
    .workgroup_processor_mode: 1
  - .args:
      - .offset:         0
        .size:           4
        .value_kind:     by_value
      - .actual_access:  read_only
        .address_space:  global
        .offset:         8
        .size:           8
        .value_kind:     global_buffer
      - .offset:         16
        .size:           8
        .value_kind:     by_value
      - .offset:         24
        .size:           8
        .value_kind:     by_value
      - .offset:         32
        .size:           8
        .value_kind:     by_value
      - .offset:         40
        .size:           4
        .value_kind:     by_value
      - .actual_access:  read_only
        .address_space:  global
        .offset:         48
        .size:           8
        .value_kind:     global_buffer
      - .actual_access:  write_only
        .address_space:  global
        .offset:         56
        .size:           8
        .value_kind:     global_buffer
      - .offset:         64
        .size:           4
        .value_kind:     hidden_block_count_x
      - .offset:         68
        .size:           4
        .value_kind:     hidden_block_count_y
      - .offset:         72
        .size:           4
        .value_kind:     hidden_block_count_z
      - .offset:         76
        .size:           2
        .value_kind:     hidden_group_size_x
      - .offset:         78
        .size:           2
        .value_kind:     hidden_group_size_y
      - .offset:         80
        .size:           2
        .value_kind:     hidden_group_size_z
      - .offset:         82
        .size:           2
        .value_kind:     hidden_remainder_x
      - .offset:         84
        .size:           2
        .value_kind:     hidden_remainder_y
      - .offset:         86
        .size:           2
        .value_kind:     hidden_remainder_z
      - .offset:         104
        .size:           8
        .value_kind:     hidden_global_offset_x
      - .offset:         112
        .size:           8
        .value_kind:     hidden_global_offset_y
      - .offset:         120
        .size:           8
        .value_kind:     hidden_global_offset_z
      - .offset:         128
        .size:           2
        .value_kind:     hidden_grid_dims
    .group_segment_fixed_size: 256
    .kernarg_segment_align: 8
    .kernarg_segment_size: 320
    .language:       OpenCL C
    .language_version:
      - 2
      - 0
    .max_flat_workgroup_size: 1024
    .name:           _ZL24rocblas_dot_kernel_magsqIlLb1ELi1024ELi32ELb0EdPKPKddEviT5_lT_liPT6_PT4_
    .private_segment_fixed_size: 0
    .sgpr_count:     19
    .sgpr_spill_count: 0
    .symbol:         _ZL24rocblas_dot_kernel_magsqIlLb1ELi1024ELi32ELb0EdPKPKddEviT5_lT_liPT6_PT4_.kd
    .uniform_work_group_size: 1
    .uses_dynamic_stack: false
    .vgpr_count:     12
    .vgpr_spill_count: 0
    .wavefront_size: 32
    .workgroup_processor_mode: 1
  - .args:
      - .offset:         0
        .size:           4
        .value_kind:     by_value
      - .actual_access:  read_only
        .address_space:  global
        .offset:         8
        .size:           8
        .value_kind:     global_buffer
      - .offset:         16
        .size:           8
        .value_kind:     by_value
      - .offset:         24
        .size:           8
        .value_kind:     by_value
      - .offset:         32
        .size:           8
        .value_kind:     by_value
      - .actual_access:  read_only
        .address_space:  global
        .offset:         40
        .size:           8
        .value_kind:     global_buffer
      - .offset:         48
        .size:           8
        .value_kind:     by_value
      - .offset:         56
        .size:           8
        .value_kind:     by_value
      - .offset:         64
        .size:           8
        .value_kind:     by_value
      - .actual_access:  read_only
        .address_space:  global
        .offset:         72
        .size:           8
        .value_kind:     global_buffer
      - .actual_access:  read_only
        .address_space:  global
        .offset:         80
        .size:           8
        .value_kind:     global_buffer
    .group_segment_fixed_size: 0
    .kernarg_segment_align: 8
    .kernarg_segment_size: 88
    .language:       OpenCL C
    .language_version:
      - 2
      - 0
    .max_flat_workgroup_size: 1024
    .name:           _ZL38rocblas_dot_kernel_gfx942_float_doubleIlLi1024EdPKPKddEviT2_lT_lS4_lS5_lPT3_PT1_
    .private_segment_fixed_size: 0
    .sgpr_count:     0
    .sgpr_spill_count: 0
    .symbol:         _ZL38rocblas_dot_kernel_gfx942_float_doubleIlLi1024EdPKPKddEviT2_lT_lS4_lS5_lPT3_PT1_.kd
    .uniform_work_group_size: 1
    .uses_dynamic_stack: false
    .vgpr_count:     0
    .vgpr_spill_count: 0
    .wavefront_size: 32
    .workgroup_processor_mode: 1
  - .args:
      - .offset:         0
        .size:           4
        .value_kind:     by_value
      - .actual_access:  read_only
        .address_space:  global
        .offset:         8
        .size:           8
        .value_kind:     global_buffer
      - .offset:         16
        .size:           8
        .value_kind:     by_value
      - .offset:         24
        .size:           8
        .value_kind:     by_value
      - .offset:         32
        .size:           8
        .value_kind:     by_value
      - .actual_access:  read_only
        .address_space:  global
        .offset:         40
        .size:           8
        .value_kind:     global_buffer
      - .offset:         48
        .size:           8
        .value_kind:     by_value
      - .offset:         56
        .size:           8
        .value_kind:     by_value
      - .offset:         64
        .size:           8
        .value_kind:     by_value
      - .offset:         72
        .size:           4
        .value_kind:     by_value
      - .actual_access:  write_only
        .address_space:  global
        .offset:         80
        .size:           8
        .value_kind:     global_buffer
      - .actual_access:  write_only
        .address_space:  global
        .offset:         88
        .size:           8
        .value_kind:     global_buffer
      - .offset:         96
        .size:           4
        .value_kind:     hidden_block_count_x
      - .offset:         100
        .size:           4
        .value_kind:     hidden_block_count_y
      - .offset:         104
        .size:           4
        .value_kind:     hidden_block_count_z
      - .offset:         108
        .size:           2
        .value_kind:     hidden_group_size_x
      - .offset:         110
        .size:           2
        .value_kind:     hidden_group_size_y
      - .offset:         112
        .size:           2
        .value_kind:     hidden_group_size_z
      - .offset:         114
        .size:           2
        .value_kind:     hidden_remainder_x
      - .offset:         116
        .size:           2
        .value_kind:     hidden_remainder_y
      - .offset:         118
        .size:           2
        .value_kind:     hidden_remainder_z
      - .offset:         136
        .size:           8
        .value_kind:     hidden_global_offset_x
      - .offset:         144
        .size:           8
        .value_kind:     hidden_global_offset_y
      - .offset:         152
        .size:           8
        .value_kind:     hidden_global_offset_z
      - .offset:         160
        .size:           2
        .value_kind:     hidden_grid_dims
    .group_segment_fixed_size: 256
    .kernarg_segment_align: 8
    .kernarg_segment_size: 352
    .language:       OpenCL C
    .language_version:
      - 2
      - 0
    .max_flat_workgroup_size: 512
    .name:           _ZL18rocblas_dot_kernelIlLb0ELi512ELi2ELb0EdPKPKddEviT5_lT_lS4_lS5_liPT6_PT4_
    .private_segment_fixed_size: 0
    .sgpr_count:     24
    .sgpr_spill_count: 0
    .symbol:         _ZL18rocblas_dot_kernelIlLb0ELi512ELi2ELb0EdPKPKddEviT5_lT_lS4_lS5_liPT6_PT4_.kd
    .uniform_work_group_size: 1
    .uses_dynamic_stack: false
    .vgpr_count:     12
    .vgpr_spill_count: 0
    .wavefront_size: 32
    .workgroup_processor_mode: 1
  - .args:
      - .offset:         0
        .size:           4
        .value_kind:     by_value
      - .actual_access:  read_only
        .address_space:  global
        .offset:         8
        .size:           8
        .value_kind:     global_buffer
      - .offset:         16
        .size:           8
        .value_kind:     by_value
      - .offset:         24
        .size:           8
        .value_kind:     by_value
      - .offset:         32
        .size:           8
        .value_kind:     by_value
      - .offset:         40
        .size:           4
        .value_kind:     by_value
      - .actual_access:  write_only
        .address_space:  global
        .offset:         48
        .size:           8
        .value_kind:     global_buffer
      - .actual_access:  write_only
        .address_space:  global
        .offset:         56
        .size:           8
        .value_kind:     global_buffer
      - .offset:         64
        .size:           4
        .value_kind:     hidden_block_count_x
      - .offset:         68
        .size:           4
        .value_kind:     hidden_block_count_y
      - .offset:         72
        .size:           4
        .value_kind:     hidden_block_count_z
      - .offset:         76
        .size:           2
        .value_kind:     hidden_group_size_x
      - .offset:         78
        .size:           2
        .value_kind:     hidden_group_size_y
      - .offset:         80
        .size:           2
        .value_kind:     hidden_group_size_z
      - .offset:         82
        .size:           2
        .value_kind:     hidden_remainder_x
      - .offset:         84
        .size:           2
        .value_kind:     hidden_remainder_y
      - .offset:         86
        .size:           2
        .value_kind:     hidden_remainder_z
      - .offset:         104
        .size:           8
        .value_kind:     hidden_global_offset_x
      - .offset:         112
        .size:           8
        .value_kind:     hidden_global_offset_y
      - .offset:         120
        .size:           8
        .value_kind:     hidden_global_offset_z
      - .offset:         128
        .size:           2
        .value_kind:     hidden_grid_dims
    .group_segment_fixed_size: 256
    .kernarg_segment_align: 8
    .kernarg_segment_size: 320
    .language:       OpenCL C
    .language_version:
      - 2
      - 0
    .max_flat_workgroup_size: 512
    .name:           _ZL24rocblas_dot_kernel_magsqIlLb0ELi512ELi2ELb0EdPKPKddEviT5_lT_liPT6_PT4_
    .private_segment_fixed_size: 0
    .sgpr_count:     20
    .sgpr_spill_count: 0
    .symbol:         _ZL24rocblas_dot_kernel_magsqIlLb0ELi512ELi2ELb0EdPKPKddEviT5_lT_liPT6_PT4_.kd
    .uniform_work_group_size: 1
    .uses_dynamic_stack: false
    .vgpr_count:     11
    .vgpr_spill_count: 0
    .wavefront_size: 32
    .workgroup_processor_mode: 1
  - .args:
      - .offset:         0
        .size:           4
        .value_kind:     by_value
      - .actual_access:  read_only
        .address_space:  global
        .offset:         8
        .size:           8
        .value_kind:     global_buffer
      - .offset:         16
        .size:           8
        .value_kind:     by_value
      - .offset:         24
        .size:           4
        .value_kind:     by_value
      - .offset:         32
        .size:           8
        .value_kind:     by_value
      - .actual_access:  read_only
        .address_space:  global
        .offset:         40
        .size:           8
        .value_kind:     global_buffer
      - .offset:         48
        .size:           8
        .value_kind:     by_value
      - .offset:         56
        .size:           4
        .value_kind:     by_value
      - .offset:         64
        .size:           8
        .value_kind:     by_value
      - .offset:         72
        .size:           4
        .value_kind:     by_value
      - .actual_access:  write_only
        .address_space:  global
        .offset:         80
        .size:           8
        .value_kind:     global_buffer
    .group_segment_fixed_size: 0
    .kernarg_segment_align: 8
    .kernarg_segment_size: 88
    .language:       OpenCL C
    .language_version:
      - 2
      - 0
    .max_flat_workgroup_size: 128
    .name:           _ZL28rocblas_dot_batched_4_kernelIiLi32ELi4ELb0E19rocblas_complex_numIfES1_PKPKS1_EviT5_lT_lS6_lS7_liPT4_
    .private_segment_fixed_size: 0
    .sgpr_count:     18
    .sgpr_spill_count: 0
    .symbol:         _ZL28rocblas_dot_batched_4_kernelIiLi32ELi4ELb0E19rocblas_complex_numIfES1_PKPKS1_EviT5_lT_lS6_lS7_liPT4_.kd
    .uniform_work_group_size: 1
    .uses_dynamic_stack: false
    .vgpr_count:     15
    .vgpr_spill_count: 0
    .wavefront_size: 32
    .workgroup_processor_mode: 1
  - .args:
      - .offset:         0
        .size:           4
        .value_kind:     by_value
      - .actual_access:  read_only
        .address_space:  global
        .offset:         8
        .size:           8
        .value_kind:     global_buffer
      - .offset:         16
        .size:           8
        .value_kind:     by_value
      - .offset:         24
        .size:           4
        .value_kind:     by_value
      - .offset:         32
        .size:           8
        .value_kind:     by_value
      - .actual_access:  read_only
        .address_space:  global
        .offset:         40
        .size:           8
        .value_kind:     global_buffer
      - .offset:         48
        .size:           8
        .value_kind:     by_value
      - .offset:         56
        .size:           4
        .value_kind:     by_value
      - .offset:         64
        .size:           8
        .value_kind:     by_value
      - .offset:         72
        .size:           4
        .value_kind:     by_value
      - .actual_access:  write_only
        .address_space:  global
        .offset:         80
        .size:           8
        .value_kind:     global_buffer
    .group_segment_fixed_size: 0
    .kernarg_segment_align: 8
    .kernarg_segment_size: 88
    .language:       OpenCL C
    .language_version:
      - 2
      - 0
    .max_flat_workgroup_size: 256
    .name:           _ZL28rocblas_dot_batched_4_kernelIiLi64ELi4ELb0E19rocblas_complex_numIfES1_PKPKS1_EviT5_lT_lS6_lS7_liPT4_
    .private_segment_fixed_size: 0
    .sgpr_count:     18
    .sgpr_spill_count: 0
    .symbol:         _ZL28rocblas_dot_batched_4_kernelIiLi64ELi4ELb0E19rocblas_complex_numIfES1_PKPKS1_EviT5_lT_lS6_lS7_liPT4_.kd
    .uniform_work_group_size: 1
    .uses_dynamic_stack: false
    .vgpr_count:     15
    .vgpr_spill_count: 0
    .wavefront_size: 32
    .workgroup_processor_mode: 1
  - .args:
      - .offset:         0
        .size:           4
        .value_kind:     by_value
      - .actual_access:  read_only
        .address_space:  global
        .offset:         8
        .size:           8
        .value_kind:     global_buffer
      - .offset:         16
        .size:           8
        .value_kind:     by_value
      - .offset:         24
        .size:           8
        .value_kind:     by_value
      - .actual_access:  read_only
        .address_space:  global
        .offset:         32
        .size:           8
        .value_kind:     global_buffer
      - .offset:         40
        .size:           8
        .value_kind:     by_value
      - .offset:         48
        .size:           8
        .value_kind:     by_value
      - .offset:         56
        .size:           4
        .value_kind:     by_value
      - .actual_access:  read_only
        .address_space:  global
        .offset:         64
        .size:           8
        .value_kind:     global_buffer
      - .actual_access:  write_only
        .address_space:  global
        .offset:         72
        .size:           8
        .value_kind:     global_buffer
    .group_segment_fixed_size: 256
    .kernarg_segment_align: 8
    .kernarg_segment_size: 80
    .language:       OpenCL C
    .language_version:
      - 2
      - 0
    .max_flat_workgroup_size: 1024
    .name:           _ZL26rocblas_dot_kernel_inc1by2ILb1ELi1024ELi32ELb0E19rocblas_complex_numIfEPKPKS1_S1_EviT4_llS6_lliPT5_PT3_
    .private_segment_fixed_size: 0
    .sgpr_count:     18
    .sgpr_spill_count: 0
    .symbol:         _ZL26rocblas_dot_kernel_inc1by2ILb1ELi1024ELi32ELb0E19rocblas_complex_numIfEPKPKS1_S1_EviT4_llS6_lliPT5_PT3_.kd
    .uniform_work_group_size: 1
    .uses_dynamic_stack: false
    .vgpr_count:     13
    .vgpr_spill_count: 0
    .wavefront_size: 32
    .workgroup_processor_mode: 1
  - .args:
      - .offset:         0
        .size:           4
        .value_kind:     by_value
      - .actual_access:  read_only
        .address_space:  global
        .offset:         8
        .size:           8
        .value_kind:     global_buffer
      - .offset:         16
        .size:           8
        .value_kind:     by_value
      - .offset:         24
        .size:           4
        .value_kind:     by_value
      - .offset:         32
        .size:           8
        .value_kind:     by_value
      - .actual_access:  read_only
        .address_space:  global
        .offset:         40
        .size:           8
        .value_kind:     global_buffer
      - .offset:         48
        .size:           8
        .value_kind:     by_value
      - .offset:         56
        .size:           4
        .value_kind:     by_value
      - .offset:         64
        .size:           8
        .value_kind:     by_value
      - .offset:         72
        .size:           4
        .value_kind:     by_value
      - .actual_access:  read_only
        .address_space:  global
        .offset:         80
        .size:           8
        .value_kind:     global_buffer
      - .actual_access:  write_only
        .address_space:  global
        .offset:         88
        .size:           8
        .value_kind:     global_buffer
      - .offset:         96
        .size:           4
        .value_kind:     hidden_block_count_x
      - .offset:         100
        .size:           4
        .value_kind:     hidden_block_count_y
      - .offset:         104
        .size:           4
        .value_kind:     hidden_block_count_z
      - .offset:         108
        .size:           2
        .value_kind:     hidden_group_size_x
      - .offset:         110
        .size:           2
        .value_kind:     hidden_group_size_y
      - .offset:         112
        .size:           2
        .value_kind:     hidden_group_size_z
      - .offset:         114
        .size:           2
        .value_kind:     hidden_remainder_x
      - .offset:         116
        .size:           2
        .value_kind:     hidden_remainder_y
      - .offset:         118
        .size:           2
        .value_kind:     hidden_remainder_z
      - .offset:         136
        .size:           8
        .value_kind:     hidden_global_offset_x
      - .offset:         144
        .size:           8
        .value_kind:     hidden_global_offset_y
      - .offset:         152
        .size:           8
        .value_kind:     hidden_global_offset_z
      - .offset:         160
        .size:           2
        .value_kind:     hidden_grid_dims
    .group_segment_fixed_size: 256
    .kernarg_segment_align: 8
    .kernarg_segment_size: 352
    .language:       OpenCL C
    .language_version:
      - 2
      - 0
    .max_flat_workgroup_size: 1024
    .name:           _ZL18rocblas_dot_kernelIiLb1ELi1024ELi32ELb0E19rocblas_complex_numIfEPKPKS1_S1_EviT5_lT_lS6_lS7_liPT6_PT4_
    .private_segment_fixed_size: 0
    .sgpr_count:     23
    .sgpr_spill_count: 0
    .symbol:         _ZL18rocblas_dot_kernelIiLb1ELi1024ELi32ELb0E19rocblas_complex_numIfEPKPKS1_S1_EviT5_lT_lS6_lS7_liPT6_PT4_.kd
    .uniform_work_group_size: 1
    .uses_dynamic_stack: false
    .vgpr_count:     13
    .vgpr_spill_count: 0
    .wavefront_size: 32
    .workgroup_processor_mode: 1
  - .args:
      - .offset:         0
        .size:           4
        .value_kind:     by_value
      - .actual_access:  read_only
        .address_space:  global
        .offset:         8
        .size:           8
        .value_kind:     global_buffer
      - .offset:         16
        .size:           8
        .value_kind:     by_value
      - .offset:         24
        .size:           4
        .value_kind:     by_value
      - .offset:         32
        .size:           8
        .value_kind:     by_value
      - .offset:         40
        .size:           4
        .value_kind:     by_value
      - .actual_access:  read_only
        .address_space:  global
        .offset:         48
        .size:           8
        .value_kind:     global_buffer
      - .actual_access:  write_only
        .address_space:  global
        .offset:         56
        .size:           8
        .value_kind:     global_buffer
      - .offset:         64
        .size:           4
        .value_kind:     hidden_block_count_x
      - .offset:         68
        .size:           4
        .value_kind:     hidden_block_count_y
      - .offset:         72
        .size:           4
        .value_kind:     hidden_block_count_z
      - .offset:         76
        .size:           2
        .value_kind:     hidden_group_size_x
      - .offset:         78
        .size:           2
        .value_kind:     hidden_group_size_y
      - .offset:         80
        .size:           2
        .value_kind:     hidden_group_size_z
      - .offset:         82
        .size:           2
        .value_kind:     hidden_remainder_x
      - .offset:         84
        .size:           2
        .value_kind:     hidden_remainder_y
      - .offset:         86
        .size:           2
        .value_kind:     hidden_remainder_z
      - .offset:         104
        .size:           8
        .value_kind:     hidden_global_offset_x
      - .offset:         112
        .size:           8
        .value_kind:     hidden_global_offset_y
      - .offset:         120
        .size:           8
        .value_kind:     hidden_global_offset_z
      - .offset:         128
        .size:           2
        .value_kind:     hidden_grid_dims
    .group_segment_fixed_size: 256
    .kernarg_segment_align: 8
    .kernarg_segment_size: 320
    .language:       OpenCL C
    .language_version:
      - 2
      - 0
    .max_flat_workgroup_size: 1024
    .name:           _ZL24rocblas_dot_kernel_magsqIiLb1ELi1024ELi32ELb0E19rocblas_complex_numIfEPKPKS1_S1_EviT5_lT_liPT6_PT4_
    .private_segment_fixed_size: 0
    .sgpr_count:     19
    .sgpr_spill_count: 0
    .symbol:         _ZL24rocblas_dot_kernel_magsqIiLb1ELi1024ELi32ELb0E19rocblas_complex_numIfEPKPKS1_S1_EviT5_lT_liPT6_PT4_.kd
    .uniform_work_group_size: 1
    .uses_dynamic_stack: false
    .vgpr_count:     13
    .vgpr_spill_count: 0
    .wavefront_size: 32
    .workgroup_processor_mode: 1
  - .args:
      - .offset:         0
        .size:           4
        .value_kind:     by_value
      - .actual_access:  read_only
        .address_space:  global
        .offset:         8
        .size:           8
        .value_kind:     global_buffer
      - .offset:         16
        .size:           8
        .value_kind:     by_value
      - .offset:         24
        .size:           4
        .value_kind:     by_value
      - .offset:         32
        .size:           8
        .value_kind:     by_value
      - .actual_access:  read_only
        .address_space:  global
        .offset:         40
        .size:           8
        .value_kind:     global_buffer
      - .offset:         48
        .size:           8
        .value_kind:     by_value
      - .offset:         56
        .size:           4
        .value_kind:     by_value
      - .offset:         64
        .size:           8
        .value_kind:     by_value
      - .actual_access:  read_only
        .address_space:  global
        .offset:         72
        .size:           8
        .value_kind:     global_buffer
      - .actual_access:  read_only
        .address_space:  global
        .offset:         80
        .size:           8
        .value_kind:     global_buffer
    .group_segment_fixed_size: 0
    .kernarg_segment_align: 8
    .kernarg_segment_size: 88
    .language:       OpenCL C
    .language_version:
      - 2
      - 0
    .max_flat_workgroup_size: 1024
    .name:           _ZL38rocblas_dot_kernel_gfx942_float_doubleIiLi1024E19rocblas_complex_numIfEPKPKS1_S1_EviT2_lT_lS6_lS7_lPT3_PT1_
    .private_segment_fixed_size: 0
    .sgpr_count:     0
    .sgpr_spill_count: 0
    .symbol:         _ZL38rocblas_dot_kernel_gfx942_float_doubleIiLi1024E19rocblas_complex_numIfEPKPKS1_S1_EviT2_lT_lS6_lS7_lPT3_PT1_.kd
    .uniform_work_group_size: 1
    .uses_dynamic_stack: false
    .vgpr_count:     0
    .vgpr_spill_count: 0
    .wavefront_size: 32
    .workgroup_processor_mode: 1
  - .args:
      - .offset:         0
        .size:           4
        .value_kind:     by_value
      - .actual_access:  read_only
        .address_space:  global
        .offset:         8
        .size:           8
        .value_kind:     global_buffer
      - .offset:         16
        .size:           8
        .value_kind:     by_value
      - .offset:         24
        .size:           8
        .value_kind:     by_value
      - .actual_access:  read_only
        .address_space:  global
        .offset:         32
        .size:           8
        .value_kind:     global_buffer
      - .offset:         40
        .size:           8
        .value_kind:     by_value
      - .offset:         48
        .size:           8
        .value_kind:     by_value
      - .offset:         56
        .size:           4
        .value_kind:     by_value
      - .actual_access:  write_only
        .address_space:  global
        .offset:         64
        .size:           8
        .value_kind:     global_buffer
      - .actual_access:  write_only
        .address_space:  global
        .offset:         72
        .size:           8
        .value_kind:     global_buffer
      - .offset:         80
        .size:           4
        .value_kind:     hidden_block_count_x
      - .offset:         84
        .size:           4
        .value_kind:     hidden_block_count_y
      - .offset:         88
        .size:           4
        .value_kind:     hidden_block_count_z
      - .offset:         92
        .size:           2
        .value_kind:     hidden_group_size_x
      - .offset:         94
        .size:           2
        .value_kind:     hidden_group_size_y
      - .offset:         96
        .size:           2
        .value_kind:     hidden_group_size_z
      - .offset:         98
        .size:           2
        .value_kind:     hidden_remainder_x
      - .offset:         100
        .size:           2
        .value_kind:     hidden_remainder_y
      - .offset:         102
        .size:           2
        .value_kind:     hidden_remainder_z
      - .offset:         120
        .size:           8
        .value_kind:     hidden_global_offset_x
      - .offset:         128
        .size:           8
        .value_kind:     hidden_global_offset_y
      - .offset:         136
        .size:           8
        .value_kind:     hidden_global_offset_z
      - .offset:         144
        .size:           2
        .value_kind:     hidden_grid_dims
    .group_segment_fixed_size: 256
    .kernarg_segment_align: 8
    .kernarg_segment_size: 336
    .language:       OpenCL C
    .language_version:
      - 2
      - 0
    .max_flat_workgroup_size: 512
    .name:           _ZL23rocblas_dot_kernel_inc1ILb0ELi512ELi2ELb0E19rocblas_complex_numIfEPKPKS1_S1_EviT4_llS6_lliPT5_PT3_
    .private_segment_fixed_size: 0
    .sgpr_count:     22
    .sgpr_spill_count: 0
    .symbol:         _ZL23rocblas_dot_kernel_inc1ILb0ELi512ELi2ELb0E19rocblas_complex_numIfEPKPKS1_S1_EviT4_llS6_lliPT5_PT3_.kd
    .uniform_work_group_size: 1
    .uses_dynamic_stack: false
    .vgpr_count:     12
    .vgpr_spill_count: 0
    .wavefront_size: 32
    .workgroup_processor_mode: 1
  - .args:
      - .offset:         0
        .size:           4
        .value_kind:     by_value
      - .actual_access:  read_only
        .address_space:  global
        .offset:         8
        .size:           8
        .value_kind:     global_buffer
      - .offset:         16
        .size:           8
        .value_kind:     by_value
      - .offset:         24
        .size:           4
        .value_kind:     by_value
      - .offset:         32
        .size:           8
        .value_kind:     by_value
      - .actual_access:  read_only
        .address_space:  global
        .offset:         40
        .size:           8
        .value_kind:     global_buffer
      - .offset:         48
        .size:           8
        .value_kind:     by_value
      - .offset:         56
        .size:           4
        .value_kind:     by_value
      - .offset:         64
        .size:           8
        .value_kind:     by_value
      - .offset:         72
        .size:           4
        .value_kind:     by_value
      - .actual_access:  write_only
        .address_space:  global
        .offset:         80
        .size:           8
        .value_kind:     global_buffer
      - .actual_access:  write_only
        .address_space:  global
        .offset:         88
        .size:           8
        .value_kind:     global_buffer
      - .offset:         96
        .size:           4
        .value_kind:     hidden_block_count_x
      - .offset:         100
        .size:           4
        .value_kind:     hidden_block_count_y
      - .offset:         104
        .size:           4
        .value_kind:     hidden_block_count_z
      - .offset:         108
        .size:           2
        .value_kind:     hidden_group_size_x
      - .offset:         110
        .size:           2
        .value_kind:     hidden_group_size_y
      - .offset:         112
        .size:           2
        .value_kind:     hidden_group_size_z
      - .offset:         114
        .size:           2
        .value_kind:     hidden_remainder_x
      - .offset:         116
        .size:           2
        .value_kind:     hidden_remainder_y
      - .offset:         118
        .size:           2
        .value_kind:     hidden_remainder_z
      - .offset:         136
        .size:           8
        .value_kind:     hidden_global_offset_x
      - .offset:         144
        .size:           8
        .value_kind:     hidden_global_offset_y
      - .offset:         152
        .size:           8
        .value_kind:     hidden_global_offset_z
      - .offset:         160
        .size:           2
        .value_kind:     hidden_grid_dims
    .group_segment_fixed_size: 256
    .kernarg_segment_align: 8
    .kernarg_segment_size: 352
    .language:       OpenCL C
    .language_version:
      - 2
      - 0
    .max_flat_workgroup_size: 512
    .name:           _ZL18rocblas_dot_kernelIiLb0ELi512ELi2ELb0E19rocblas_complex_numIfEPKPKS1_S1_EviT5_lT_lS6_lS7_liPT6_PT4_
    .private_segment_fixed_size: 0
    .sgpr_count:     26
    .sgpr_spill_count: 0
    .symbol:         _ZL18rocblas_dot_kernelIiLb0ELi512ELi2ELb0E19rocblas_complex_numIfEPKPKS1_S1_EviT5_lT_lS6_lS7_liPT6_PT4_.kd
    .uniform_work_group_size: 1
    .uses_dynamic_stack: false
    .vgpr_count:     11
    .vgpr_spill_count: 0
    .wavefront_size: 32
    .workgroup_processor_mode: 1
  - .args:
      - .offset:         0
        .size:           4
        .value_kind:     by_value
      - .actual_access:  read_only
        .address_space:  global
        .offset:         8
        .size:           8
        .value_kind:     global_buffer
      - .offset:         16
        .size:           8
        .value_kind:     by_value
      - .offset:         24
        .size:           4
        .value_kind:     by_value
      - .offset:         32
        .size:           8
        .value_kind:     by_value
      - .offset:         40
        .size:           4
        .value_kind:     by_value
      - .actual_access:  write_only
        .address_space:  global
        .offset:         48
        .size:           8
        .value_kind:     global_buffer
      - .actual_access:  write_only
        .address_space:  global
        .offset:         56
        .size:           8
        .value_kind:     global_buffer
      - .offset:         64
        .size:           4
        .value_kind:     hidden_block_count_x
      - .offset:         68
        .size:           4
        .value_kind:     hidden_block_count_y
      - .offset:         72
        .size:           4
        .value_kind:     hidden_block_count_z
      - .offset:         76
        .size:           2
        .value_kind:     hidden_group_size_x
      - .offset:         78
        .size:           2
        .value_kind:     hidden_group_size_y
      - .offset:         80
        .size:           2
        .value_kind:     hidden_group_size_z
      - .offset:         82
        .size:           2
        .value_kind:     hidden_remainder_x
      - .offset:         84
        .size:           2
        .value_kind:     hidden_remainder_y
      - .offset:         86
        .size:           2
        .value_kind:     hidden_remainder_z
      - .offset:         104
        .size:           8
        .value_kind:     hidden_global_offset_x
      - .offset:         112
        .size:           8
        .value_kind:     hidden_global_offset_y
      - .offset:         120
        .size:           8
        .value_kind:     hidden_global_offset_z
      - .offset:         128
        .size:           2
        .value_kind:     hidden_grid_dims
    .group_segment_fixed_size: 256
    .kernarg_segment_align: 8
    .kernarg_segment_size: 320
    .language:       OpenCL C
    .language_version:
      - 2
      - 0
    .max_flat_workgroup_size: 512
    .name:           _ZL24rocblas_dot_kernel_magsqIiLb0ELi512ELi2ELb0E19rocblas_complex_numIfEPKPKS1_S1_EviT5_lT_liPT6_PT4_
    .private_segment_fixed_size: 0
    .sgpr_count:     18
    .sgpr_spill_count: 0
    .symbol:         _ZL24rocblas_dot_kernel_magsqIiLb0ELi512ELi2ELb0E19rocblas_complex_numIfEPKPKS1_S1_EviT5_lT_liPT6_PT4_.kd
    .uniform_work_group_size: 1
    .uses_dynamic_stack: false
    .vgpr_count:     11
    .vgpr_spill_count: 0
    .wavefront_size: 32
    .workgroup_processor_mode: 1
  - .args:
      - .offset:         0
        .size:           4
        .value_kind:     by_value
      - .actual_access:  read_only
        .address_space:  global
        .offset:         8
        .size:           8
        .value_kind:     global_buffer
      - .offset:         16
        .size:           8
        .value_kind:     by_value
      - .offset:         24
        .size:           8
        .value_kind:     by_value
      - .offset:         32
        .size:           8
        .value_kind:     by_value
      - .actual_access:  read_only
        .address_space:  global
        .offset:         40
        .size:           8
        .value_kind:     global_buffer
      - .offset:         48
        .size:           8
        .value_kind:     by_value
      - .offset:         56
        .size:           8
        .value_kind:     by_value
      - .offset:         64
        .size:           8
        .value_kind:     by_value
      - .offset:         72
        .size:           4
        .value_kind:     by_value
      - .actual_access:  write_only
        .address_space:  global
        .offset:         80
        .size:           8
        .value_kind:     global_buffer
    .group_segment_fixed_size: 0
    .kernarg_segment_align: 8
    .kernarg_segment_size: 88
    .language:       OpenCL C
    .language_version:
      - 2
      - 0
    .max_flat_workgroup_size: 128
    .name:           _ZL28rocblas_dot_batched_4_kernelIlLi32ELi4ELb0E19rocblas_complex_numIfES1_PKPKS1_EviT5_lT_lS6_lS7_liPT4_
    .private_segment_fixed_size: 0
    .sgpr_count:     18
    .sgpr_spill_count: 0
    .symbol:         _ZL28rocblas_dot_batched_4_kernelIlLi32ELi4ELb0E19rocblas_complex_numIfES1_PKPKS1_EviT5_lT_lS6_lS7_liPT4_.kd
    .uniform_work_group_size: 1
    .uses_dynamic_stack: false
    .vgpr_count:     15
    .vgpr_spill_count: 0
    .wavefront_size: 32
    .workgroup_processor_mode: 1
  - .args:
      - .offset:         0
        .size:           4
        .value_kind:     by_value
      - .actual_access:  read_only
        .address_space:  global
        .offset:         8
        .size:           8
        .value_kind:     global_buffer
      - .offset:         16
        .size:           8
        .value_kind:     by_value
      - .offset:         24
        .size:           8
        .value_kind:     by_value
      - .offset:         32
        .size:           8
        .value_kind:     by_value
      - .actual_access:  read_only
        .address_space:  global
        .offset:         40
        .size:           8
        .value_kind:     global_buffer
      - .offset:         48
        .size:           8
        .value_kind:     by_value
      - .offset:         56
        .size:           8
        .value_kind:     by_value
      - .offset:         64
        .size:           8
        .value_kind:     by_value
      - .offset:         72
        .size:           4
        .value_kind:     by_value
      - .actual_access:  write_only
        .address_space:  global
        .offset:         80
        .size:           8
        .value_kind:     global_buffer
    .group_segment_fixed_size: 0
    .kernarg_segment_align: 8
    .kernarg_segment_size: 88
    .language:       OpenCL C
    .language_version:
      - 2
      - 0
    .max_flat_workgroup_size: 256
    .name:           _ZL28rocblas_dot_batched_4_kernelIlLi64ELi4ELb0E19rocblas_complex_numIfES1_PKPKS1_EviT5_lT_lS6_lS7_liPT4_
    .private_segment_fixed_size: 0
    .sgpr_count:     18
    .sgpr_spill_count: 0
    .symbol:         _ZL28rocblas_dot_batched_4_kernelIlLi64ELi4ELb0E19rocblas_complex_numIfES1_PKPKS1_EviT5_lT_lS6_lS7_liPT4_.kd
    .uniform_work_group_size: 1
    .uses_dynamic_stack: false
    .vgpr_count:     15
    .vgpr_spill_count: 0
    .wavefront_size: 32
    .workgroup_processor_mode: 1
  - .args:
      - .offset:         0
        .size:           4
        .value_kind:     by_value
      - .actual_access:  read_only
        .address_space:  global
        .offset:         8
        .size:           8
        .value_kind:     global_buffer
      - .offset:         16
        .size:           8
        .value_kind:     by_value
      - .offset:         24
        .size:           8
        .value_kind:     by_value
      - .offset:         32
        .size:           8
        .value_kind:     by_value
      - .actual_access:  read_only
        .address_space:  global
        .offset:         40
        .size:           8
        .value_kind:     global_buffer
      - .offset:         48
        .size:           8
        .value_kind:     by_value
      - .offset:         56
        .size:           8
        .value_kind:     by_value
      - .offset:         64
        .size:           8
        .value_kind:     by_value
      - .offset:         72
        .size:           4
        .value_kind:     by_value
      - .actual_access:  read_only
        .address_space:  global
        .offset:         80
        .size:           8
        .value_kind:     global_buffer
      - .actual_access:  write_only
        .address_space:  global
        .offset:         88
        .size:           8
        .value_kind:     global_buffer
      - .offset:         96
        .size:           4
        .value_kind:     hidden_block_count_x
      - .offset:         100
        .size:           4
        .value_kind:     hidden_block_count_y
      - .offset:         104
        .size:           4
        .value_kind:     hidden_block_count_z
      - .offset:         108
        .size:           2
        .value_kind:     hidden_group_size_x
      - .offset:         110
        .size:           2
        .value_kind:     hidden_group_size_y
      - .offset:         112
        .size:           2
        .value_kind:     hidden_group_size_z
      - .offset:         114
        .size:           2
        .value_kind:     hidden_remainder_x
      - .offset:         116
        .size:           2
        .value_kind:     hidden_remainder_y
      - .offset:         118
        .size:           2
        .value_kind:     hidden_remainder_z
      - .offset:         136
        .size:           8
        .value_kind:     hidden_global_offset_x
      - .offset:         144
        .size:           8
        .value_kind:     hidden_global_offset_y
      - .offset:         152
        .size:           8
        .value_kind:     hidden_global_offset_z
      - .offset:         160
        .size:           2
        .value_kind:     hidden_grid_dims
    .group_segment_fixed_size: 256
    .kernarg_segment_align: 8
    .kernarg_segment_size: 352
    .language:       OpenCL C
    .language_version:
      - 2
      - 0
    .max_flat_workgroup_size: 1024
    .name:           _ZL18rocblas_dot_kernelIlLb1ELi1024ELi32ELb0E19rocblas_complex_numIfEPKPKS1_S1_EviT5_lT_lS6_lS7_liPT6_PT4_
    .private_segment_fixed_size: 0
    .sgpr_count:     25
    .sgpr_spill_count: 0
    .symbol:         _ZL18rocblas_dot_kernelIlLb1ELi1024ELi32ELb0E19rocblas_complex_numIfEPKPKS1_S1_EviT5_lT_lS6_lS7_liPT6_PT4_.kd
    .uniform_work_group_size: 1
    .uses_dynamic_stack: false
    .vgpr_count:     13
    .vgpr_spill_count: 0
    .wavefront_size: 32
    .workgroup_processor_mode: 1
  - .args:
      - .offset:         0
        .size:           4
        .value_kind:     by_value
      - .actual_access:  read_only
        .address_space:  global
        .offset:         8
        .size:           8
        .value_kind:     global_buffer
      - .offset:         16
        .size:           8
        .value_kind:     by_value
      - .offset:         24
        .size:           8
        .value_kind:     by_value
      - .offset:         32
        .size:           8
        .value_kind:     by_value
      - .offset:         40
        .size:           4
        .value_kind:     by_value
      - .actual_access:  read_only
        .address_space:  global
        .offset:         48
        .size:           8
        .value_kind:     global_buffer
      - .actual_access:  write_only
        .address_space:  global
        .offset:         56
        .size:           8
        .value_kind:     global_buffer
      - .offset:         64
        .size:           4
        .value_kind:     hidden_block_count_x
      - .offset:         68
        .size:           4
        .value_kind:     hidden_block_count_y
      - .offset:         72
        .size:           4
        .value_kind:     hidden_block_count_z
      - .offset:         76
        .size:           2
        .value_kind:     hidden_group_size_x
      - .offset:         78
        .size:           2
        .value_kind:     hidden_group_size_y
      - .offset:         80
        .size:           2
        .value_kind:     hidden_group_size_z
      - .offset:         82
        .size:           2
        .value_kind:     hidden_remainder_x
      - .offset:         84
        .size:           2
        .value_kind:     hidden_remainder_y
      - .offset:         86
        .size:           2
        .value_kind:     hidden_remainder_z
      - .offset:         104
        .size:           8
        .value_kind:     hidden_global_offset_x
      - .offset:         112
        .size:           8
        .value_kind:     hidden_global_offset_y
      - .offset:         120
        .size:           8
        .value_kind:     hidden_global_offset_z
      - .offset:         128
        .size:           2
        .value_kind:     hidden_grid_dims
    .group_segment_fixed_size: 256
    .kernarg_segment_align: 8
    .kernarg_segment_size: 320
    .language:       OpenCL C
    .language_version:
      - 2
      - 0
    .max_flat_workgroup_size: 1024
    .name:           _ZL24rocblas_dot_kernel_magsqIlLb1ELi1024ELi32ELb0E19rocblas_complex_numIfEPKPKS1_S1_EviT5_lT_liPT6_PT4_
    .private_segment_fixed_size: 0
    .sgpr_count:     19
    .sgpr_spill_count: 0
    .symbol:         _ZL24rocblas_dot_kernel_magsqIlLb1ELi1024ELi32ELb0E19rocblas_complex_numIfEPKPKS1_S1_EviT5_lT_liPT6_PT4_.kd
    .uniform_work_group_size: 1
    .uses_dynamic_stack: false
    .vgpr_count:     13
    .vgpr_spill_count: 0
    .wavefront_size: 32
    .workgroup_processor_mode: 1
  - .args:
      - .offset:         0
        .size:           4
        .value_kind:     by_value
      - .actual_access:  read_only
        .address_space:  global
        .offset:         8
        .size:           8
        .value_kind:     global_buffer
      - .offset:         16
        .size:           8
        .value_kind:     by_value
      - .offset:         24
        .size:           8
        .value_kind:     by_value
      - .offset:         32
        .size:           8
        .value_kind:     by_value
      - .actual_access:  read_only
        .address_space:  global
        .offset:         40
        .size:           8
        .value_kind:     global_buffer
      - .offset:         48
        .size:           8
        .value_kind:     by_value
      - .offset:         56
        .size:           8
        .value_kind:     by_value
      - .offset:         64
        .size:           8
        .value_kind:     by_value
      - .actual_access:  read_only
        .address_space:  global
        .offset:         72
        .size:           8
        .value_kind:     global_buffer
      - .actual_access:  read_only
        .address_space:  global
        .offset:         80
        .size:           8
        .value_kind:     global_buffer
    .group_segment_fixed_size: 0
    .kernarg_segment_align: 8
    .kernarg_segment_size: 88
    .language:       OpenCL C
    .language_version:
      - 2
      - 0
    .max_flat_workgroup_size: 1024
    .name:           _ZL38rocblas_dot_kernel_gfx942_float_doubleIlLi1024E19rocblas_complex_numIfEPKPKS1_S1_EviT2_lT_lS6_lS7_lPT3_PT1_
    .private_segment_fixed_size: 0
    .sgpr_count:     0
    .sgpr_spill_count: 0
    .symbol:         _ZL38rocblas_dot_kernel_gfx942_float_doubleIlLi1024E19rocblas_complex_numIfEPKPKS1_S1_EviT2_lT_lS6_lS7_lPT3_PT1_.kd
    .uniform_work_group_size: 1
    .uses_dynamic_stack: false
    .vgpr_count:     0
    .vgpr_spill_count: 0
    .wavefront_size: 32
    .workgroup_processor_mode: 1
  - .args:
      - .offset:         0
        .size:           4
        .value_kind:     by_value
      - .actual_access:  read_only
        .address_space:  global
        .offset:         8
        .size:           8
        .value_kind:     global_buffer
      - .offset:         16
        .size:           8
        .value_kind:     by_value
      - .offset:         24
        .size:           8
        .value_kind:     by_value
      - .offset:         32
        .size:           8
        .value_kind:     by_value
      - .actual_access:  read_only
        .address_space:  global
        .offset:         40
        .size:           8
        .value_kind:     global_buffer
      - .offset:         48
        .size:           8
        .value_kind:     by_value
      - .offset:         56
        .size:           8
        .value_kind:     by_value
      - .offset:         64
        .size:           8
        .value_kind:     by_value
      - .offset:         72
        .size:           4
        .value_kind:     by_value
      - .actual_access:  write_only
        .address_space:  global
        .offset:         80
        .size:           8
        .value_kind:     global_buffer
      - .actual_access:  write_only
        .address_space:  global
        .offset:         88
        .size:           8
        .value_kind:     global_buffer
      - .offset:         96
        .size:           4
        .value_kind:     hidden_block_count_x
      - .offset:         100
        .size:           4
        .value_kind:     hidden_block_count_y
      - .offset:         104
        .size:           4
        .value_kind:     hidden_block_count_z
      - .offset:         108
        .size:           2
        .value_kind:     hidden_group_size_x
      - .offset:         110
        .size:           2
        .value_kind:     hidden_group_size_y
      - .offset:         112
        .size:           2
        .value_kind:     hidden_group_size_z
      - .offset:         114
        .size:           2
        .value_kind:     hidden_remainder_x
      - .offset:         116
        .size:           2
        .value_kind:     hidden_remainder_y
      - .offset:         118
        .size:           2
        .value_kind:     hidden_remainder_z
      - .offset:         136
        .size:           8
        .value_kind:     hidden_global_offset_x
      - .offset:         144
        .size:           8
        .value_kind:     hidden_global_offset_y
      - .offset:         152
        .size:           8
        .value_kind:     hidden_global_offset_z
      - .offset:         160
        .size:           2
        .value_kind:     hidden_grid_dims
    .group_segment_fixed_size: 256
    .kernarg_segment_align: 8
    .kernarg_segment_size: 352
    .language:       OpenCL C
    .language_version:
      - 2
      - 0
    .max_flat_workgroup_size: 512
    .name:           _ZL18rocblas_dot_kernelIlLb0ELi512ELi2ELb0E19rocblas_complex_numIfEPKPKS1_S1_EviT5_lT_lS6_lS7_liPT6_PT4_
    .private_segment_fixed_size: 0
    .sgpr_count:     24
    .sgpr_spill_count: 0
    .symbol:         _ZL18rocblas_dot_kernelIlLb0ELi512ELi2ELb0E19rocblas_complex_numIfEPKPKS1_S1_EviT5_lT_lS6_lS7_liPT6_PT4_.kd
    .uniform_work_group_size: 1
    .uses_dynamic_stack: false
    .vgpr_count:     12
    .vgpr_spill_count: 0
    .wavefront_size: 32
    .workgroup_processor_mode: 1
  - .args:
      - .offset:         0
        .size:           4
        .value_kind:     by_value
      - .actual_access:  read_only
        .address_space:  global
        .offset:         8
        .size:           8
        .value_kind:     global_buffer
      - .offset:         16
        .size:           8
        .value_kind:     by_value
      - .offset:         24
        .size:           8
        .value_kind:     by_value
      - .offset:         32
        .size:           8
        .value_kind:     by_value
      - .offset:         40
        .size:           4
        .value_kind:     by_value
      - .actual_access:  write_only
        .address_space:  global
        .offset:         48
        .size:           8
        .value_kind:     global_buffer
      - .actual_access:  write_only
        .address_space:  global
        .offset:         56
        .size:           8
        .value_kind:     global_buffer
      - .offset:         64
        .size:           4
        .value_kind:     hidden_block_count_x
      - .offset:         68
        .size:           4
        .value_kind:     hidden_block_count_y
      - .offset:         72
        .size:           4
        .value_kind:     hidden_block_count_z
      - .offset:         76
        .size:           2
        .value_kind:     hidden_group_size_x
      - .offset:         78
        .size:           2
        .value_kind:     hidden_group_size_y
      - .offset:         80
        .size:           2
        .value_kind:     hidden_group_size_z
      - .offset:         82
        .size:           2
        .value_kind:     hidden_remainder_x
      - .offset:         84
        .size:           2
        .value_kind:     hidden_remainder_y
      - .offset:         86
        .size:           2
        .value_kind:     hidden_remainder_z
      - .offset:         104
        .size:           8
        .value_kind:     hidden_global_offset_x
      - .offset:         112
        .size:           8
        .value_kind:     hidden_global_offset_y
      - .offset:         120
        .size:           8
        .value_kind:     hidden_global_offset_z
      - .offset:         128
        .size:           2
        .value_kind:     hidden_grid_dims
    .group_segment_fixed_size: 256
    .kernarg_segment_align: 8
    .kernarg_segment_size: 320
    .language:       OpenCL C
    .language_version:
      - 2
      - 0
    .max_flat_workgroup_size: 512
    .name:           _ZL24rocblas_dot_kernel_magsqIlLb0ELi512ELi2ELb0E19rocblas_complex_numIfEPKPKS1_S1_EviT5_lT_liPT6_PT4_
    .private_segment_fixed_size: 0
    .sgpr_count:     20
    .sgpr_spill_count: 0
    .symbol:         _ZL24rocblas_dot_kernel_magsqIlLb0ELi512ELi2ELb0E19rocblas_complex_numIfEPKPKS1_S1_EviT5_lT_liPT6_PT4_.kd
    .uniform_work_group_size: 1
    .uses_dynamic_stack: false
    .vgpr_count:     11
    .vgpr_spill_count: 0
    .wavefront_size: 32
    .workgroup_processor_mode: 1
  - .args:
      - .offset:         0
        .size:           4
        .value_kind:     by_value
      - .actual_access:  read_only
        .address_space:  global
        .offset:         8
        .size:           8
        .value_kind:     global_buffer
      - .offset:         16
        .size:           8
        .value_kind:     by_value
      - .offset:         24
        .size:           4
        .value_kind:     by_value
      - .offset:         32
        .size:           8
        .value_kind:     by_value
      - .actual_access:  read_only
        .address_space:  global
        .offset:         40
        .size:           8
        .value_kind:     global_buffer
      - .offset:         48
        .size:           8
        .value_kind:     by_value
      - .offset:         56
        .size:           4
        .value_kind:     by_value
      - .offset:         64
        .size:           8
        .value_kind:     by_value
      - .offset:         72
        .size:           4
        .value_kind:     by_value
      - .actual_access:  write_only
        .address_space:  global
        .offset:         80
        .size:           8
        .value_kind:     global_buffer
    .group_segment_fixed_size: 0
    .kernarg_segment_align: 8
    .kernarg_segment_size: 88
    .language:       OpenCL C
    .language_version:
      - 2
      - 0
    .max_flat_workgroup_size: 128
    .name:           _ZL28rocblas_dot_batched_4_kernelIiLi32ELi4ELb0E19rocblas_complex_numIdES1_PKPKS1_EviT5_lT_lS6_lS7_liPT4_
    .private_segment_fixed_size: 0
    .sgpr_count:     18
    .sgpr_spill_count: 0
    .symbol:         _ZL28rocblas_dot_batched_4_kernelIiLi32ELi4ELb0E19rocblas_complex_numIdES1_PKPKS1_EviT5_lT_lS6_lS7_liPT4_.kd
    .uniform_work_group_size: 1
    .uses_dynamic_stack: false
    .vgpr_count:     22
    .vgpr_spill_count: 0
    .wavefront_size: 32
    .workgroup_processor_mode: 1
  - .args:
      - .offset:         0
        .size:           4
        .value_kind:     by_value
      - .actual_access:  read_only
        .address_space:  global
        .offset:         8
        .size:           8
        .value_kind:     global_buffer
      - .offset:         16
        .size:           8
        .value_kind:     by_value
      - .offset:         24
        .size:           4
        .value_kind:     by_value
      - .offset:         32
        .size:           8
        .value_kind:     by_value
      - .actual_access:  read_only
        .address_space:  global
        .offset:         40
        .size:           8
        .value_kind:     global_buffer
      - .offset:         48
        .size:           8
        .value_kind:     by_value
      - .offset:         56
        .size:           4
        .value_kind:     by_value
      - .offset:         64
        .size:           8
        .value_kind:     by_value
      - .offset:         72
        .size:           4
        .value_kind:     by_value
      - .actual_access:  write_only
        .address_space:  global
        .offset:         80
        .size:           8
        .value_kind:     global_buffer
    .group_segment_fixed_size: 0
    .kernarg_segment_align: 8
    .kernarg_segment_size: 88
    .language:       OpenCL C
    .language_version:
      - 2
      - 0
    .max_flat_workgroup_size: 256
    .name:           _ZL28rocblas_dot_batched_4_kernelIiLi64ELi4ELb0E19rocblas_complex_numIdES1_PKPKS1_EviT5_lT_lS6_lS7_liPT4_
    .private_segment_fixed_size: 0
    .sgpr_count:     18
    .sgpr_spill_count: 0
    .symbol:         _ZL28rocblas_dot_batched_4_kernelIiLi64ELi4ELb0E19rocblas_complex_numIdES1_PKPKS1_EviT5_lT_lS6_lS7_liPT4_.kd
    .uniform_work_group_size: 1
    .uses_dynamic_stack: false
    .vgpr_count:     22
    .vgpr_spill_count: 0
    .wavefront_size: 32
    .workgroup_processor_mode: 1
  - .args:
      - .offset:         0
        .size:           4
        .value_kind:     by_value
      - .actual_access:  read_only
        .address_space:  global
        .offset:         8
        .size:           8
        .value_kind:     global_buffer
      - .offset:         16
        .size:           8
        .value_kind:     by_value
      - .offset:         24
        .size:           8
        .value_kind:     by_value
      - .actual_access:  read_only
        .address_space:  global
        .offset:         32
        .size:           8
        .value_kind:     global_buffer
      - .offset:         40
        .size:           8
        .value_kind:     by_value
      - .offset:         48
        .size:           8
        .value_kind:     by_value
      - .offset:         56
        .size:           4
        .value_kind:     by_value
      - .actual_access:  read_only
        .address_space:  global
        .offset:         64
        .size:           8
        .value_kind:     global_buffer
      - .actual_access:  write_only
        .address_space:  global
        .offset:         72
        .size:           8
        .value_kind:     global_buffer
    .group_segment_fixed_size: 512
    .kernarg_segment_align: 8
    .kernarg_segment_size: 80
    .language:       OpenCL C
    .language_version:
      - 2
      - 0
    .max_flat_workgroup_size: 1024
    .name:           _ZL26rocblas_dot_kernel_inc1by2ILb1ELi1024ELi32ELb0E19rocblas_complex_numIdEPKPKS1_S1_EviT4_llS6_lliPT5_PT3_
    .private_segment_fixed_size: 0
    .sgpr_count:     18
    .sgpr_spill_count: 0
    .symbol:         _ZL26rocblas_dot_kernel_inc1by2ILb1ELi1024ELi32ELb0E19rocblas_complex_numIdEPKPKS1_S1_EviT4_llS6_lliPT5_PT3_.kd
    .uniform_work_group_size: 1
    .uses_dynamic_stack: false
    .vgpr_count:     20
    .vgpr_spill_count: 0
    .wavefront_size: 32
    .workgroup_processor_mode: 1
  - .args:
      - .offset:         0
        .size:           4
        .value_kind:     by_value
      - .actual_access:  read_only
        .address_space:  global
        .offset:         8
        .size:           8
        .value_kind:     global_buffer
      - .offset:         16
        .size:           8
        .value_kind:     by_value
      - .offset:         24
        .size:           4
        .value_kind:     by_value
      - .offset:         32
        .size:           8
        .value_kind:     by_value
      - .actual_access:  read_only
        .address_space:  global
        .offset:         40
        .size:           8
        .value_kind:     global_buffer
      - .offset:         48
        .size:           8
        .value_kind:     by_value
      - .offset:         56
        .size:           4
        .value_kind:     by_value
      - .offset:         64
        .size:           8
        .value_kind:     by_value
      - .offset:         72
        .size:           4
        .value_kind:     by_value
      - .actual_access:  read_only
        .address_space:  global
        .offset:         80
        .size:           8
        .value_kind:     global_buffer
      - .actual_access:  write_only
        .address_space:  global
        .offset:         88
        .size:           8
        .value_kind:     global_buffer
      - .offset:         96
        .size:           4
        .value_kind:     hidden_block_count_x
      - .offset:         100
        .size:           4
        .value_kind:     hidden_block_count_y
      - .offset:         104
        .size:           4
        .value_kind:     hidden_block_count_z
      - .offset:         108
        .size:           2
        .value_kind:     hidden_group_size_x
      - .offset:         110
        .size:           2
        .value_kind:     hidden_group_size_y
      - .offset:         112
        .size:           2
        .value_kind:     hidden_group_size_z
      - .offset:         114
        .size:           2
        .value_kind:     hidden_remainder_x
      - .offset:         116
        .size:           2
        .value_kind:     hidden_remainder_y
      - .offset:         118
        .size:           2
        .value_kind:     hidden_remainder_z
      - .offset:         136
        .size:           8
        .value_kind:     hidden_global_offset_x
      - .offset:         144
        .size:           8
        .value_kind:     hidden_global_offset_y
      - .offset:         152
        .size:           8
        .value_kind:     hidden_global_offset_z
      - .offset:         160
        .size:           2
        .value_kind:     hidden_grid_dims
    .group_segment_fixed_size: 512
    .kernarg_segment_align: 8
    .kernarg_segment_size: 352
    .language:       OpenCL C
    .language_version:
      - 2
      - 0
    .max_flat_workgroup_size: 1024
    .name:           _ZL18rocblas_dot_kernelIiLb1ELi1024ELi32ELb0E19rocblas_complex_numIdEPKPKS1_S1_EviT5_lT_lS6_lS7_liPT6_PT4_
    .private_segment_fixed_size: 0
    .sgpr_count:     23
    .sgpr_spill_count: 0
    .symbol:         _ZL18rocblas_dot_kernelIiLb1ELi1024ELi32ELb0E19rocblas_complex_numIdEPKPKS1_S1_EviT5_lT_lS6_lS7_liPT6_PT4_.kd
    .uniform_work_group_size: 1
    .uses_dynamic_stack: false
    .vgpr_count:     20
    .vgpr_spill_count: 0
    .wavefront_size: 32
    .workgroup_processor_mode: 1
  - .args:
      - .offset:         0
        .size:           4
        .value_kind:     by_value
      - .actual_access:  read_only
        .address_space:  global
        .offset:         8
        .size:           8
        .value_kind:     global_buffer
      - .offset:         16
        .size:           8
        .value_kind:     by_value
      - .offset:         24
        .size:           4
        .value_kind:     by_value
      - .offset:         32
        .size:           8
        .value_kind:     by_value
      - .offset:         40
        .size:           4
        .value_kind:     by_value
      - .actual_access:  read_only
        .address_space:  global
        .offset:         48
        .size:           8
        .value_kind:     global_buffer
      - .actual_access:  write_only
        .address_space:  global
        .offset:         56
        .size:           8
        .value_kind:     global_buffer
      - .offset:         64
        .size:           4
        .value_kind:     hidden_block_count_x
      - .offset:         68
        .size:           4
        .value_kind:     hidden_block_count_y
      - .offset:         72
        .size:           4
        .value_kind:     hidden_block_count_z
      - .offset:         76
        .size:           2
        .value_kind:     hidden_group_size_x
      - .offset:         78
        .size:           2
        .value_kind:     hidden_group_size_y
      - .offset:         80
        .size:           2
        .value_kind:     hidden_group_size_z
      - .offset:         82
        .size:           2
        .value_kind:     hidden_remainder_x
      - .offset:         84
        .size:           2
        .value_kind:     hidden_remainder_y
      - .offset:         86
        .size:           2
        .value_kind:     hidden_remainder_z
      - .offset:         104
        .size:           8
        .value_kind:     hidden_global_offset_x
      - .offset:         112
        .size:           8
        .value_kind:     hidden_global_offset_y
      - .offset:         120
        .size:           8
        .value_kind:     hidden_global_offset_z
      - .offset:         128
        .size:           2
        .value_kind:     hidden_grid_dims
    .group_segment_fixed_size: 512
    .kernarg_segment_align: 8
    .kernarg_segment_size: 320
    .language:       OpenCL C
    .language_version:
      - 2
      - 0
    .max_flat_workgroup_size: 1024
    .name:           _ZL24rocblas_dot_kernel_magsqIiLb1ELi1024ELi32ELb0E19rocblas_complex_numIdEPKPKS1_S1_EviT5_lT_liPT6_PT4_
    .private_segment_fixed_size: 0
    .sgpr_count:     19
    .sgpr_spill_count: 0
    .symbol:         _ZL24rocblas_dot_kernel_magsqIiLb1ELi1024ELi32ELb0E19rocblas_complex_numIdEPKPKS1_S1_EviT5_lT_liPT6_PT4_.kd
    .uniform_work_group_size: 1
    .uses_dynamic_stack: false
    .vgpr_count:     16
    .vgpr_spill_count: 0
    .wavefront_size: 32
    .workgroup_processor_mode: 1
  - .args:
      - .offset:         0
        .size:           4
        .value_kind:     by_value
      - .actual_access:  read_only
        .address_space:  global
        .offset:         8
        .size:           8
        .value_kind:     global_buffer
      - .offset:         16
        .size:           8
        .value_kind:     by_value
      - .offset:         24
        .size:           4
        .value_kind:     by_value
      - .offset:         32
        .size:           8
        .value_kind:     by_value
      - .actual_access:  read_only
        .address_space:  global
        .offset:         40
        .size:           8
        .value_kind:     global_buffer
      - .offset:         48
        .size:           8
        .value_kind:     by_value
      - .offset:         56
        .size:           4
        .value_kind:     by_value
      - .offset:         64
        .size:           8
        .value_kind:     by_value
      - .actual_access:  read_only
        .address_space:  global
        .offset:         72
        .size:           8
        .value_kind:     global_buffer
      - .actual_access:  read_only
        .address_space:  global
        .offset:         80
        .size:           8
        .value_kind:     global_buffer
    .group_segment_fixed_size: 0
    .kernarg_segment_align: 8
    .kernarg_segment_size: 88
    .language:       OpenCL C
    .language_version:
      - 2
      - 0
    .max_flat_workgroup_size: 1024
    .name:           _ZL38rocblas_dot_kernel_gfx942_float_doubleIiLi1024E19rocblas_complex_numIdEPKPKS1_S1_EviT2_lT_lS6_lS7_lPT3_PT1_
    .private_segment_fixed_size: 0
    .sgpr_count:     0
    .sgpr_spill_count: 0
    .symbol:         _ZL38rocblas_dot_kernel_gfx942_float_doubleIiLi1024E19rocblas_complex_numIdEPKPKS1_S1_EviT2_lT_lS6_lS7_lPT3_PT1_.kd
    .uniform_work_group_size: 1
    .uses_dynamic_stack: false
    .vgpr_count:     0
    .vgpr_spill_count: 0
    .wavefront_size: 32
    .workgroup_processor_mode: 1
  - .args:
      - .offset:         0
        .size:           4
        .value_kind:     by_value
      - .actual_access:  read_only
        .address_space:  global
        .offset:         8
        .size:           8
        .value_kind:     global_buffer
      - .offset:         16
        .size:           8
        .value_kind:     by_value
      - .offset:         24
        .size:           8
        .value_kind:     by_value
      - .actual_access:  read_only
        .address_space:  global
        .offset:         32
        .size:           8
        .value_kind:     global_buffer
      - .offset:         40
        .size:           8
        .value_kind:     by_value
      - .offset:         48
        .size:           8
        .value_kind:     by_value
      - .offset:         56
        .size:           4
        .value_kind:     by_value
      - .actual_access:  write_only
        .address_space:  global
        .offset:         64
        .size:           8
        .value_kind:     global_buffer
      - .actual_access:  write_only
        .address_space:  global
        .offset:         72
        .size:           8
        .value_kind:     global_buffer
      - .offset:         80
        .size:           4
        .value_kind:     hidden_block_count_x
      - .offset:         84
        .size:           4
        .value_kind:     hidden_block_count_y
      - .offset:         88
        .size:           4
        .value_kind:     hidden_block_count_z
      - .offset:         92
        .size:           2
        .value_kind:     hidden_group_size_x
      - .offset:         94
        .size:           2
        .value_kind:     hidden_group_size_y
      - .offset:         96
        .size:           2
        .value_kind:     hidden_group_size_z
      - .offset:         98
        .size:           2
        .value_kind:     hidden_remainder_x
      - .offset:         100
        .size:           2
        .value_kind:     hidden_remainder_y
      - .offset:         102
        .size:           2
        .value_kind:     hidden_remainder_z
      - .offset:         120
        .size:           8
        .value_kind:     hidden_global_offset_x
      - .offset:         128
        .size:           8
        .value_kind:     hidden_global_offset_y
      - .offset:         136
        .size:           8
        .value_kind:     hidden_global_offset_z
      - .offset:         144
        .size:           2
        .value_kind:     hidden_grid_dims
    .group_segment_fixed_size: 512
    .kernarg_segment_align: 8
    .kernarg_segment_size: 336
    .language:       OpenCL C
    .language_version:
      - 2
      - 0
    .max_flat_workgroup_size: 512
    .name:           _ZL23rocblas_dot_kernel_inc1ILb0ELi512ELi2ELb0E19rocblas_complex_numIdEPKPKS1_S1_EviT4_llS6_lliPT5_PT3_
    .private_segment_fixed_size: 0
    .sgpr_count:     22
    .sgpr_spill_count: 0
    .symbol:         _ZL23rocblas_dot_kernel_inc1ILb0ELi512ELi2ELb0E19rocblas_complex_numIdEPKPKS1_S1_EviT4_llS6_lliPT5_PT3_.kd
    .uniform_work_group_size: 1
    .uses_dynamic_stack: false
    .vgpr_count:     15
    .vgpr_spill_count: 0
    .wavefront_size: 32
    .workgroup_processor_mode: 1
  - .args:
      - .offset:         0
        .size:           4
        .value_kind:     by_value
      - .actual_access:  read_only
        .address_space:  global
        .offset:         8
        .size:           8
        .value_kind:     global_buffer
      - .offset:         16
        .size:           8
        .value_kind:     by_value
      - .offset:         24
        .size:           4
        .value_kind:     by_value
      - .offset:         32
        .size:           8
        .value_kind:     by_value
      - .actual_access:  read_only
        .address_space:  global
        .offset:         40
        .size:           8
        .value_kind:     global_buffer
      - .offset:         48
        .size:           8
        .value_kind:     by_value
      - .offset:         56
        .size:           4
        .value_kind:     by_value
      - .offset:         64
        .size:           8
        .value_kind:     by_value
      - .offset:         72
        .size:           4
        .value_kind:     by_value
      - .actual_access:  write_only
        .address_space:  global
        .offset:         80
        .size:           8
        .value_kind:     global_buffer
      - .actual_access:  write_only
        .address_space:  global
        .offset:         88
        .size:           8
        .value_kind:     global_buffer
      - .offset:         96
        .size:           4
        .value_kind:     hidden_block_count_x
      - .offset:         100
        .size:           4
        .value_kind:     hidden_block_count_y
      - .offset:         104
        .size:           4
        .value_kind:     hidden_block_count_z
      - .offset:         108
        .size:           2
        .value_kind:     hidden_group_size_x
      - .offset:         110
        .size:           2
        .value_kind:     hidden_group_size_y
      - .offset:         112
        .size:           2
        .value_kind:     hidden_group_size_z
      - .offset:         114
        .size:           2
        .value_kind:     hidden_remainder_x
      - .offset:         116
        .size:           2
        .value_kind:     hidden_remainder_y
      - .offset:         118
        .size:           2
        .value_kind:     hidden_remainder_z
      - .offset:         136
        .size:           8
        .value_kind:     hidden_global_offset_x
      - .offset:         144
        .size:           8
        .value_kind:     hidden_global_offset_y
      - .offset:         152
        .size:           8
        .value_kind:     hidden_global_offset_z
      - .offset:         160
        .size:           2
        .value_kind:     hidden_grid_dims
    .group_segment_fixed_size: 512
    .kernarg_segment_align: 8
    .kernarg_segment_size: 352
    .language:       OpenCL C
    .language_version:
      - 2
      - 0
    .max_flat_workgroup_size: 512
    .name:           _ZL18rocblas_dot_kernelIiLb0ELi512ELi2ELb0E19rocblas_complex_numIdEPKPKS1_S1_EviT5_lT_lS6_lS7_liPT6_PT4_
    .private_segment_fixed_size: 0
    .sgpr_count:     26
    .sgpr_spill_count: 0
    .symbol:         _ZL18rocblas_dot_kernelIiLb0ELi512ELi2ELb0E19rocblas_complex_numIdEPKPKS1_S1_EviT5_lT_lS6_lS7_liPT6_PT4_.kd
    .uniform_work_group_size: 1
    .uses_dynamic_stack: false
    .vgpr_count:     15
    .vgpr_spill_count: 0
    .wavefront_size: 32
    .workgroup_processor_mode: 1
  - .args:
      - .offset:         0
        .size:           4
        .value_kind:     by_value
      - .actual_access:  read_only
        .address_space:  global
        .offset:         8
        .size:           8
        .value_kind:     global_buffer
      - .offset:         16
        .size:           8
        .value_kind:     by_value
      - .offset:         24
        .size:           4
        .value_kind:     by_value
      - .offset:         32
        .size:           8
        .value_kind:     by_value
      - .offset:         40
        .size:           4
        .value_kind:     by_value
      - .actual_access:  write_only
        .address_space:  global
        .offset:         48
        .size:           8
        .value_kind:     global_buffer
      - .actual_access:  write_only
        .address_space:  global
        .offset:         56
        .size:           8
        .value_kind:     global_buffer
      - .offset:         64
        .size:           4
        .value_kind:     hidden_block_count_x
      - .offset:         68
        .size:           4
        .value_kind:     hidden_block_count_y
      - .offset:         72
        .size:           4
        .value_kind:     hidden_block_count_z
      - .offset:         76
        .size:           2
        .value_kind:     hidden_group_size_x
      - .offset:         78
        .size:           2
        .value_kind:     hidden_group_size_y
      - .offset:         80
        .size:           2
        .value_kind:     hidden_group_size_z
      - .offset:         82
        .size:           2
        .value_kind:     hidden_remainder_x
      - .offset:         84
        .size:           2
        .value_kind:     hidden_remainder_y
      - .offset:         86
        .size:           2
        .value_kind:     hidden_remainder_z
      - .offset:         104
        .size:           8
        .value_kind:     hidden_global_offset_x
      - .offset:         112
        .size:           8
        .value_kind:     hidden_global_offset_y
      - .offset:         120
        .size:           8
        .value_kind:     hidden_global_offset_z
      - .offset:         128
        .size:           2
        .value_kind:     hidden_grid_dims
    .group_segment_fixed_size: 512
    .kernarg_segment_align: 8
    .kernarg_segment_size: 320
    .language:       OpenCL C
    .language_version:
      - 2
      - 0
    .max_flat_workgroup_size: 512
    .name:           _ZL24rocblas_dot_kernel_magsqIiLb0ELi512ELi2ELb0E19rocblas_complex_numIdEPKPKS1_S1_EviT5_lT_liPT6_PT4_
    .private_segment_fixed_size: 0
    .sgpr_count:     18
    .sgpr_spill_count: 0
    .symbol:         _ZL24rocblas_dot_kernel_magsqIiLb0ELi512ELi2ELb0E19rocblas_complex_numIdEPKPKS1_S1_EviT5_lT_liPT6_PT4_.kd
    .uniform_work_group_size: 1
    .uses_dynamic_stack: false
    .vgpr_count:     15
    .vgpr_spill_count: 0
    .wavefront_size: 32
    .workgroup_processor_mode: 1
  - .args:
      - .offset:         0
        .size:           4
        .value_kind:     by_value
      - .actual_access:  read_only
        .address_space:  global
        .offset:         8
        .size:           8
        .value_kind:     global_buffer
      - .offset:         16
        .size:           8
        .value_kind:     by_value
      - .offset:         24
        .size:           8
        .value_kind:     by_value
      - .offset:         32
        .size:           8
        .value_kind:     by_value
      - .actual_access:  read_only
        .address_space:  global
        .offset:         40
        .size:           8
        .value_kind:     global_buffer
      - .offset:         48
        .size:           8
        .value_kind:     by_value
      - .offset:         56
        .size:           8
        .value_kind:     by_value
      - .offset:         64
        .size:           8
        .value_kind:     by_value
      - .offset:         72
        .size:           4
        .value_kind:     by_value
      - .actual_access:  write_only
        .address_space:  global
        .offset:         80
        .size:           8
        .value_kind:     global_buffer
    .group_segment_fixed_size: 0
    .kernarg_segment_align: 8
    .kernarg_segment_size: 88
    .language:       OpenCL C
    .language_version:
      - 2
      - 0
    .max_flat_workgroup_size: 128
    .name:           _ZL28rocblas_dot_batched_4_kernelIlLi32ELi4ELb0E19rocblas_complex_numIdES1_PKPKS1_EviT5_lT_lS6_lS7_liPT4_
    .private_segment_fixed_size: 0
    .sgpr_count:     18
    .sgpr_spill_count: 0
    .symbol:         _ZL28rocblas_dot_batched_4_kernelIlLi32ELi4ELb0E19rocblas_complex_numIdES1_PKPKS1_EviT5_lT_lS6_lS7_liPT4_.kd
    .uniform_work_group_size: 1
    .uses_dynamic_stack: false
    .vgpr_count:     22
    .vgpr_spill_count: 0
    .wavefront_size: 32
    .workgroup_processor_mode: 1
  - .args:
      - .offset:         0
        .size:           4
        .value_kind:     by_value
      - .actual_access:  read_only
        .address_space:  global
        .offset:         8
        .size:           8
        .value_kind:     global_buffer
      - .offset:         16
        .size:           8
        .value_kind:     by_value
      - .offset:         24
        .size:           8
        .value_kind:     by_value
      - .offset:         32
        .size:           8
        .value_kind:     by_value
      - .actual_access:  read_only
        .address_space:  global
        .offset:         40
        .size:           8
        .value_kind:     global_buffer
      - .offset:         48
        .size:           8
        .value_kind:     by_value
      - .offset:         56
        .size:           8
        .value_kind:     by_value
      - .offset:         64
        .size:           8
        .value_kind:     by_value
      - .offset:         72
        .size:           4
        .value_kind:     by_value
      - .actual_access:  write_only
        .address_space:  global
        .offset:         80
        .size:           8
        .value_kind:     global_buffer
    .group_segment_fixed_size: 0
    .kernarg_segment_align: 8
    .kernarg_segment_size: 88
    .language:       OpenCL C
    .language_version:
      - 2
      - 0
    .max_flat_workgroup_size: 256
    .name:           _ZL28rocblas_dot_batched_4_kernelIlLi64ELi4ELb0E19rocblas_complex_numIdES1_PKPKS1_EviT5_lT_lS6_lS7_liPT4_
    .private_segment_fixed_size: 0
    .sgpr_count:     18
    .sgpr_spill_count: 0
    .symbol:         _ZL28rocblas_dot_batched_4_kernelIlLi64ELi4ELb0E19rocblas_complex_numIdES1_PKPKS1_EviT5_lT_lS6_lS7_liPT4_.kd
    .uniform_work_group_size: 1
    .uses_dynamic_stack: false
    .vgpr_count:     22
    .vgpr_spill_count: 0
    .wavefront_size: 32
    .workgroup_processor_mode: 1
  - .args:
      - .offset:         0
        .size:           4
        .value_kind:     by_value
      - .actual_access:  read_only
        .address_space:  global
        .offset:         8
        .size:           8
        .value_kind:     global_buffer
      - .offset:         16
        .size:           8
        .value_kind:     by_value
      - .offset:         24
        .size:           8
        .value_kind:     by_value
      - .offset:         32
        .size:           8
        .value_kind:     by_value
      - .actual_access:  read_only
        .address_space:  global
        .offset:         40
        .size:           8
        .value_kind:     global_buffer
      - .offset:         48
        .size:           8
        .value_kind:     by_value
      - .offset:         56
        .size:           8
        .value_kind:     by_value
      - .offset:         64
        .size:           8
        .value_kind:     by_value
      - .offset:         72
        .size:           4
        .value_kind:     by_value
      - .actual_access:  read_only
        .address_space:  global
        .offset:         80
        .size:           8
        .value_kind:     global_buffer
      - .actual_access:  write_only
        .address_space:  global
        .offset:         88
        .size:           8
        .value_kind:     global_buffer
      - .offset:         96
        .size:           4
        .value_kind:     hidden_block_count_x
      - .offset:         100
        .size:           4
        .value_kind:     hidden_block_count_y
      - .offset:         104
        .size:           4
        .value_kind:     hidden_block_count_z
      - .offset:         108
        .size:           2
        .value_kind:     hidden_group_size_x
      - .offset:         110
        .size:           2
        .value_kind:     hidden_group_size_y
      - .offset:         112
        .size:           2
        .value_kind:     hidden_group_size_z
      - .offset:         114
        .size:           2
        .value_kind:     hidden_remainder_x
      - .offset:         116
        .size:           2
        .value_kind:     hidden_remainder_y
      - .offset:         118
        .size:           2
        .value_kind:     hidden_remainder_z
      - .offset:         136
        .size:           8
        .value_kind:     hidden_global_offset_x
      - .offset:         144
        .size:           8
        .value_kind:     hidden_global_offset_y
      - .offset:         152
        .size:           8
        .value_kind:     hidden_global_offset_z
      - .offset:         160
        .size:           2
        .value_kind:     hidden_grid_dims
    .group_segment_fixed_size: 512
    .kernarg_segment_align: 8
    .kernarg_segment_size: 352
    .language:       OpenCL C
    .language_version:
      - 2
      - 0
    .max_flat_workgroup_size: 1024
    .name:           _ZL18rocblas_dot_kernelIlLb1ELi1024ELi32ELb0E19rocblas_complex_numIdEPKPKS1_S1_EviT5_lT_lS6_lS7_liPT6_PT4_
    .private_segment_fixed_size: 0
    .sgpr_count:     25
    .sgpr_spill_count: 0
    .symbol:         _ZL18rocblas_dot_kernelIlLb1ELi1024ELi32ELb0E19rocblas_complex_numIdEPKPKS1_S1_EviT5_lT_lS6_lS7_liPT6_PT4_.kd
    .uniform_work_group_size: 1
    .uses_dynamic_stack: false
    .vgpr_count:     20
    .vgpr_spill_count: 0
    .wavefront_size: 32
    .workgroup_processor_mode: 1
  - .args:
      - .offset:         0
        .size:           4
        .value_kind:     by_value
      - .actual_access:  read_only
        .address_space:  global
        .offset:         8
        .size:           8
        .value_kind:     global_buffer
      - .offset:         16
        .size:           8
        .value_kind:     by_value
      - .offset:         24
        .size:           8
        .value_kind:     by_value
      - .offset:         32
        .size:           8
        .value_kind:     by_value
      - .offset:         40
        .size:           4
        .value_kind:     by_value
      - .actual_access:  read_only
        .address_space:  global
        .offset:         48
        .size:           8
        .value_kind:     global_buffer
      - .actual_access:  write_only
        .address_space:  global
        .offset:         56
        .size:           8
        .value_kind:     global_buffer
      - .offset:         64
        .size:           4
        .value_kind:     hidden_block_count_x
      - .offset:         68
        .size:           4
        .value_kind:     hidden_block_count_y
      - .offset:         72
        .size:           4
        .value_kind:     hidden_block_count_z
      - .offset:         76
        .size:           2
        .value_kind:     hidden_group_size_x
      - .offset:         78
        .size:           2
        .value_kind:     hidden_group_size_y
      - .offset:         80
        .size:           2
        .value_kind:     hidden_group_size_z
      - .offset:         82
        .size:           2
        .value_kind:     hidden_remainder_x
      - .offset:         84
        .size:           2
        .value_kind:     hidden_remainder_y
      - .offset:         86
        .size:           2
        .value_kind:     hidden_remainder_z
      - .offset:         104
        .size:           8
        .value_kind:     hidden_global_offset_x
      - .offset:         112
        .size:           8
        .value_kind:     hidden_global_offset_y
      - .offset:         120
        .size:           8
        .value_kind:     hidden_global_offset_z
      - .offset:         128
        .size:           2
        .value_kind:     hidden_grid_dims
    .group_segment_fixed_size: 512
    .kernarg_segment_align: 8
    .kernarg_segment_size: 320
    .language:       OpenCL C
    .language_version:
      - 2
      - 0
    .max_flat_workgroup_size: 1024
    .name:           _ZL24rocblas_dot_kernel_magsqIlLb1ELi1024ELi32ELb0E19rocblas_complex_numIdEPKPKS1_S1_EviT5_lT_liPT6_PT4_
    .private_segment_fixed_size: 0
    .sgpr_count:     19
    .sgpr_spill_count: 0
    .symbol:         _ZL24rocblas_dot_kernel_magsqIlLb1ELi1024ELi32ELb0E19rocblas_complex_numIdEPKPKS1_S1_EviT5_lT_liPT6_PT4_.kd
    .uniform_work_group_size: 1
    .uses_dynamic_stack: false
    .vgpr_count:     16
    .vgpr_spill_count: 0
    .wavefront_size: 32
    .workgroup_processor_mode: 1
  - .args:
      - .offset:         0
        .size:           4
        .value_kind:     by_value
      - .actual_access:  read_only
        .address_space:  global
        .offset:         8
        .size:           8
        .value_kind:     global_buffer
      - .offset:         16
        .size:           8
        .value_kind:     by_value
      - .offset:         24
        .size:           8
        .value_kind:     by_value
      - .offset:         32
        .size:           8
        .value_kind:     by_value
      - .actual_access:  read_only
        .address_space:  global
        .offset:         40
        .size:           8
        .value_kind:     global_buffer
      - .offset:         48
        .size:           8
        .value_kind:     by_value
      - .offset:         56
        .size:           8
        .value_kind:     by_value
      - .offset:         64
        .size:           8
        .value_kind:     by_value
      - .actual_access:  read_only
        .address_space:  global
        .offset:         72
        .size:           8
        .value_kind:     global_buffer
      - .actual_access:  read_only
        .address_space:  global
        .offset:         80
        .size:           8
        .value_kind:     global_buffer
    .group_segment_fixed_size: 0
    .kernarg_segment_align: 8
    .kernarg_segment_size: 88
    .language:       OpenCL C
    .language_version:
      - 2
      - 0
    .max_flat_workgroup_size: 1024
    .name:           _ZL38rocblas_dot_kernel_gfx942_float_doubleIlLi1024E19rocblas_complex_numIdEPKPKS1_S1_EviT2_lT_lS6_lS7_lPT3_PT1_
    .private_segment_fixed_size: 0
    .sgpr_count:     0
    .sgpr_spill_count: 0
    .symbol:         _ZL38rocblas_dot_kernel_gfx942_float_doubleIlLi1024E19rocblas_complex_numIdEPKPKS1_S1_EviT2_lT_lS6_lS7_lPT3_PT1_.kd
    .uniform_work_group_size: 1
    .uses_dynamic_stack: false
    .vgpr_count:     0
    .vgpr_spill_count: 0
    .wavefront_size: 32
    .workgroup_processor_mode: 1
  - .args:
      - .offset:         0
        .size:           4
        .value_kind:     by_value
      - .actual_access:  read_only
        .address_space:  global
        .offset:         8
        .size:           8
        .value_kind:     global_buffer
      - .offset:         16
        .size:           8
        .value_kind:     by_value
      - .offset:         24
        .size:           8
        .value_kind:     by_value
      - .offset:         32
        .size:           8
        .value_kind:     by_value
      - .actual_access:  read_only
        .address_space:  global
        .offset:         40
        .size:           8
        .value_kind:     global_buffer
      - .offset:         48
        .size:           8
        .value_kind:     by_value
      - .offset:         56
        .size:           8
        .value_kind:     by_value
      - .offset:         64
        .size:           8
        .value_kind:     by_value
      - .offset:         72
        .size:           4
        .value_kind:     by_value
      - .actual_access:  write_only
        .address_space:  global
        .offset:         80
        .size:           8
        .value_kind:     global_buffer
      - .actual_access:  write_only
        .address_space:  global
        .offset:         88
        .size:           8
        .value_kind:     global_buffer
      - .offset:         96
        .size:           4
        .value_kind:     hidden_block_count_x
      - .offset:         100
        .size:           4
        .value_kind:     hidden_block_count_y
      - .offset:         104
        .size:           4
        .value_kind:     hidden_block_count_z
      - .offset:         108
        .size:           2
        .value_kind:     hidden_group_size_x
      - .offset:         110
        .size:           2
        .value_kind:     hidden_group_size_y
      - .offset:         112
        .size:           2
        .value_kind:     hidden_group_size_z
      - .offset:         114
        .size:           2
        .value_kind:     hidden_remainder_x
      - .offset:         116
        .size:           2
        .value_kind:     hidden_remainder_y
      - .offset:         118
        .size:           2
        .value_kind:     hidden_remainder_z
      - .offset:         136
        .size:           8
        .value_kind:     hidden_global_offset_x
      - .offset:         144
        .size:           8
        .value_kind:     hidden_global_offset_y
      - .offset:         152
        .size:           8
        .value_kind:     hidden_global_offset_z
      - .offset:         160
        .size:           2
        .value_kind:     hidden_grid_dims
    .group_segment_fixed_size: 512
    .kernarg_segment_align: 8
    .kernarg_segment_size: 352
    .language:       OpenCL C
    .language_version:
      - 2
      - 0
    .max_flat_workgroup_size: 512
    .name:           _ZL18rocblas_dot_kernelIlLb0ELi512ELi2ELb0E19rocblas_complex_numIdEPKPKS1_S1_EviT5_lT_lS6_lS7_liPT6_PT4_
    .private_segment_fixed_size: 0
    .sgpr_count:     24
    .sgpr_spill_count: 0
    .symbol:         _ZL18rocblas_dot_kernelIlLb0ELi512ELi2ELb0E19rocblas_complex_numIdEPKPKS1_S1_EviT5_lT_lS6_lS7_liPT6_PT4_.kd
    .uniform_work_group_size: 1
    .uses_dynamic_stack: false
    .vgpr_count:     15
    .vgpr_spill_count: 0
    .wavefront_size: 32
    .workgroup_processor_mode: 1
  - .args:
      - .offset:         0
        .size:           4
        .value_kind:     by_value
      - .actual_access:  read_only
        .address_space:  global
        .offset:         8
        .size:           8
        .value_kind:     global_buffer
      - .offset:         16
        .size:           8
        .value_kind:     by_value
      - .offset:         24
        .size:           8
        .value_kind:     by_value
      - .offset:         32
        .size:           8
        .value_kind:     by_value
      - .offset:         40
        .size:           4
        .value_kind:     by_value
      - .actual_access:  write_only
        .address_space:  global
        .offset:         48
        .size:           8
        .value_kind:     global_buffer
      - .actual_access:  write_only
        .address_space:  global
        .offset:         56
        .size:           8
        .value_kind:     global_buffer
      - .offset:         64
        .size:           4
        .value_kind:     hidden_block_count_x
      - .offset:         68
        .size:           4
        .value_kind:     hidden_block_count_y
      - .offset:         72
        .size:           4
        .value_kind:     hidden_block_count_z
      - .offset:         76
        .size:           2
        .value_kind:     hidden_group_size_x
      - .offset:         78
        .size:           2
        .value_kind:     hidden_group_size_y
      - .offset:         80
        .size:           2
        .value_kind:     hidden_group_size_z
      - .offset:         82
        .size:           2
        .value_kind:     hidden_remainder_x
      - .offset:         84
        .size:           2
        .value_kind:     hidden_remainder_y
      - .offset:         86
        .size:           2
        .value_kind:     hidden_remainder_z
      - .offset:         104
        .size:           8
        .value_kind:     hidden_global_offset_x
      - .offset:         112
        .size:           8
        .value_kind:     hidden_global_offset_y
      - .offset:         120
        .size:           8
        .value_kind:     hidden_global_offset_z
      - .offset:         128
        .size:           2
        .value_kind:     hidden_grid_dims
    .group_segment_fixed_size: 512
    .kernarg_segment_align: 8
    .kernarg_segment_size: 320
    .language:       OpenCL C
    .language_version:
      - 2
      - 0
    .max_flat_workgroup_size: 512
    .name:           _ZL24rocblas_dot_kernel_magsqIlLb0ELi512ELi2ELb0E19rocblas_complex_numIdEPKPKS1_S1_EviT5_lT_liPT6_PT4_
    .private_segment_fixed_size: 0
    .sgpr_count:     20
    .sgpr_spill_count: 0
    .symbol:         _ZL24rocblas_dot_kernel_magsqIlLb0ELi512ELi2ELb0E19rocblas_complex_numIdEPKPKS1_S1_EviT5_lT_liPT6_PT4_.kd
    .uniform_work_group_size: 1
    .uses_dynamic_stack: false
    .vgpr_count:     15
    .vgpr_spill_count: 0
    .wavefront_size: 32
    .workgroup_processor_mode: 1
  - .args:
      - .offset:         0
        .size:           4
        .value_kind:     by_value
      - .actual_access:  read_only
        .address_space:  global
        .offset:         8
        .size:           8
        .value_kind:     global_buffer
      - .offset:         16
        .size:           8
        .value_kind:     by_value
      - .offset:         24
        .size:           4
        .value_kind:     by_value
      - .offset:         32
        .size:           8
        .value_kind:     by_value
      - .actual_access:  read_only
        .address_space:  global
        .offset:         40
        .size:           8
        .value_kind:     global_buffer
      - .offset:         48
        .size:           8
        .value_kind:     by_value
      - .offset:         56
        .size:           4
        .value_kind:     by_value
      - .offset:         64
        .size:           8
        .value_kind:     by_value
      - .offset:         72
        .size:           4
        .value_kind:     by_value
      - .actual_access:  write_only
        .address_space:  global
        .offset:         80
        .size:           8
        .value_kind:     global_buffer
    .group_segment_fixed_size: 0
    .kernarg_segment_align: 8
    .kernarg_segment_size: 88
    .language:       OpenCL C
    .language_version:
      - 2
      - 0
    .max_flat_workgroup_size: 128
    .name:           _ZL28rocblas_dot_batched_4_kernelIiLi32ELi4ELb1E19rocblas_complex_numIfES1_PKPKS1_EviT5_lT_lS6_lS7_liPT4_
    .private_segment_fixed_size: 0
    .sgpr_count:     18
    .sgpr_spill_count: 0
    .symbol:         _ZL28rocblas_dot_batched_4_kernelIiLi32ELi4ELb1E19rocblas_complex_numIfES1_PKPKS1_EviT5_lT_lS6_lS7_liPT4_.kd
    .uniform_work_group_size: 1
    .uses_dynamic_stack: false
    .vgpr_count:     15
    .vgpr_spill_count: 0
    .wavefront_size: 32
    .workgroup_processor_mode: 1
  - .args:
      - .offset:         0
        .size:           4
        .value_kind:     by_value
      - .actual_access:  read_only
        .address_space:  global
        .offset:         8
        .size:           8
        .value_kind:     global_buffer
      - .offset:         16
        .size:           8
        .value_kind:     by_value
      - .offset:         24
        .size:           4
        .value_kind:     by_value
      - .offset:         32
        .size:           8
        .value_kind:     by_value
      - .actual_access:  read_only
        .address_space:  global
        .offset:         40
        .size:           8
        .value_kind:     global_buffer
      - .offset:         48
        .size:           8
        .value_kind:     by_value
      - .offset:         56
        .size:           4
        .value_kind:     by_value
      - .offset:         64
        .size:           8
        .value_kind:     by_value
      - .offset:         72
        .size:           4
        .value_kind:     by_value
      - .actual_access:  write_only
        .address_space:  global
        .offset:         80
        .size:           8
        .value_kind:     global_buffer
    .group_segment_fixed_size: 0
    .kernarg_segment_align: 8
    .kernarg_segment_size: 88
    .language:       OpenCL C
    .language_version:
      - 2
      - 0
    .max_flat_workgroup_size: 256
    .name:           _ZL28rocblas_dot_batched_4_kernelIiLi64ELi4ELb1E19rocblas_complex_numIfES1_PKPKS1_EviT5_lT_lS6_lS7_liPT4_
    .private_segment_fixed_size: 0
    .sgpr_count:     18
    .sgpr_spill_count: 0
    .symbol:         _ZL28rocblas_dot_batched_4_kernelIiLi64ELi4ELb1E19rocblas_complex_numIfES1_PKPKS1_EviT5_lT_lS6_lS7_liPT4_.kd
    .uniform_work_group_size: 1
    .uses_dynamic_stack: false
    .vgpr_count:     15
    .vgpr_spill_count: 0
    .wavefront_size: 32
    .workgroup_processor_mode: 1
  - .args:
      - .offset:         0
        .size:           4
        .value_kind:     by_value
      - .actual_access:  read_only
        .address_space:  global
        .offset:         8
        .size:           8
        .value_kind:     global_buffer
      - .offset:         16
        .size:           8
        .value_kind:     by_value
      - .offset:         24
        .size:           8
        .value_kind:     by_value
      - .actual_access:  read_only
        .address_space:  global
        .offset:         32
        .size:           8
        .value_kind:     global_buffer
      - .offset:         40
        .size:           8
        .value_kind:     by_value
      - .offset:         48
        .size:           8
        .value_kind:     by_value
      - .offset:         56
        .size:           4
        .value_kind:     by_value
      - .actual_access:  read_only
        .address_space:  global
        .offset:         64
        .size:           8
        .value_kind:     global_buffer
      - .actual_access:  write_only
        .address_space:  global
        .offset:         72
        .size:           8
        .value_kind:     global_buffer
    .group_segment_fixed_size: 256
    .kernarg_segment_align: 8
    .kernarg_segment_size: 80
    .language:       OpenCL C
    .language_version:
      - 2
      - 0
    .max_flat_workgroup_size: 1024
    .name:           _ZL26rocblas_dot_kernel_inc1by2ILb1ELi1024ELi32ELb1E19rocblas_complex_numIfEPKPKS1_S1_EviT4_llS6_lliPT5_PT3_
    .private_segment_fixed_size: 0
    .sgpr_count:     18
    .sgpr_spill_count: 0
    .symbol:         _ZL26rocblas_dot_kernel_inc1by2ILb1ELi1024ELi32ELb1E19rocblas_complex_numIfEPKPKS1_S1_EviT4_llS6_lliPT5_PT3_.kd
    .uniform_work_group_size: 1
    .uses_dynamic_stack: false
    .vgpr_count:     13
    .vgpr_spill_count: 0
    .wavefront_size: 32
    .workgroup_processor_mode: 1
  - .args:
      - .offset:         0
        .size:           4
        .value_kind:     by_value
      - .actual_access:  read_only
        .address_space:  global
        .offset:         8
        .size:           8
        .value_kind:     global_buffer
      - .offset:         16
        .size:           8
        .value_kind:     by_value
      - .offset:         24
        .size:           4
        .value_kind:     by_value
      - .offset:         32
        .size:           8
        .value_kind:     by_value
      - .actual_access:  read_only
        .address_space:  global
        .offset:         40
        .size:           8
        .value_kind:     global_buffer
      - .offset:         48
        .size:           8
        .value_kind:     by_value
      - .offset:         56
        .size:           4
        .value_kind:     by_value
      - .offset:         64
        .size:           8
        .value_kind:     by_value
      - .offset:         72
        .size:           4
        .value_kind:     by_value
      - .actual_access:  read_only
        .address_space:  global
        .offset:         80
        .size:           8
        .value_kind:     global_buffer
      - .actual_access:  write_only
        .address_space:  global
        .offset:         88
        .size:           8
        .value_kind:     global_buffer
      - .offset:         96
        .size:           4
        .value_kind:     hidden_block_count_x
      - .offset:         100
        .size:           4
        .value_kind:     hidden_block_count_y
      - .offset:         104
        .size:           4
        .value_kind:     hidden_block_count_z
      - .offset:         108
        .size:           2
        .value_kind:     hidden_group_size_x
      - .offset:         110
        .size:           2
        .value_kind:     hidden_group_size_y
      - .offset:         112
        .size:           2
        .value_kind:     hidden_group_size_z
      - .offset:         114
        .size:           2
        .value_kind:     hidden_remainder_x
      - .offset:         116
        .size:           2
        .value_kind:     hidden_remainder_y
      - .offset:         118
        .size:           2
        .value_kind:     hidden_remainder_z
      - .offset:         136
        .size:           8
        .value_kind:     hidden_global_offset_x
      - .offset:         144
        .size:           8
        .value_kind:     hidden_global_offset_y
      - .offset:         152
        .size:           8
        .value_kind:     hidden_global_offset_z
      - .offset:         160
        .size:           2
        .value_kind:     hidden_grid_dims
    .group_segment_fixed_size: 256
    .kernarg_segment_align: 8
    .kernarg_segment_size: 352
    .language:       OpenCL C
    .language_version:
      - 2
      - 0
    .max_flat_workgroup_size: 1024
    .name:           _ZL18rocblas_dot_kernelIiLb1ELi1024ELi32ELb1E19rocblas_complex_numIfEPKPKS1_S1_EviT5_lT_lS6_lS7_liPT6_PT4_
    .private_segment_fixed_size: 0
    .sgpr_count:     23
    .sgpr_spill_count: 0
    .symbol:         _ZL18rocblas_dot_kernelIiLb1ELi1024ELi32ELb1E19rocblas_complex_numIfEPKPKS1_S1_EviT5_lT_lS6_lS7_liPT6_PT4_.kd
    .uniform_work_group_size: 1
    .uses_dynamic_stack: false
    .vgpr_count:     13
    .vgpr_spill_count: 0
    .wavefront_size: 32
    .workgroup_processor_mode: 1
  - .args:
      - .offset:         0
        .size:           4
        .value_kind:     by_value
      - .actual_access:  read_only
        .address_space:  global
        .offset:         8
        .size:           8
        .value_kind:     global_buffer
      - .offset:         16
        .size:           8
        .value_kind:     by_value
      - .offset:         24
        .size:           4
        .value_kind:     by_value
      - .offset:         32
        .size:           8
        .value_kind:     by_value
      - .offset:         40
        .size:           4
        .value_kind:     by_value
      - .actual_access:  read_only
        .address_space:  global
        .offset:         48
        .size:           8
        .value_kind:     global_buffer
      - .actual_access:  write_only
        .address_space:  global
        .offset:         56
        .size:           8
        .value_kind:     global_buffer
      - .offset:         64
        .size:           4
        .value_kind:     hidden_block_count_x
      - .offset:         68
        .size:           4
        .value_kind:     hidden_block_count_y
      - .offset:         72
        .size:           4
        .value_kind:     hidden_block_count_z
      - .offset:         76
        .size:           2
        .value_kind:     hidden_group_size_x
      - .offset:         78
        .size:           2
        .value_kind:     hidden_group_size_y
      - .offset:         80
        .size:           2
        .value_kind:     hidden_group_size_z
      - .offset:         82
        .size:           2
        .value_kind:     hidden_remainder_x
      - .offset:         84
        .size:           2
        .value_kind:     hidden_remainder_y
      - .offset:         86
        .size:           2
        .value_kind:     hidden_remainder_z
      - .offset:         104
        .size:           8
        .value_kind:     hidden_global_offset_x
      - .offset:         112
        .size:           8
        .value_kind:     hidden_global_offset_y
      - .offset:         120
        .size:           8
        .value_kind:     hidden_global_offset_z
      - .offset:         128
        .size:           2
        .value_kind:     hidden_grid_dims
    .group_segment_fixed_size: 256
    .kernarg_segment_align: 8
    .kernarg_segment_size: 320
    .language:       OpenCL C
    .language_version:
      - 2
      - 0
    .max_flat_workgroup_size: 1024
    .name:           _ZL24rocblas_dot_kernel_magsqIiLb1ELi1024ELi32ELb1E19rocblas_complex_numIfEPKPKS1_S1_EviT5_lT_liPT6_PT4_
    .private_segment_fixed_size: 0
    .sgpr_count:     19
    .sgpr_spill_count: 0
    .symbol:         _ZL24rocblas_dot_kernel_magsqIiLb1ELi1024ELi32ELb1E19rocblas_complex_numIfEPKPKS1_S1_EviT5_lT_liPT6_PT4_.kd
    .uniform_work_group_size: 1
    .uses_dynamic_stack: false
    .vgpr_count:     13
    .vgpr_spill_count: 0
    .wavefront_size: 32
    .workgroup_processor_mode: 1
  - .args:
      - .offset:         0
        .size:           4
        .value_kind:     by_value
      - .actual_access:  read_only
        .address_space:  global
        .offset:         8
        .size:           8
        .value_kind:     global_buffer
      - .offset:         16
        .size:           8
        .value_kind:     by_value
      - .offset:         24
        .size:           8
        .value_kind:     by_value
      - .actual_access:  read_only
        .address_space:  global
        .offset:         32
        .size:           8
        .value_kind:     global_buffer
      - .offset:         40
        .size:           8
        .value_kind:     by_value
      - .offset:         48
        .size:           8
        .value_kind:     by_value
      - .offset:         56
        .size:           4
        .value_kind:     by_value
      - .actual_access:  write_only
        .address_space:  global
        .offset:         64
        .size:           8
        .value_kind:     global_buffer
      - .actual_access:  write_only
        .address_space:  global
        .offset:         72
        .size:           8
        .value_kind:     global_buffer
      - .offset:         80
        .size:           4
        .value_kind:     hidden_block_count_x
      - .offset:         84
        .size:           4
        .value_kind:     hidden_block_count_y
      - .offset:         88
        .size:           4
        .value_kind:     hidden_block_count_z
      - .offset:         92
        .size:           2
        .value_kind:     hidden_group_size_x
      - .offset:         94
        .size:           2
        .value_kind:     hidden_group_size_y
      - .offset:         96
        .size:           2
        .value_kind:     hidden_group_size_z
      - .offset:         98
        .size:           2
        .value_kind:     hidden_remainder_x
      - .offset:         100
        .size:           2
        .value_kind:     hidden_remainder_y
      - .offset:         102
        .size:           2
        .value_kind:     hidden_remainder_z
      - .offset:         120
        .size:           8
        .value_kind:     hidden_global_offset_x
      - .offset:         128
        .size:           8
        .value_kind:     hidden_global_offset_y
      - .offset:         136
        .size:           8
        .value_kind:     hidden_global_offset_z
      - .offset:         144
        .size:           2
        .value_kind:     hidden_grid_dims
    .group_segment_fixed_size: 256
    .kernarg_segment_align: 8
    .kernarg_segment_size: 336
    .language:       OpenCL C
    .language_version:
      - 2
      - 0
    .max_flat_workgroup_size: 512
    .name:           _ZL23rocblas_dot_kernel_inc1ILb0ELi512ELi2ELb1E19rocblas_complex_numIfEPKPKS1_S1_EviT4_llS6_lliPT5_PT3_
    .private_segment_fixed_size: 0
    .sgpr_count:     22
    .sgpr_spill_count: 0
    .symbol:         _ZL23rocblas_dot_kernel_inc1ILb0ELi512ELi2ELb1E19rocblas_complex_numIfEPKPKS1_S1_EviT4_llS6_lliPT5_PT3_.kd
    .uniform_work_group_size: 1
    .uses_dynamic_stack: false
    .vgpr_count:     12
    .vgpr_spill_count: 0
    .wavefront_size: 32
    .workgroup_processor_mode: 1
  - .args:
      - .offset:         0
        .size:           4
        .value_kind:     by_value
      - .actual_access:  read_only
        .address_space:  global
        .offset:         8
        .size:           8
        .value_kind:     global_buffer
      - .offset:         16
        .size:           8
        .value_kind:     by_value
      - .offset:         24
        .size:           4
        .value_kind:     by_value
      - .offset:         32
        .size:           8
        .value_kind:     by_value
      - .actual_access:  read_only
        .address_space:  global
        .offset:         40
        .size:           8
        .value_kind:     global_buffer
      - .offset:         48
        .size:           8
        .value_kind:     by_value
      - .offset:         56
        .size:           4
        .value_kind:     by_value
      - .offset:         64
        .size:           8
        .value_kind:     by_value
      - .offset:         72
        .size:           4
        .value_kind:     by_value
      - .actual_access:  write_only
        .address_space:  global
        .offset:         80
        .size:           8
        .value_kind:     global_buffer
      - .actual_access:  write_only
        .address_space:  global
        .offset:         88
        .size:           8
        .value_kind:     global_buffer
      - .offset:         96
        .size:           4
        .value_kind:     hidden_block_count_x
      - .offset:         100
        .size:           4
        .value_kind:     hidden_block_count_y
      - .offset:         104
        .size:           4
        .value_kind:     hidden_block_count_z
      - .offset:         108
        .size:           2
        .value_kind:     hidden_group_size_x
      - .offset:         110
        .size:           2
        .value_kind:     hidden_group_size_y
      - .offset:         112
        .size:           2
        .value_kind:     hidden_group_size_z
      - .offset:         114
        .size:           2
        .value_kind:     hidden_remainder_x
      - .offset:         116
        .size:           2
        .value_kind:     hidden_remainder_y
      - .offset:         118
        .size:           2
        .value_kind:     hidden_remainder_z
      - .offset:         136
        .size:           8
        .value_kind:     hidden_global_offset_x
      - .offset:         144
        .size:           8
        .value_kind:     hidden_global_offset_y
      - .offset:         152
        .size:           8
        .value_kind:     hidden_global_offset_z
      - .offset:         160
        .size:           2
        .value_kind:     hidden_grid_dims
    .group_segment_fixed_size: 256
    .kernarg_segment_align: 8
    .kernarg_segment_size: 352
    .language:       OpenCL C
    .language_version:
      - 2
      - 0
    .max_flat_workgroup_size: 512
    .name:           _ZL18rocblas_dot_kernelIiLb0ELi512ELi2ELb1E19rocblas_complex_numIfEPKPKS1_S1_EviT5_lT_lS6_lS7_liPT6_PT4_
    .private_segment_fixed_size: 0
    .sgpr_count:     26
    .sgpr_spill_count: 0
    .symbol:         _ZL18rocblas_dot_kernelIiLb0ELi512ELi2ELb1E19rocblas_complex_numIfEPKPKS1_S1_EviT5_lT_lS6_lS7_liPT6_PT4_.kd
    .uniform_work_group_size: 1
    .uses_dynamic_stack: false
    .vgpr_count:     11
    .vgpr_spill_count: 0
    .wavefront_size: 32
    .workgroup_processor_mode: 1
  - .args:
      - .offset:         0
        .size:           4
        .value_kind:     by_value
      - .actual_access:  read_only
        .address_space:  global
        .offset:         8
        .size:           8
        .value_kind:     global_buffer
      - .offset:         16
        .size:           8
        .value_kind:     by_value
      - .offset:         24
        .size:           4
        .value_kind:     by_value
      - .offset:         32
        .size:           8
        .value_kind:     by_value
      - .offset:         40
        .size:           4
        .value_kind:     by_value
      - .actual_access:  write_only
        .address_space:  global
        .offset:         48
        .size:           8
        .value_kind:     global_buffer
      - .actual_access:  write_only
        .address_space:  global
        .offset:         56
        .size:           8
        .value_kind:     global_buffer
      - .offset:         64
        .size:           4
        .value_kind:     hidden_block_count_x
      - .offset:         68
        .size:           4
        .value_kind:     hidden_block_count_y
      - .offset:         72
        .size:           4
        .value_kind:     hidden_block_count_z
      - .offset:         76
        .size:           2
        .value_kind:     hidden_group_size_x
      - .offset:         78
        .size:           2
        .value_kind:     hidden_group_size_y
      - .offset:         80
        .size:           2
        .value_kind:     hidden_group_size_z
      - .offset:         82
        .size:           2
        .value_kind:     hidden_remainder_x
      - .offset:         84
        .size:           2
        .value_kind:     hidden_remainder_y
      - .offset:         86
        .size:           2
        .value_kind:     hidden_remainder_z
      - .offset:         104
        .size:           8
        .value_kind:     hidden_global_offset_x
      - .offset:         112
        .size:           8
        .value_kind:     hidden_global_offset_y
      - .offset:         120
        .size:           8
        .value_kind:     hidden_global_offset_z
      - .offset:         128
        .size:           2
        .value_kind:     hidden_grid_dims
    .group_segment_fixed_size: 256
    .kernarg_segment_align: 8
    .kernarg_segment_size: 320
    .language:       OpenCL C
    .language_version:
      - 2
      - 0
    .max_flat_workgroup_size: 512
    .name:           _ZL24rocblas_dot_kernel_magsqIiLb0ELi512ELi2ELb1E19rocblas_complex_numIfEPKPKS1_S1_EviT5_lT_liPT6_PT4_
    .private_segment_fixed_size: 0
    .sgpr_count:     18
    .sgpr_spill_count: 0
    .symbol:         _ZL24rocblas_dot_kernel_magsqIiLb0ELi512ELi2ELb1E19rocblas_complex_numIfEPKPKS1_S1_EviT5_lT_liPT6_PT4_.kd
    .uniform_work_group_size: 1
    .uses_dynamic_stack: false
    .vgpr_count:     11
    .vgpr_spill_count: 0
    .wavefront_size: 32
    .workgroup_processor_mode: 1
  - .args:
      - .offset:         0
        .size:           4
        .value_kind:     by_value
      - .actual_access:  read_only
        .address_space:  global
        .offset:         8
        .size:           8
        .value_kind:     global_buffer
      - .offset:         16
        .size:           8
        .value_kind:     by_value
      - .offset:         24
        .size:           8
        .value_kind:     by_value
      - .offset:         32
        .size:           8
        .value_kind:     by_value
      - .actual_access:  read_only
        .address_space:  global
        .offset:         40
        .size:           8
        .value_kind:     global_buffer
      - .offset:         48
        .size:           8
        .value_kind:     by_value
      - .offset:         56
        .size:           8
        .value_kind:     by_value
      - .offset:         64
        .size:           8
        .value_kind:     by_value
      - .offset:         72
        .size:           4
        .value_kind:     by_value
      - .actual_access:  write_only
        .address_space:  global
        .offset:         80
        .size:           8
        .value_kind:     global_buffer
    .group_segment_fixed_size: 0
    .kernarg_segment_align: 8
    .kernarg_segment_size: 88
    .language:       OpenCL C
    .language_version:
      - 2
      - 0
    .max_flat_workgroup_size: 128
    .name:           _ZL28rocblas_dot_batched_4_kernelIlLi32ELi4ELb1E19rocblas_complex_numIfES1_PKPKS1_EviT5_lT_lS6_lS7_liPT4_
    .private_segment_fixed_size: 0
    .sgpr_count:     18
    .sgpr_spill_count: 0
    .symbol:         _ZL28rocblas_dot_batched_4_kernelIlLi32ELi4ELb1E19rocblas_complex_numIfES1_PKPKS1_EviT5_lT_lS6_lS7_liPT4_.kd
    .uniform_work_group_size: 1
    .uses_dynamic_stack: false
    .vgpr_count:     15
    .vgpr_spill_count: 0
    .wavefront_size: 32
    .workgroup_processor_mode: 1
  - .args:
      - .offset:         0
        .size:           4
        .value_kind:     by_value
      - .actual_access:  read_only
        .address_space:  global
        .offset:         8
        .size:           8
        .value_kind:     global_buffer
      - .offset:         16
        .size:           8
        .value_kind:     by_value
      - .offset:         24
        .size:           8
        .value_kind:     by_value
      - .offset:         32
        .size:           8
        .value_kind:     by_value
      - .actual_access:  read_only
        .address_space:  global
        .offset:         40
        .size:           8
        .value_kind:     global_buffer
      - .offset:         48
        .size:           8
        .value_kind:     by_value
      - .offset:         56
        .size:           8
        .value_kind:     by_value
      - .offset:         64
        .size:           8
        .value_kind:     by_value
      - .offset:         72
        .size:           4
        .value_kind:     by_value
      - .actual_access:  write_only
        .address_space:  global
        .offset:         80
        .size:           8
        .value_kind:     global_buffer
    .group_segment_fixed_size: 0
    .kernarg_segment_align: 8
    .kernarg_segment_size: 88
    .language:       OpenCL C
    .language_version:
      - 2
      - 0
    .max_flat_workgroup_size: 256
    .name:           _ZL28rocblas_dot_batched_4_kernelIlLi64ELi4ELb1E19rocblas_complex_numIfES1_PKPKS1_EviT5_lT_lS6_lS7_liPT4_
    .private_segment_fixed_size: 0
    .sgpr_count:     18
    .sgpr_spill_count: 0
    .symbol:         _ZL28rocblas_dot_batched_4_kernelIlLi64ELi4ELb1E19rocblas_complex_numIfES1_PKPKS1_EviT5_lT_lS6_lS7_liPT4_.kd
    .uniform_work_group_size: 1
    .uses_dynamic_stack: false
    .vgpr_count:     15
    .vgpr_spill_count: 0
    .wavefront_size: 32
    .workgroup_processor_mode: 1
  - .args:
      - .offset:         0
        .size:           4
        .value_kind:     by_value
      - .actual_access:  read_only
        .address_space:  global
        .offset:         8
        .size:           8
        .value_kind:     global_buffer
      - .offset:         16
        .size:           8
        .value_kind:     by_value
      - .offset:         24
        .size:           8
        .value_kind:     by_value
      - .offset:         32
        .size:           8
        .value_kind:     by_value
      - .actual_access:  read_only
        .address_space:  global
        .offset:         40
        .size:           8
        .value_kind:     global_buffer
      - .offset:         48
        .size:           8
        .value_kind:     by_value
      - .offset:         56
        .size:           8
        .value_kind:     by_value
      - .offset:         64
        .size:           8
        .value_kind:     by_value
      - .offset:         72
        .size:           4
        .value_kind:     by_value
      - .actual_access:  read_only
        .address_space:  global
        .offset:         80
        .size:           8
        .value_kind:     global_buffer
      - .actual_access:  write_only
        .address_space:  global
        .offset:         88
        .size:           8
        .value_kind:     global_buffer
      - .offset:         96
        .size:           4
        .value_kind:     hidden_block_count_x
      - .offset:         100
        .size:           4
        .value_kind:     hidden_block_count_y
      - .offset:         104
        .size:           4
        .value_kind:     hidden_block_count_z
      - .offset:         108
        .size:           2
        .value_kind:     hidden_group_size_x
      - .offset:         110
        .size:           2
        .value_kind:     hidden_group_size_y
      - .offset:         112
        .size:           2
        .value_kind:     hidden_group_size_z
      - .offset:         114
        .size:           2
        .value_kind:     hidden_remainder_x
      - .offset:         116
        .size:           2
        .value_kind:     hidden_remainder_y
      - .offset:         118
        .size:           2
        .value_kind:     hidden_remainder_z
      - .offset:         136
        .size:           8
        .value_kind:     hidden_global_offset_x
      - .offset:         144
        .size:           8
        .value_kind:     hidden_global_offset_y
      - .offset:         152
        .size:           8
        .value_kind:     hidden_global_offset_z
      - .offset:         160
        .size:           2
        .value_kind:     hidden_grid_dims
    .group_segment_fixed_size: 256
    .kernarg_segment_align: 8
    .kernarg_segment_size: 352
    .language:       OpenCL C
    .language_version:
      - 2
      - 0
    .max_flat_workgroup_size: 1024
    .name:           _ZL18rocblas_dot_kernelIlLb1ELi1024ELi32ELb1E19rocblas_complex_numIfEPKPKS1_S1_EviT5_lT_lS6_lS7_liPT6_PT4_
    .private_segment_fixed_size: 0
    .sgpr_count:     25
    .sgpr_spill_count: 0
    .symbol:         _ZL18rocblas_dot_kernelIlLb1ELi1024ELi32ELb1E19rocblas_complex_numIfEPKPKS1_S1_EviT5_lT_lS6_lS7_liPT6_PT4_.kd
    .uniform_work_group_size: 1
    .uses_dynamic_stack: false
    .vgpr_count:     13
    .vgpr_spill_count: 0
    .wavefront_size: 32
    .workgroup_processor_mode: 1
  - .args:
      - .offset:         0
        .size:           4
        .value_kind:     by_value
      - .actual_access:  read_only
        .address_space:  global
        .offset:         8
        .size:           8
        .value_kind:     global_buffer
      - .offset:         16
        .size:           8
        .value_kind:     by_value
      - .offset:         24
        .size:           8
        .value_kind:     by_value
      - .offset:         32
        .size:           8
        .value_kind:     by_value
      - .offset:         40
        .size:           4
        .value_kind:     by_value
      - .actual_access:  read_only
        .address_space:  global
        .offset:         48
        .size:           8
        .value_kind:     global_buffer
      - .actual_access:  write_only
        .address_space:  global
        .offset:         56
        .size:           8
        .value_kind:     global_buffer
      - .offset:         64
        .size:           4
        .value_kind:     hidden_block_count_x
      - .offset:         68
        .size:           4
        .value_kind:     hidden_block_count_y
      - .offset:         72
        .size:           4
        .value_kind:     hidden_block_count_z
      - .offset:         76
        .size:           2
        .value_kind:     hidden_group_size_x
      - .offset:         78
        .size:           2
        .value_kind:     hidden_group_size_y
      - .offset:         80
        .size:           2
        .value_kind:     hidden_group_size_z
      - .offset:         82
        .size:           2
        .value_kind:     hidden_remainder_x
      - .offset:         84
        .size:           2
        .value_kind:     hidden_remainder_y
      - .offset:         86
        .size:           2
        .value_kind:     hidden_remainder_z
      - .offset:         104
        .size:           8
        .value_kind:     hidden_global_offset_x
      - .offset:         112
        .size:           8
        .value_kind:     hidden_global_offset_y
      - .offset:         120
        .size:           8
        .value_kind:     hidden_global_offset_z
      - .offset:         128
        .size:           2
        .value_kind:     hidden_grid_dims
    .group_segment_fixed_size: 256
    .kernarg_segment_align: 8
    .kernarg_segment_size: 320
    .language:       OpenCL C
    .language_version:
      - 2
      - 0
    .max_flat_workgroup_size: 1024
    .name:           _ZL24rocblas_dot_kernel_magsqIlLb1ELi1024ELi32ELb1E19rocblas_complex_numIfEPKPKS1_S1_EviT5_lT_liPT6_PT4_
    .private_segment_fixed_size: 0
    .sgpr_count:     19
    .sgpr_spill_count: 0
    .symbol:         _ZL24rocblas_dot_kernel_magsqIlLb1ELi1024ELi32ELb1E19rocblas_complex_numIfEPKPKS1_S1_EviT5_lT_liPT6_PT4_.kd
    .uniform_work_group_size: 1
    .uses_dynamic_stack: false
    .vgpr_count:     13
    .vgpr_spill_count: 0
    .wavefront_size: 32
    .workgroup_processor_mode: 1
  - .args:
      - .offset:         0
        .size:           4
        .value_kind:     by_value
      - .actual_access:  read_only
        .address_space:  global
        .offset:         8
        .size:           8
        .value_kind:     global_buffer
      - .offset:         16
        .size:           8
        .value_kind:     by_value
      - .offset:         24
        .size:           8
        .value_kind:     by_value
      - .offset:         32
        .size:           8
        .value_kind:     by_value
      - .actual_access:  read_only
        .address_space:  global
        .offset:         40
        .size:           8
        .value_kind:     global_buffer
      - .offset:         48
        .size:           8
        .value_kind:     by_value
      - .offset:         56
        .size:           8
        .value_kind:     by_value
      - .offset:         64
        .size:           8
        .value_kind:     by_value
      - .offset:         72
        .size:           4
        .value_kind:     by_value
      - .actual_access:  write_only
        .address_space:  global
        .offset:         80
        .size:           8
        .value_kind:     global_buffer
      - .actual_access:  write_only
        .address_space:  global
        .offset:         88
        .size:           8
        .value_kind:     global_buffer
      - .offset:         96
        .size:           4
        .value_kind:     hidden_block_count_x
      - .offset:         100
        .size:           4
        .value_kind:     hidden_block_count_y
      - .offset:         104
        .size:           4
        .value_kind:     hidden_block_count_z
      - .offset:         108
        .size:           2
        .value_kind:     hidden_group_size_x
      - .offset:         110
        .size:           2
        .value_kind:     hidden_group_size_y
      - .offset:         112
        .size:           2
        .value_kind:     hidden_group_size_z
      - .offset:         114
        .size:           2
        .value_kind:     hidden_remainder_x
      - .offset:         116
        .size:           2
        .value_kind:     hidden_remainder_y
      - .offset:         118
        .size:           2
        .value_kind:     hidden_remainder_z
      - .offset:         136
        .size:           8
        .value_kind:     hidden_global_offset_x
      - .offset:         144
        .size:           8
        .value_kind:     hidden_global_offset_y
      - .offset:         152
        .size:           8
        .value_kind:     hidden_global_offset_z
      - .offset:         160
        .size:           2
        .value_kind:     hidden_grid_dims
    .group_segment_fixed_size: 256
    .kernarg_segment_align: 8
    .kernarg_segment_size: 352
    .language:       OpenCL C
    .language_version:
      - 2
      - 0
    .max_flat_workgroup_size: 512
    .name:           _ZL18rocblas_dot_kernelIlLb0ELi512ELi2ELb1E19rocblas_complex_numIfEPKPKS1_S1_EviT5_lT_lS6_lS7_liPT6_PT4_
    .private_segment_fixed_size: 0
    .sgpr_count:     24
    .sgpr_spill_count: 0
    .symbol:         _ZL18rocblas_dot_kernelIlLb0ELi512ELi2ELb1E19rocblas_complex_numIfEPKPKS1_S1_EviT5_lT_lS6_lS7_liPT6_PT4_.kd
    .uniform_work_group_size: 1
    .uses_dynamic_stack: false
    .vgpr_count:     12
    .vgpr_spill_count: 0
    .wavefront_size: 32
    .workgroup_processor_mode: 1
  - .args:
      - .offset:         0
        .size:           4
        .value_kind:     by_value
      - .actual_access:  read_only
        .address_space:  global
        .offset:         8
        .size:           8
        .value_kind:     global_buffer
      - .offset:         16
        .size:           8
        .value_kind:     by_value
      - .offset:         24
        .size:           8
        .value_kind:     by_value
      - .offset:         32
        .size:           8
        .value_kind:     by_value
      - .offset:         40
        .size:           4
        .value_kind:     by_value
      - .actual_access:  write_only
        .address_space:  global
        .offset:         48
        .size:           8
        .value_kind:     global_buffer
      - .actual_access:  write_only
        .address_space:  global
        .offset:         56
        .size:           8
        .value_kind:     global_buffer
      - .offset:         64
        .size:           4
        .value_kind:     hidden_block_count_x
      - .offset:         68
        .size:           4
        .value_kind:     hidden_block_count_y
      - .offset:         72
        .size:           4
        .value_kind:     hidden_block_count_z
      - .offset:         76
        .size:           2
        .value_kind:     hidden_group_size_x
      - .offset:         78
        .size:           2
        .value_kind:     hidden_group_size_y
      - .offset:         80
        .size:           2
        .value_kind:     hidden_group_size_z
      - .offset:         82
        .size:           2
        .value_kind:     hidden_remainder_x
      - .offset:         84
        .size:           2
        .value_kind:     hidden_remainder_y
      - .offset:         86
        .size:           2
        .value_kind:     hidden_remainder_z
      - .offset:         104
        .size:           8
        .value_kind:     hidden_global_offset_x
      - .offset:         112
        .size:           8
        .value_kind:     hidden_global_offset_y
      - .offset:         120
        .size:           8
        .value_kind:     hidden_global_offset_z
      - .offset:         128
        .size:           2
        .value_kind:     hidden_grid_dims
    .group_segment_fixed_size: 256
    .kernarg_segment_align: 8
    .kernarg_segment_size: 320
    .language:       OpenCL C
    .language_version:
      - 2
      - 0
    .max_flat_workgroup_size: 512
    .name:           _ZL24rocblas_dot_kernel_magsqIlLb0ELi512ELi2ELb1E19rocblas_complex_numIfEPKPKS1_S1_EviT5_lT_liPT6_PT4_
    .private_segment_fixed_size: 0
    .sgpr_count:     20
    .sgpr_spill_count: 0
    .symbol:         _ZL24rocblas_dot_kernel_magsqIlLb0ELi512ELi2ELb1E19rocblas_complex_numIfEPKPKS1_S1_EviT5_lT_liPT6_PT4_.kd
    .uniform_work_group_size: 1
    .uses_dynamic_stack: false
    .vgpr_count:     11
    .vgpr_spill_count: 0
    .wavefront_size: 32
    .workgroup_processor_mode: 1
  - .args:
      - .offset:         0
        .size:           4
        .value_kind:     by_value
      - .actual_access:  read_only
        .address_space:  global
        .offset:         8
        .size:           8
        .value_kind:     global_buffer
      - .offset:         16
        .size:           8
        .value_kind:     by_value
      - .offset:         24
        .size:           4
        .value_kind:     by_value
      - .offset:         32
        .size:           8
        .value_kind:     by_value
      - .actual_access:  read_only
        .address_space:  global
        .offset:         40
        .size:           8
        .value_kind:     global_buffer
      - .offset:         48
        .size:           8
        .value_kind:     by_value
      - .offset:         56
        .size:           4
        .value_kind:     by_value
      - .offset:         64
        .size:           8
        .value_kind:     by_value
      - .offset:         72
        .size:           4
        .value_kind:     by_value
      - .actual_access:  write_only
        .address_space:  global
        .offset:         80
        .size:           8
        .value_kind:     global_buffer
    .group_segment_fixed_size: 0
    .kernarg_segment_align: 8
    .kernarg_segment_size: 88
    .language:       OpenCL C
    .language_version:
      - 2
      - 0
    .max_flat_workgroup_size: 128
    .name:           _ZL28rocblas_dot_batched_4_kernelIiLi32ELi4ELb1E19rocblas_complex_numIdES1_PKPKS1_EviT5_lT_lS6_lS7_liPT4_
    .private_segment_fixed_size: 0
    .sgpr_count:     18
    .sgpr_spill_count: 0
    .symbol:         _ZL28rocblas_dot_batched_4_kernelIiLi32ELi4ELb1E19rocblas_complex_numIdES1_PKPKS1_EviT5_lT_lS6_lS7_liPT4_.kd
    .uniform_work_group_size: 1
    .uses_dynamic_stack: false
    .vgpr_count:     22
    .vgpr_spill_count: 0
    .wavefront_size: 32
    .workgroup_processor_mode: 1
  - .args:
      - .offset:         0
        .size:           4
        .value_kind:     by_value
      - .actual_access:  read_only
        .address_space:  global
        .offset:         8
        .size:           8
        .value_kind:     global_buffer
      - .offset:         16
        .size:           8
        .value_kind:     by_value
      - .offset:         24
        .size:           4
        .value_kind:     by_value
      - .offset:         32
        .size:           8
        .value_kind:     by_value
      - .actual_access:  read_only
        .address_space:  global
        .offset:         40
        .size:           8
        .value_kind:     global_buffer
      - .offset:         48
        .size:           8
        .value_kind:     by_value
      - .offset:         56
        .size:           4
        .value_kind:     by_value
      - .offset:         64
        .size:           8
        .value_kind:     by_value
      - .offset:         72
        .size:           4
        .value_kind:     by_value
      - .actual_access:  write_only
        .address_space:  global
        .offset:         80
        .size:           8
        .value_kind:     global_buffer
    .group_segment_fixed_size: 0
    .kernarg_segment_align: 8
    .kernarg_segment_size: 88
    .language:       OpenCL C
    .language_version:
      - 2
      - 0
    .max_flat_workgroup_size: 256
    .name:           _ZL28rocblas_dot_batched_4_kernelIiLi64ELi4ELb1E19rocblas_complex_numIdES1_PKPKS1_EviT5_lT_lS6_lS7_liPT4_
    .private_segment_fixed_size: 0
    .sgpr_count:     18
    .sgpr_spill_count: 0
    .symbol:         _ZL28rocblas_dot_batched_4_kernelIiLi64ELi4ELb1E19rocblas_complex_numIdES1_PKPKS1_EviT5_lT_lS6_lS7_liPT4_.kd
    .uniform_work_group_size: 1
    .uses_dynamic_stack: false
    .vgpr_count:     22
    .vgpr_spill_count: 0
    .wavefront_size: 32
    .workgroup_processor_mode: 1
  - .args:
      - .offset:         0
        .size:           4
        .value_kind:     by_value
      - .actual_access:  read_only
        .address_space:  global
        .offset:         8
        .size:           8
        .value_kind:     global_buffer
      - .offset:         16
        .size:           8
        .value_kind:     by_value
      - .offset:         24
        .size:           8
        .value_kind:     by_value
      - .actual_access:  read_only
        .address_space:  global
        .offset:         32
        .size:           8
        .value_kind:     global_buffer
      - .offset:         40
        .size:           8
        .value_kind:     by_value
      - .offset:         48
        .size:           8
        .value_kind:     by_value
      - .offset:         56
        .size:           4
        .value_kind:     by_value
      - .actual_access:  read_only
        .address_space:  global
        .offset:         64
        .size:           8
        .value_kind:     global_buffer
      - .actual_access:  write_only
        .address_space:  global
        .offset:         72
        .size:           8
        .value_kind:     global_buffer
    .group_segment_fixed_size: 512
    .kernarg_segment_align: 8
    .kernarg_segment_size: 80
    .language:       OpenCL C
    .language_version:
      - 2
      - 0
    .max_flat_workgroup_size: 1024
    .name:           _ZL26rocblas_dot_kernel_inc1by2ILb1ELi1024ELi32ELb1E19rocblas_complex_numIdEPKPKS1_S1_EviT4_llS6_lliPT5_PT3_
    .private_segment_fixed_size: 0
    .sgpr_count:     18
    .sgpr_spill_count: 0
    .symbol:         _ZL26rocblas_dot_kernel_inc1by2ILb1ELi1024ELi32ELb1E19rocblas_complex_numIdEPKPKS1_S1_EviT4_llS6_lliPT5_PT3_.kd
    .uniform_work_group_size: 1
    .uses_dynamic_stack: false
    .vgpr_count:     20
    .vgpr_spill_count: 0
    .wavefront_size: 32
    .workgroup_processor_mode: 1
  - .args:
      - .offset:         0
        .size:           4
        .value_kind:     by_value
      - .actual_access:  read_only
        .address_space:  global
        .offset:         8
        .size:           8
        .value_kind:     global_buffer
      - .offset:         16
        .size:           8
        .value_kind:     by_value
      - .offset:         24
        .size:           4
        .value_kind:     by_value
      - .offset:         32
        .size:           8
        .value_kind:     by_value
      - .actual_access:  read_only
        .address_space:  global
        .offset:         40
        .size:           8
        .value_kind:     global_buffer
      - .offset:         48
        .size:           8
        .value_kind:     by_value
      - .offset:         56
        .size:           4
        .value_kind:     by_value
      - .offset:         64
        .size:           8
        .value_kind:     by_value
      - .offset:         72
        .size:           4
        .value_kind:     by_value
      - .actual_access:  read_only
        .address_space:  global
        .offset:         80
        .size:           8
        .value_kind:     global_buffer
      - .actual_access:  write_only
        .address_space:  global
        .offset:         88
        .size:           8
        .value_kind:     global_buffer
      - .offset:         96
        .size:           4
        .value_kind:     hidden_block_count_x
      - .offset:         100
        .size:           4
        .value_kind:     hidden_block_count_y
      - .offset:         104
        .size:           4
        .value_kind:     hidden_block_count_z
      - .offset:         108
        .size:           2
        .value_kind:     hidden_group_size_x
      - .offset:         110
        .size:           2
        .value_kind:     hidden_group_size_y
      - .offset:         112
        .size:           2
        .value_kind:     hidden_group_size_z
      - .offset:         114
        .size:           2
        .value_kind:     hidden_remainder_x
      - .offset:         116
        .size:           2
        .value_kind:     hidden_remainder_y
      - .offset:         118
        .size:           2
        .value_kind:     hidden_remainder_z
      - .offset:         136
        .size:           8
        .value_kind:     hidden_global_offset_x
      - .offset:         144
        .size:           8
        .value_kind:     hidden_global_offset_y
      - .offset:         152
        .size:           8
        .value_kind:     hidden_global_offset_z
      - .offset:         160
        .size:           2
        .value_kind:     hidden_grid_dims
    .group_segment_fixed_size: 512
    .kernarg_segment_align: 8
    .kernarg_segment_size: 352
    .language:       OpenCL C
    .language_version:
      - 2
      - 0
    .max_flat_workgroup_size: 1024
    .name:           _ZL18rocblas_dot_kernelIiLb1ELi1024ELi32ELb1E19rocblas_complex_numIdEPKPKS1_S1_EviT5_lT_lS6_lS7_liPT6_PT4_
    .private_segment_fixed_size: 0
    .sgpr_count:     23
    .sgpr_spill_count: 0
    .symbol:         _ZL18rocblas_dot_kernelIiLb1ELi1024ELi32ELb1E19rocblas_complex_numIdEPKPKS1_S1_EviT5_lT_lS6_lS7_liPT6_PT4_.kd
    .uniform_work_group_size: 1
    .uses_dynamic_stack: false
    .vgpr_count:     20
    .vgpr_spill_count: 0
    .wavefront_size: 32
    .workgroup_processor_mode: 1
  - .args:
      - .offset:         0
        .size:           4
        .value_kind:     by_value
      - .actual_access:  read_only
        .address_space:  global
        .offset:         8
        .size:           8
        .value_kind:     global_buffer
      - .offset:         16
        .size:           8
        .value_kind:     by_value
      - .offset:         24
        .size:           4
        .value_kind:     by_value
      - .offset:         32
        .size:           8
        .value_kind:     by_value
      - .offset:         40
        .size:           4
        .value_kind:     by_value
      - .actual_access:  read_only
        .address_space:  global
        .offset:         48
        .size:           8
        .value_kind:     global_buffer
      - .actual_access:  write_only
        .address_space:  global
        .offset:         56
        .size:           8
        .value_kind:     global_buffer
      - .offset:         64
        .size:           4
        .value_kind:     hidden_block_count_x
      - .offset:         68
        .size:           4
        .value_kind:     hidden_block_count_y
      - .offset:         72
        .size:           4
        .value_kind:     hidden_block_count_z
      - .offset:         76
        .size:           2
        .value_kind:     hidden_group_size_x
      - .offset:         78
        .size:           2
        .value_kind:     hidden_group_size_y
      - .offset:         80
        .size:           2
        .value_kind:     hidden_group_size_z
      - .offset:         82
        .size:           2
        .value_kind:     hidden_remainder_x
      - .offset:         84
        .size:           2
        .value_kind:     hidden_remainder_y
      - .offset:         86
        .size:           2
        .value_kind:     hidden_remainder_z
      - .offset:         104
        .size:           8
        .value_kind:     hidden_global_offset_x
      - .offset:         112
        .size:           8
        .value_kind:     hidden_global_offset_y
      - .offset:         120
        .size:           8
        .value_kind:     hidden_global_offset_z
      - .offset:         128
        .size:           2
        .value_kind:     hidden_grid_dims
    .group_segment_fixed_size: 512
    .kernarg_segment_align: 8
    .kernarg_segment_size: 320
    .language:       OpenCL C
    .language_version:
      - 2
      - 0
    .max_flat_workgroup_size: 1024
    .name:           _ZL24rocblas_dot_kernel_magsqIiLb1ELi1024ELi32ELb1E19rocblas_complex_numIdEPKPKS1_S1_EviT5_lT_liPT6_PT4_
    .private_segment_fixed_size: 0
    .sgpr_count:     19
    .sgpr_spill_count: 0
    .symbol:         _ZL24rocblas_dot_kernel_magsqIiLb1ELi1024ELi32ELb1E19rocblas_complex_numIdEPKPKS1_S1_EviT5_lT_liPT6_PT4_.kd
    .uniform_work_group_size: 1
    .uses_dynamic_stack: false
    .vgpr_count:     16
    .vgpr_spill_count: 0
    .wavefront_size: 32
    .workgroup_processor_mode: 1
  - .args:
      - .offset:         0
        .size:           4
        .value_kind:     by_value
      - .actual_access:  read_only
        .address_space:  global
        .offset:         8
        .size:           8
        .value_kind:     global_buffer
      - .offset:         16
        .size:           8
        .value_kind:     by_value
      - .offset:         24
        .size:           8
        .value_kind:     by_value
      - .actual_access:  read_only
        .address_space:  global
        .offset:         32
        .size:           8
        .value_kind:     global_buffer
      - .offset:         40
        .size:           8
        .value_kind:     by_value
      - .offset:         48
        .size:           8
        .value_kind:     by_value
      - .offset:         56
        .size:           4
        .value_kind:     by_value
      - .actual_access:  write_only
        .address_space:  global
        .offset:         64
        .size:           8
        .value_kind:     global_buffer
      - .actual_access:  write_only
        .address_space:  global
        .offset:         72
        .size:           8
        .value_kind:     global_buffer
      - .offset:         80
        .size:           4
        .value_kind:     hidden_block_count_x
      - .offset:         84
        .size:           4
        .value_kind:     hidden_block_count_y
      - .offset:         88
        .size:           4
        .value_kind:     hidden_block_count_z
      - .offset:         92
        .size:           2
        .value_kind:     hidden_group_size_x
      - .offset:         94
        .size:           2
        .value_kind:     hidden_group_size_y
      - .offset:         96
        .size:           2
        .value_kind:     hidden_group_size_z
      - .offset:         98
        .size:           2
        .value_kind:     hidden_remainder_x
      - .offset:         100
        .size:           2
        .value_kind:     hidden_remainder_y
      - .offset:         102
        .size:           2
        .value_kind:     hidden_remainder_z
      - .offset:         120
        .size:           8
        .value_kind:     hidden_global_offset_x
      - .offset:         128
        .size:           8
        .value_kind:     hidden_global_offset_y
      - .offset:         136
        .size:           8
        .value_kind:     hidden_global_offset_z
      - .offset:         144
        .size:           2
        .value_kind:     hidden_grid_dims
    .group_segment_fixed_size: 512
    .kernarg_segment_align: 8
    .kernarg_segment_size: 336
    .language:       OpenCL C
    .language_version:
      - 2
      - 0
    .max_flat_workgroup_size: 512
    .name:           _ZL23rocblas_dot_kernel_inc1ILb0ELi512ELi2ELb1E19rocblas_complex_numIdEPKPKS1_S1_EviT4_llS6_lliPT5_PT3_
    .private_segment_fixed_size: 0
    .sgpr_count:     22
    .sgpr_spill_count: 0
    .symbol:         _ZL23rocblas_dot_kernel_inc1ILb0ELi512ELi2ELb1E19rocblas_complex_numIdEPKPKS1_S1_EviT4_llS6_lliPT5_PT3_.kd
    .uniform_work_group_size: 1
    .uses_dynamic_stack: false
    .vgpr_count:     15
    .vgpr_spill_count: 0
    .wavefront_size: 32
    .workgroup_processor_mode: 1
  - .args:
      - .offset:         0
        .size:           4
        .value_kind:     by_value
      - .actual_access:  read_only
        .address_space:  global
        .offset:         8
        .size:           8
        .value_kind:     global_buffer
      - .offset:         16
        .size:           8
        .value_kind:     by_value
      - .offset:         24
        .size:           4
        .value_kind:     by_value
      - .offset:         32
        .size:           8
        .value_kind:     by_value
      - .actual_access:  read_only
        .address_space:  global
        .offset:         40
        .size:           8
        .value_kind:     global_buffer
      - .offset:         48
        .size:           8
        .value_kind:     by_value
      - .offset:         56
        .size:           4
        .value_kind:     by_value
      - .offset:         64
        .size:           8
        .value_kind:     by_value
      - .offset:         72
        .size:           4
        .value_kind:     by_value
      - .actual_access:  write_only
        .address_space:  global
        .offset:         80
        .size:           8
        .value_kind:     global_buffer
      - .actual_access:  write_only
        .address_space:  global
        .offset:         88
        .size:           8
        .value_kind:     global_buffer
      - .offset:         96
        .size:           4
        .value_kind:     hidden_block_count_x
      - .offset:         100
        .size:           4
        .value_kind:     hidden_block_count_y
      - .offset:         104
        .size:           4
        .value_kind:     hidden_block_count_z
      - .offset:         108
        .size:           2
        .value_kind:     hidden_group_size_x
      - .offset:         110
        .size:           2
        .value_kind:     hidden_group_size_y
      - .offset:         112
        .size:           2
        .value_kind:     hidden_group_size_z
      - .offset:         114
        .size:           2
        .value_kind:     hidden_remainder_x
      - .offset:         116
        .size:           2
        .value_kind:     hidden_remainder_y
      - .offset:         118
        .size:           2
        .value_kind:     hidden_remainder_z
      - .offset:         136
        .size:           8
        .value_kind:     hidden_global_offset_x
      - .offset:         144
        .size:           8
        .value_kind:     hidden_global_offset_y
      - .offset:         152
        .size:           8
        .value_kind:     hidden_global_offset_z
      - .offset:         160
        .size:           2
        .value_kind:     hidden_grid_dims
    .group_segment_fixed_size: 512
    .kernarg_segment_align: 8
    .kernarg_segment_size: 352
    .language:       OpenCL C
    .language_version:
      - 2
      - 0
    .max_flat_workgroup_size: 512
    .name:           _ZL18rocblas_dot_kernelIiLb0ELi512ELi2ELb1E19rocblas_complex_numIdEPKPKS1_S1_EviT5_lT_lS6_lS7_liPT6_PT4_
    .private_segment_fixed_size: 0
    .sgpr_count:     26
    .sgpr_spill_count: 0
    .symbol:         _ZL18rocblas_dot_kernelIiLb0ELi512ELi2ELb1E19rocblas_complex_numIdEPKPKS1_S1_EviT5_lT_lS6_lS7_liPT6_PT4_.kd
    .uniform_work_group_size: 1
    .uses_dynamic_stack: false
    .vgpr_count:     15
    .vgpr_spill_count: 0
    .wavefront_size: 32
    .workgroup_processor_mode: 1
  - .args:
      - .offset:         0
        .size:           4
        .value_kind:     by_value
      - .actual_access:  read_only
        .address_space:  global
        .offset:         8
        .size:           8
        .value_kind:     global_buffer
      - .offset:         16
        .size:           8
        .value_kind:     by_value
      - .offset:         24
        .size:           4
        .value_kind:     by_value
      - .offset:         32
        .size:           8
        .value_kind:     by_value
      - .offset:         40
        .size:           4
        .value_kind:     by_value
      - .actual_access:  write_only
        .address_space:  global
        .offset:         48
        .size:           8
        .value_kind:     global_buffer
      - .actual_access:  write_only
        .address_space:  global
        .offset:         56
        .size:           8
        .value_kind:     global_buffer
      - .offset:         64
        .size:           4
        .value_kind:     hidden_block_count_x
      - .offset:         68
        .size:           4
        .value_kind:     hidden_block_count_y
      - .offset:         72
        .size:           4
        .value_kind:     hidden_block_count_z
      - .offset:         76
        .size:           2
        .value_kind:     hidden_group_size_x
      - .offset:         78
        .size:           2
        .value_kind:     hidden_group_size_y
      - .offset:         80
        .size:           2
        .value_kind:     hidden_group_size_z
      - .offset:         82
        .size:           2
        .value_kind:     hidden_remainder_x
      - .offset:         84
        .size:           2
        .value_kind:     hidden_remainder_y
      - .offset:         86
        .size:           2
        .value_kind:     hidden_remainder_z
      - .offset:         104
        .size:           8
        .value_kind:     hidden_global_offset_x
      - .offset:         112
        .size:           8
        .value_kind:     hidden_global_offset_y
      - .offset:         120
        .size:           8
        .value_kind:     hidden_global_offset_z
      - .offset:         128
        .size:           2
        .value_kind:     hidden_grid_dims
    .group_segment_fixed_size: 512
    .kernarg_segment_align: 8
    .kernarg_segment_size: 320
    .language:       OpenCL C
    .language_version:
      - 2
      - 0
    .max_flat_workgroup_size: 512
    .name:           _ZL24rocblas_dot_kernel_magsqIiLb0ELi512ELi2ELb1E19rocblas_complex_numIdEPKPKS1_S1_EviT5_lT_liPT6_PT4_
    .private_segment_fixed_size: 0
    .sgpr_count:     18
    .sgpr_spill_count: 0
    .symbol:         _ZL24rocblas_dot_kernel_magsqIiLb0ELi512ELi2ELb1E19rocblas_complex_numIdEPKPKS1_S1_EviT5_lT_liPT6_PT4_.kd
    .uniform_work_group_size: 1
    .uses_dynamic_stack: false
    .vgpr_count:     15
    .vgpr_spill_count: 0
    .wavefront_size: 32
    .workgroup_processor_mode: 1
  - .args:
      - .offset:         0
        .size:           4
        .value_kind:     by_value
      - .actual_access:  read_only
        .address_space:  global
        .offset:         8
        .size:           8
        .value_kind:     global_buffer
      - .offset:         16
        .size:           8
        .value_kind:     by_value
      - .offset:         24
        .size:           8
        .value_kind:     by_value
      - .offset:         32
        .size:           8
        .value_kind:     by_value
      - .actual_access:  read_only
        .address_space:  global
        .offset:         40
        .size:           8
        .value_kind:     global_buffer
      - .offset:         48
        .size:           8
        .value_kind:     by_value
      - .offset:         56
        .size:           8
        .value_kind:     by_value
      - .offset:         64
        .size:           8
        .value_kind:     by_value
      - .offset:         72
        .size:           4
        .value_kind:     by_value
      - .actual_access:  write_only
        .address_space:  global
        .offset:         80
        .size:           8
        .value_kind:     global_buffer
    .group_segment_fixed_size: 0
    .kernarg_segment_align: 8
    .kernarg_segment_size: 88
    .language:       OpenCL C
    .language_version:
      - 2
      - 0
    .max_flat_workgroup_size: 128
    .name:           _ZL28rocblas_dot_batched_4_kernelIlLi32ELi4ELb1E19rocblas_complex_numIdES1_PKPKS1_EviT5_lT_lS6_lS7_liPT4_
    .private_segment_fixed_size: 0
    .sgpr_count:     18
    .sgpr_spill_count: 0
    .symbol:         _ZL28rocblas_dot_batched_4_kernelIlLi32ELi4ELb1E19rocblas_complex_numIdES1_PKPKS1_EviT5_lT_lS6_lS7_liPT4_.kd
    .uniform_work_group_size: 1
    .uses_dynamic_stack: false
    .vgpr_count:     22
    .vgpr_spill_count: 0
    .wavefront_size: 32
    .workgroup_processor_mode: 1
  - .args:
      - .offset:         0
        .size:           4
        .value_kind:     by_value
      - .actual_access:  read_only
        .address_space:  global
        .offset:         8
        .size:           8
        .value_kind:     global_buffer
      - .offset:         16
        .size:           8
        .value_kind:     by_value
      - .offset:         24
        .size:           8
        .value_kind:     by_value
      - .offset:         32
        .size:           8
        .value_kind:     by_value
      - .actual_access:  read_only
        .address_space:  global
        .offset:         40
        .size:           8
        .value_kind:     global_buffer
      - .offset:         48
        .size:           8
        .value_kind:     by_value
      - .offset:         56
        .size:           8
        .value_kind:     by_value
      - .offset:         64
        .size:           8
        .value_kind:     by_value
      - .offset:         72
        .size:           4
        .value_kind:     by_value
      - .actual_access:  write_only
        .address_space:  global
        .offset:         80
        .size:           8
        .value_kind:     global_buffer
    .group_segment_fixed_size: 0
    .kernarg_segment_align: 8
    .kernarg_segment_size: 88
    .language:       OpenCL C
    .language_version:
      - 2
      - 0
    .max_flat_workgroup_size: 256
    .name:           _ZL28rocblas_dot_batched_4_kernelIlLi64ELi4ELb1E19rocblas_complex_numIdES1_PKPKS1_EviT5_lT_lS6_lS7_liPT4_
    .private_segment_fixed_size: 0
    .sgpr_count:     18
    .sgpr_spill_count: 0
    .symbol:         _ZL28rocblas_dot_batched_4_kernelIlLi64ELi4ELb1E19rocblas_complex_numIdES1_PKPKS1_EviT5_lT_lS6_lS7_liPT4_.kd
    .uniform_work_group_size: 1
    .uses_dynamic_stack: false
    .vgpr_count:     22
    .vgpr_spill_count: 0
    .wavefront_size: 32
    .workgroup_processor_mode: 1
  - .args:
      - .offset:         0
        .size:           4
        .value_kind:     by_value
      - .actual_access:  read_only
        .address_space:  global
        .offset:         8
        .size:           8
        .value_kind:     global_buffer
      - .offset:         16
        .size:           8
        .value_kind:     by_value
      - .offset:         24
        .size:           8
        .value_kind:     by_value
      - .offset:         32
        .size:           8
        .value_kind:     by_value
      - .actual_access:  read_only
        .address_space:  global
        .offset:         40
        .size:           8
        .value_kind:     global_buffer
      - .offset:         48
        .size:           8
        .value_kind:     by_value
      - .offset:         56
        .size:           8
        .value_kind:     by_value
      - .offset:         64
        .size:           8
        .value_kind:     by_value
      - .offset:         72
        .size:           4
        .value_kind:     by_value
      - .actual_access:  read_only
        .address_space:  global
        .offset:         80
        .size:           8
        .value_kind:     global_buffer
      - .actual_access:  write_only
        .address_space:  global
        .offset:         88
        .size:           8
        .value_kind:     global_buffer
      - .offset:         96
        .size:           4
        .value_kind:     hidden_block_count_x
      - .offset:         100
        .size:           4
        .value_kind:     hidden_block_count_y
      - .offset:         104
        .size:           4
        .value_kind:     hidden_block_count_z
      - .offset:         108
        .size:           2
        .value_kind:     hidden_group_size_x
      - .offset:         110
        .size:           2
        .value_kind:     hidden_group_size_y
      - .offset:         112
        .size:           2
        .value_kind:     hidden_group_size_z
      - .offset:         114
        .size:           2
        .value_kind:     hidden_remainder_x
      - .offset:         116
        .size:           2
        .value_kind:     hidden_remainder_y
      - .offset:         118
        .size:           2
        .value_kind:     hidden_remainder_z
      - .offset:         136
        .size:           8
        .value_kind:     hidden_global_offset_x
      - .offset:         144
        .size:           8
        .value_kind:     hidden_global_offset_y
      - .offset:         152
        .size:           8
        .value_kind:     hidden_global_offset_z
      - .offset:         160
        .size:           2
        .value_kind:     hidden_grid_dims
    .group_segment_fixed_size: 512
    .kernarg_segment_align: 8
    .kernarg_segment_size: 352
    .language:       OpenCL C
    .language_version:
      - 2
      - 0
    .max_flat_workgroup_size: 1024
    .name:           _ZL18rocblas_dot_kernelIlLb1ELi1024ELi32ELb1E19rocblas_complex_numIdEPKPKS1_S1_EviT5_lT_lS6_lS7_liPT6_PT4_
    .private_segment_fixed_size: 0
    .sgpr_count:     25
    .sgpr_spill_count: 0
    .symbol:         _ZL18rocblas_dot_kernelIlLb1ELi1024ELi32ELb1E19rocblas_complex_numIdEPKPKS1_S1_EviT5_lT_lS6_lS7_liPT6_PT4_.kd
    .uniform_work_group_size: 1
    .uses_dynamic_stack: false
    .vgpr_count:     20
    .vgpr_spill_count: 0
    .wavefront_size: 32
    .workgroup_processor_mode: 1
  - .args:
      - .offset:         0
        .size:           4
        .value_kind:     by_value
      - .actual_access:  read_only
        .address_space:  global
        .offset:         8
        .size:           8
        .value_kind:     global_buffer
      - .offset:         16
        .size:           8
        .value_kind:     by_value
      - .offset:         24
        .size:           8
        .value_kind:     by_value
      - .offset:         32
        .size:           8
        .value_kind:     by_value
      - .offset:         40
        .size:           4
        .value_kind:     by_value
      - .actual_access:  read_only
        .address_space:  global
        .offset:         48
        .size:           8
        .value_kind:     global_buffer
      - .actual_access:  write_only
        .address_space:  global
        .offset:         56
        .size:           8
        .value_kind:     global_buffer
      - .offset:         64
        .size:           4
        .value_kind:     hidden_block_count_x
      - .offset:         68
        .size:           4
        .value_kind:     hidden_block_count_y
      - .offset:         72
        .size:           4
        .value_kind:     hidden_block_count_z
      - .offset:         76
        .size:           2
        .value_kind:     hidden_group_size_x
      - .offset:         78
        .size:           2
        .value_kind:     hidden_group_size_y
      - .offset:         80
        .size:           2
        .value_kind:     hidden_group_size_z
      - .offset:         82
        .size:           2
        .value_kind:     hidden_remainder_x
      - .offset:         84
        .size:           2
        .value_kind:     hidden_remainder_y
      - .offset:         86
        .size:           2
        .value_kind:     hidden_remainder_z
      - .offset:         104
        .size:           8
        .value_kind:     hidden_global_offset_x
      - .offset:         112
        .size:           8
        .value_kind:     hidden_global_offset_y
      - .offset:         120
        .size:           8
        .value_kind:     hidden_global_offset_z
      - .offset:         128
        .size:           2
        .value_kind:     hidden_grid_dims
    .group_segment_fixed_size: 512
    .kernarg_segment_align: 8
    .kernarg_segment_size: 320
    .language:       OpenCL C
    .language_version:
      - 2
      - 0
    .max_flat_workgroup_size: 1024
    .name:           _ZL24rocblas_dot_kernel_magsqIlLb1ELi1024ELi32ELb1E19rocblas_complex_numIdEPKPKS1_S1_EviT5_lT_liPT6_PT4_
    .private_segment_fixed_size: 0
    .sgpr_count:     19
    .sgpr_spill_count: 0
    .symbol:         _ZL24rocblas_dot_kernel_magsqIlLb1ELi1024ELi32ELb1E19rocblas_complex_numIdEPKPKS1_S1_EviT5_lT_liPT6_PT4_.kd
    .uniform_work_group_size: 1
    .uses_dynamic_stack: false
    .vgpr_count:     16
    .vgpr_spill_count: 0
    .wavefront_size: 32
    .workgroup_processor_mode: 1
  - .args:
      - .offset:         0
        .size:           4
        .value_kind:     by_value
      - .actual_access:  read_only
        .address_space:  global
        .offset:         8
        .size:           8
        .value_kind:     global_buffer
      - .offset:         16
        .size:           8
        .value_kind:     by_value
      - .offset:         24
        .size:           8
        .value_kind:     by_value
      - .offset:         32
        .size:           8
        .value_kind:     by_value
      - .actual_access:  read_only
        .address_space:  global
        .offset:         40
        .size:           8
        .value_kind:     global_buffer
      - .offset:         48
        .size:           8
        .value_kind:     by_value
      - .offset:         56
        .size:           8
        .value_kind:     by_value
      - .offset:         64
        .size:           8
        .value_kind:     by_value
      - .offset:         72
        .size:           4
        .value_kind:     by_value
      - .actual_access:  write_only
        .address_space:  global
        .offset:         80
        .size:           8
        .value_kind:     global_buffer
      - .actual_access:  write_only
        .address_space:  global
        .offset:         88
        .size:           8
        .value_kind:     global_buffer
      - .offset:         96
        .size:           4
        .value_kind:     hidden_block_count_x
      - .offset:         100
        .size:           4
        .value_kind:     hidden_block_count_y
      - .offset:         104
        .size:           4
        .value_kind:     hidden_block_count_z
      - .offset:         108
        .size:           2
        .value_kind:     hidden_group_size_x
      - .offset:         110
        .size:           2
        .value_kind:     hidden_group_size_y
      - .offset:         112
        .size:           2
        .value_kind:     hidden_group_size_z
      - .offset:         114
        .size:           2
        .value_kind:     hidden_remainder_x
      - .offset:         116
        .size:           2
        .value_kind:     hidden_remainder_y
      - .offset:         118
        .size:           2
        .value_kind:     hidden_remainder_z
      - .offset:         136
        .size:           8
        .value_kind:     hidden_global_offset_x
      - .offset:         144
        .size:           8
        .value_kind:     hidden_global_offset_y
      - .offset:         152
        .size:           8
        .value_kind:     hidden_global_offset_z
      - .offset:         160
        .size:           2
        .value_kind:     hidden_grid_dims
    .group_segment_fixed_size: 512
    .kernarg_segment_align: 8
    .kernarg_segment_size: 352
    .language:       OpenCL C
    .language_version:
      - 2
      - 0
    .max_flat_workgroup_size: 512
    .name:           _ZL18rocblas_dot_kernelIlLb0ELi512ELi2ELb1E19rocblas_complex_numIdEPKPKS1_S1_EviT5_lT_lS6_lS7_liPT6_PT4_
    .private_segment_fixed_size: 0
    .sgpr_count:     24
    .sgpr_spill_count: 0
    .symbol:         _ZL18rocblas_dot_kernelIlLb0ELi512ELi2ELb1E19rocblas_complex_numIdEPKPKS1_S1_EviT5_lT_lS6_lS7_liPT6_PT4_.kd
    .uniform_work_group_size: 1
    .uses_dynamic_stack: false
    .vgpr_count:     15
    .vgpr_spill_count: 0
    .wavefront_size: 32
    .workgroup_processor_mode: 1
  - .args:
      - .offset:         0
        .size:           4
        .value_kind:     by_value
      - .actual_access:  read_only
        .address_space:  global
        .offset:         8
        .size:           8
        .value_kind:     global_buffer
      - .offset:         16
        .size:           8
        .value_kind:     by_value
      - .offset:         24
        .size:           8
        .value_kind:     by_value
      - .offset:         32
        .size:           8
        .value_kind:     by_value
      - .offset:         40
        .size:           4
        .value_kind:     by_value
      - .actual_access:  write_only
        .address_space:  global
        .offset:         48
        .size:           8
        .value_kind:     global_buffer
      - .actual_access:  write_only
        .address_space:  global
        .offset:         56
        .size:           8
        .value_kind:     global_buffer
      - .offset:         64
        .size:           4
        .value_kind:     hidden_block_count_x
      - .offset:         68
        .size:           4
        .value_kind:     hidden_block_count_y
      - .offset:         72
        .size:           4
        .value_kind:     hidden_block_count_z
      - .offset:         76
        .size:           2
        .value_kind:     hidden_group_size_x
      - .offset:         78
        .size:           2
        .value_kind:     hidden_group_size_y
      - .offset:         80
        .size:           2
        .value_kind:     hidden_group_size_z
      - .offset:         82
        .size:           2
        .value_kind:     hidden_remainder_x
      - .offset:         84
        .size:           2
        .value_kind:     hidden_remainder_y
      - .offset:         86
        .size:           2
        .value_kind:     hidden_remainder_z
      - .offset:         104
        .size:           8
        .value_kind:     hidden_global_offset_x
      - .offset:         112
        .size:           8
        .value_kind:     hidden_global_offset_y
      - .offset:         120
        .size:           8
        .value_kind:     hidden_global_offset_z
      - .offset:         128
        .size:           2
        .value_kind:     hidden_grid_dims
    .group_segment_fixed_size: 512
    .kernarg_segment_align: 8
    .kernarg_segment_size: 320
    .language:       OpenCL C
    .language_version:
      - 2
      - 0
    .max_flat_workgroup_size: 512
    .name:           _ZL24rocblas_dot_kernel_magsqIlLb0ELi512ELi2ELb1E19rocblas_complex_numIdEPKPKS1_S1_EviT5_lT_liPT6_PT4_
    .private_segment_fixed_size: 0
    .sgpr_count:     20
    .sgpr_spill_count: 0
    .symbol:         _ZL24rocblas_dot_kernel_magsqIlLb0ELi512ELi2ELb1E19rocblas_complex_numIdEPKPKS1_S1_EviT5_lT_liPT6_PT4_.kd
    .uniform_work_group_size: 1
    .uses_dynamic_stack: false
    .vgpr_count:     15
    .vgpr_spill_count: 0
    .wavefront_size: 32
    .workgroup_processor_mode: 1
  - .args:
      - .offset:         0
        .size:           4
        .value_kind:     by_value
      - .actual_access:  read_only
        .address_space:  global
        .offset:         8
        .size:           8
        .value_kind:     global_buffer
      - .offset:         16
        .size:           8
        .value_kind:     by_value
      - .offset:         24
        .size:           8
        .value_kind:     by_value
      - .offset:         32
        .size:           8
        .value_kind:     by_value
      - .actual_access:  read_only
        .address_space:  global
        .offset:         40
        .size:           8
        .value_kind:     global_buffer
      - .offset:         48
        .size:           8
        .value_kind:     by_value
      - .offset:         56
        .size:           8
        .value_kind:     by_value
      - .offset:         64
        .size:           8
        .value_kind:     by_value
      - .offset:         72
        .size:           4
        .value_kind:     by_value
      - .actual_access:  write_only
        .address_space:  global
        .offset:         80
        .size:           8
        .value_kind:     global_buffer
    .group_segment_fixed_size: 0
    .kernarg_segment_align: 8
    .kernarg_segment_size: 88
    .language:       OpenCL C
    .language_version:
      - 2
      - 0
    .max_flat_workgroup_size: 128
    .name:           _ZL28rocblas_dot_batched_4_kernelIlLi32ELi4ELb1EffPKDF16_EviT5_lT_lS2_lS3_liPT4_
    .private_segment_fixed_size: 0
    .sgpr_count:     22
    .sgpr_spill_count: 0
    .symbol:         _ZL28rocblas_dot_batched_4_kernelIlLi32ELi4ELb1EffPKDF16_EviT5_lT_lS2_lS3_liPT4_.kd
    .uniform_work_group_size: 1
    .uses_dynamic_stack: false
    .vgpr_count:     17
    .vgpr_spill_count: 0
    .wavefront_size: 32
    .workgroup_processor_mode: 1
  - .args:
      - .offset:         0
        .size:           4
        .value_kind:     by_value
      - .actual_access:  read_only
        .address_space:  global
        .offset:         8
        .size:           8
        .value_kind:     global_buffer
      - .offset:         16
        .size:           8
        .value_kind:     by_value
      - .offset:         24
        .size:           8
        .value_kind:     by_value
      - .offset:         32
        .size:           8
        .value_kind:     by_value
      - .actual_access:  read_only
        .address_space:  global
        .offset:         40
        .size:           8
        .value_kind:     global_buffer
      - .offset:         48
        .size:           8
        .value_kind:     by_value
      - .offset:         56
        .size:           8
        .value_kind:     by_value
      - .offset:         64
        .size:           8
        .value_kind:     by_value
      - .offset:         72
        .size:           4
        .value_kind:     by_value
      - .actual_access:  write_only
        .address_space:  global
        .offset:         80
        .size:           8
        .value_kind:     global_buffer
    .group_segment_fixed_size: 0
    .kernarg_segment_align: 8
    .kernarg_segment_size: 88
    .language:       OpenCL C
    .language_version:
      - 2
      - 0
    .max_flat_workgroup_size: 256
    .name:           _ZL28rocblas_dot_batched_4_kernelIlLi64ELi4ELb1EffPKDF16_EviT5_lT_lS2_lS3_liPT4_
    .private_segment_fixed_size: 0
    .sgpr_count:     22
    .sgpr_spill_count: 0
    .symbol:         _ZL28rocblas_dot_batched_4_kernelIlLi64ELi4ELb1EffPKDF16_EviT5_lT_lS2_lS3_liPT4_.kd
    .uniform_work_group_size: 1
    .uses_dynamic_stack: false
    .vgpr_count:     17
    .vgpr_spill_count: 0
    .wavefront_size: 32
    .workgroup_processor_mode: 1
  - .args:
      - .offset:         0
        .size:           4
        .value_kind:     by_value
      - .actual_access:  read_only
        .address_space:  global
        .offset:         8
        .size:           8
        .value_kind:     global_buffer
      - .offset:         16
        .size:           8
        .value_kind:     by_value
      - .offset:         24
        .size:           8
        .value_kind:     by_value
      - .actual_access:  read_only
        .address_space:  global
        .offset:         32
        .size:           8
        .value_kind:     global_buffer
      - .offset:         40
        .size:           8
        .value_kind:     by_value
      - .offset:         48
        .size:           8
        .value_kind:     by_value
      - .offset:         56
        .size:           4
        .value_kind:     by_value
      - .actual_access:  read_only
        .address_space:  global
        .offset:         64
        .size:           8
        .value_kind:     global_buffer
      - .actual_access:  write_only
        .address_space:  global
        .offset:         72
        .size:           8
        .value_kind:     global_buffer
    .group_segment_fixed_size: 128
    .kernarg_segment_align: 8
    .kernarg_segment_size: 80
    .language:       OpenCL C
    .language_version:
      - 2
      - 0
    .max_flat_workgroup_size: 1024
    .name:           _ZL26rocblas_dot_kernel_inc1by2ILb1ELi1024ELi32ELb1EfPKDF16_fEviT4_llS2_lliPT5_PT3_
    .private_segment_fixed_size: 0
    .sgpr_count:     26
    .sgpr_spill_count: 0
    .symbol:         _ZL26rocblas_dot_kernel_inc1by2ILb1ELi1024ELi32ELb1EfPKDF16_fEviT4_llS2_lliPT5_PT3_.kd
    .uniform_work_group_size: 1
    .uses_dynamic_stack: false
    .vgpr_count:     10
    .vgpr_spill_count: 0
    .wavefront_size: 32
    .workgroup_processor_mode: 1
  - .args:
      - .offset:         0
        .size:           4
        .value_kind:     by_value
      - .actual_access:  read_only
        .address_space:  global
        .offset:         8
        .size:           8
        .value_kind:     global_buffer
      - .offset:         16
        .size:           8
        .value_kind:     by_value
      - .offset:         24
        .size:           8
        .value_kind:     by_value
      - .offset:         32
        .size:           8
        .value_kind:     by_value
      - .actual_access:  read_only
        .address_space:  global
        .offset:         40
        .size:           8
        .value_kind:     global_buffer
      - .offset:         48
        .size:           8
        .value_kind:     by_value
      - .offset:         56
        .size:           8
        .value_kind:     by_value
      - .offset:         64
        .size:           8
        .value_kind:     by_value
      - .offset:         72
        .size:           4
        .value_kind:     by_value
      - .actual_access:  read_only
        .address_space:  global
        .offset:         80
        .size:           8
        .value_kind:     global_buffer
      - .actual_access:  write_only
        .address_space:  global
        .offset:         88
        .size:           8
        .value_kind:     global_buffer
      - .offset:         96
        .size:           4
        .value_kind:     hidden_block_count_x
      - .offset:         100
        .size:           4
        .value_kind:     hidden_block_count_y
      - .offset:         104
        .size:           4
        .value_kind:     hidden_block_count_z
      - .offset:         108
        .size:           2
        .value_kind:     hidden_group_size_x
      - .offset:         110
        .size:           2
        .value_kind:     hidden_group_size_y
      - .offset:         112
        .size:           2
        .value_kind:     hidden_group_size_z
      - .offset:         114
        .size:           2
        .value_kind:     hidden_remainder_x
      - .offset:         116
        .size:           2
        .value_kind:     hidden_remainder_y
      - .offset:         118
        .size:           2
        .value_kind:     hidden_remainder_z
      - .offset:         136
        .size:           8
        .value_kind:     hidden_global_offset_x
      - .offset:         144
        .size:           8
        .value_kind:     hidden_global_offset_y
      - .offset:         152
        .size:           8
        .value_kind:     hidden_global_offset_z
      - .offset:         160
        .size:           2
        .value_kind:     hidden_grid_dims
    .group_segment_fixed_size: 128
    .kernarg_segment_align: 8
    .kernarg_segment_size: 352
    .language:       OpenCL C
    .language_version:
      - 2
      - 0
    .max_flat_workgroup_size: 1024
    .name:           _ZL18rocblas_dot_kernelIlLb1ELi1024ELi32ELb1EfPKDF16_fEviT5_lT_lS2_lS3_liPT6_PT4_
    .private_segment_fixed_size: 0
    .sgpr_count:     29
    .sgpr_spill_count: 0
    .symbol:         _ZL18rocblas_dot_kernelIlLb1ELi1024ELi32ELb1EfPKDF16_fEviT5_lT_lS2_lS3_liPT6_PT4_.kd
    .uniform_work_group_size: 1
    .uses_dynamic_stack: false
    .vgpr_count:     11
    .vgpr_spill_count: 0
    .wavefront_size: 32
    .workgroup_processor_mode: 1
  - .args:
      - .offset:         0
        .size:           4
        .value_kind:     by_value
      - .actual_access:  read_only
        .address_space:  global
        .offset:         8
        .size:           8
        .value_kind:     global_buffer
      - .offset:         16
        .size:           8
        .value_kind:     by_value
      - .offset:         24
        .size:           8
        .value_kind:     by_value
      - .offset:         32
        .size:           8
        .value_kind:     by_value
      - .offset:         40
        .size:           4
        .value_kind:     by_value
      - .actual_access:  read_only
        .address_space:  global
        .offset:         48
        .size:           8
        .value_kind:     global_buffer
      - .actual_access:  write_only
        .address_space:  global
        .offset:         56
        .size:           8
        .value_kind:     global_buffer
      - .offset:         64
        .size:           4
        .value_kind:     hidden_block_count_x
      - .offset:         68
        .size:           4
        .value_kind:     hidden_block_count_y
      - .offset:         72
        .size:           4
        .value_kind:     hidden_block_count_z
      - .offset:         76
        .size:           2
        .value_kind:     hidden_group_size_x
      - .offset:         78
        .size:           2
        .value_kind:     hidden_group_size_y
      - .offset:         80
        .size:           2
        .value_kind:     hidden_group_size_z
      - .offset:         82
        .size:           2
        .value_kind:     hidden_remainder_x
      - .offset:         84
        .size:           2
        .value_kind:     hidden_remainder_y
      - .offset:         86
        .size:           2
        .value_kind:     hidden_remainder_z
      - .offset:         104
        .size:           8
        .value_kind:     hidden_global_offset_x
      - .offset:         112
        .size:           8
        .value_kind:     hidden_global_offset_y
      - .offset:         120
        .size:           8
        .value_kind:     hidden_global_offset_z
      - .offset:         128
        .size:           2
        .value_kind:     hidden_grid_dims
    .group_segment_fixed_size: 128
    .kernarg_segment_align: 8
    .kernarg_segment_size: 320
    .language:       OpenCL C
    .language_version:
      - 2
      - 0
    .max_flat_workgroup_size: 1024
    .name:           _ZL24rocblas_dot_kernel_magsqIlLb1ELi1024ELi32ELb1EfPKDF16_fEviT5_lT_liPT6_PT4_
    .private_segment_fixed_size: 0
    .sgpr_count:     19
    .sgpr_spill_count: 0
    .symbol:         _ZL24rocblas_dot_kernel_magsqIlLb1ELi1024ELi32ELb1EfPKDF16_fEviT5_lT_liPT6_PT4_.kd
    .uniform_work_group_size: 1
    .uses_dynamic_stack: false
    .vgpr_count:     10
    .vgpr_spill_count: 0
    .wavefront_size: 32
    .workgroup_processor_mode: 1
  - .args:
      - .offset:         0
        .size:           4
        .value_kind:     by_value
      - .actual_access:  read_only
        .address_space:  global
        .offset:         8
        .size:           8
        .value_kind:     global_buffer
      - .offset:         16
        .size:           8
        .value_kind:     by_value
      - .offset:         24
        .size:           8
        .value_kind:     by_value
      - .offset:         32
        .size:           8
        .value_kind:     by_value
      - .actual_access:  read_only
        .address_space:  global
        .offset:         40
        .size:           8
        .value_kind:     global_buffer
      - .offset:         48
        .size:           8
        .value_kind:     by_value
      - .offset:         56
        .size:           8
        .value_kind:     by_value
      - .offset:         64
        .size:           8
        .value_kind:     by_value
      - .actual_access:  read_only
        .address_space:  global
        .offset:         72
        .size:           8
        .value_kind:     global_buffer
      - .actual_access:  read_only
        .address_space:  global
        .offset:         80
        .size:           8
        .value_kind:     global_buffer
    .group_segment_fixed_size: 0
    .kernarg_segment_align: 8
    .kernarg_segment_size: 88
    .language:       OpenCL C
    .language_version:
      - 2
      - 0
    .max_flat_workgroup_size: 1024
    .name:           _ZL38rocblas_dot_kernel_gfx942_float_doubleIlLi1024EfPKDF16_fEviT2_lT_lS2_lS3_lPT3_PT1_
    .private_segment_fixed_size: 0
    .sgpr_count:     0
    .sgpr_spill_count: 0
    .symbol:         _ZL38rocblas_dot_kernel_gfx942_float_doubleIlLi1024EfPKDF16_fEviT2_lT_lS2_lS3_lPT3_PT1_.kd
    .uniform_work_group_size: 1
    .uses_dynamic_stack: false
    .vgpr_count:     0
    .vgpr_spill_count: 0
    .wavefront_size: 32
    .workgroup_processor_mode: 1
  - .args:
      - .offset:         0
        .size:           4
        .value_kind:     by_value
      - .actual_access:  read_only
        .address_space:  global
        .offset:         8
        .size:           8
        .value_kind:     global_buffer
      - .actual_access:  write_only
        .address_space:  global
        .offset:         16
        .size:           8
        .value_kind:     global_buffer
    .group_segment_fixed_size: 128
    .kernarg_segment_align: 8
    .kernarg_segment_size: 24
    .language:       OpenCL C
    .language_version:
      - 2
      - 0
    .max_flat_workgroup_size: 1024
    .name:           _ZL30rocblas_reduction_kernel_part2ILi1024ELi4E25rocblas_finalize_identityffEviPT2_PT3_
    .private_segment_fixed_size: 0
    .sgpr_count:     18
    .sgpr_spill_count: 0
    .symbol:         _ZL30rocblas_reduction_kernel_part2ILi1024ELi4E25rocblas_finalize_identityffEviPT2_PT3_.kd
    .uniform_work_group_size: 1
    .uses_dynamic_stack: false
    .vgpr_count:     10
    .vgpr_spill_count: 0
    .wavefront_size: 32
    .workgroup_processor_mode: 1
  - .args:
      - .offset:         0
        .size:           4
        .value_kind:     by_value
      - .actual_access:  read_only
        .address_space:  global
        .offset:         8
        .size:           8
        .value_kind:     global_buffer
      - .offset:         16
        .size:           8
        .value_kind:     by_value
      - .offset:         24
        .size:           8
        .value_kind:     by_value
      - .actual_access:  read_only
        .address_space:  global
        .offset:         32
        .size:           8
        .value_kind:     global_buffer
      - .offset:         40
        .size:           8
        .value_kind:     by_value
      - .offset:         48
        .size:           8
        .value_kind:     by_value
      - .offset:         56
        .size:           4
        .value_kind:     by_value
      - .actual_access:  write_only
        .address_space:  global
        .offset:         64
        .size:           8
        .value_kind:     global_buffer
      - .actual_access:  write_only
        .address_space:  global
        .offset:         72
        .size:           8
        .value_kind:     global_buffer
      - .offset:         80
        .size:           4
        .value_kind:     hidden_block_count_x
      - .offset:         84
        .size:           4
        .value_kind:     hidden_block_count_y
      - .offset:         88
        .size:           4
        .value_kind:     hidden_block_count_z
      - .offset:         92
        .size:           2
        .value_kind:     hidden_group_size_x
      - .offset:         94
        .size:           2
        .value_kind:     hidden_group_size_y
      - .offset:         96
        .size:           2
        .value_kind:     hidden_group_size_z
      - .offset:         98
        .size:           2
        .value_kind:     hidden_remainder_x
      - .offset:         100
        .size:           2
        .value_kind:     hidden_remainder_y
      - .offset:         102
        .size:           2
        .value_kind:     hidden_remainder_z
      - .offset:         120
        .size:           8
        .value_kind:     hidden_global_offset_x
      - .offset:         128
        .size:           8
        .value_kind:     hidden_global_offset_y
      - .offset:         136
        .size:           8
        .value_kind:     hidden_global_offset_z
      - .offset:         144
        .size:           2
        .value_kind:     hidden_grid_dims
    .group_segment_fixed_size: 128
    .kernarg_segment_align: 8
    .kernarg_segment_size: 336
    .language:       OpenCL C
    .language_version:
      - 2
      - 0
    .max_flat_workgroup_size: 512
    .name:           _ZL23rocblas_dot_kernel_inc1ILb0ELi512ELi4ELb1EfPKDF16_fEviT4_llS2_lliPT5_PT3_
    .private_segment_fixed_size: 0
    .sgpr_count:     26
    .sgpr_spill_count: 0
    .symbol:         _ZL23rocblas_dot_kernel_inc1ILb0ELi512ELi4ELb1EfPKDF16_fEviT4_llS2_lliPT5_PT3_.kd
    .uniform_work_group_size: 1
    .uses_dynamic_stack: false
    .vgpr_count:     9
    .vgpr_spill_count: 0
    .wavefront_size: 32
    .workgroup_processor_mode: 1
  - .args:
      - .offset:         0
        .size:           4
        .value_kind:     by_value
      - .actual_access:  read_only
        .address_space:  global
        .offset:         8
        .size:           8
        .value_kind:     global_buffer
      - .offset:         16
        .size:           8
        .value_kind:     by_value
      - .offset:         24
        .size:           8
        .value_kind:     by_value
      - .offset:         32
        .size:           8
        .value_kind:     by_value
      - .actual_access:  read_only
        .address_space:  global
        .offset:         40
        .size:           8
        .value_kind:     global_buffer
      - .offset:         48
        .size:           8
        .value_kind:     by_value
      - .offset:         56
        .size:           8
        .value_kind:     by_value
      - .offset:         64
        .size:           8
        .value_kind:     by_value
      - .offset:         72
        .size:           4
        .value_kind:     by_value
      - .actual_access:  write_only
        .address_space:  global
        .offset:         80
        .size:           8
        .value_kind:     global_buffer
      - .actual_access:  write_only
        .address_space:  global
        .offset:         88
        .size:           8
        .value_kind:     global_buffer
      - .offset:         96
        .size:           4
        .value_kind:     hidden_block_count_x
      - .offset:         100
        .size:           4
        .value_kind:     hidden_block_count_y
      - .offset:         104
        .size:           4
        .value_kind:     hidden_block_count_z
      - .offset:         108
        .size:           2
        .value_kind:     hidden_group_size_x
      - .offset:         110
        .size:           2
        .value_kind:     hidden_group_size_y
      - .offset:         112
        .size:           2
        .value_kind:     hidden_group_size_z
      - .offset:         114
        .size:           2
        .value_kind:     hidden_remainder_x
      - .offset:         116
        .size:           2
        .value_kind:     hidden_remainder_y
      - .offset:         118
        .size:           2
        .value_kind:     hidden_remainder_z
      - .offset:         136
        .size:           8
        .value_kind:     hidden_global_offset_x
      - .offset:         144
        .size:           8
        .value_kind:     hidden_global_offset_y
      - .offset:         152
        .size:           8
        .value_kind:     hidden_global_offset_z
      - .offset:         160
        .size:           2
        .value_kind:     hidden_grid_dims
    .group_segment_fixed_size: 128
    .kernarg_segment_align: 8
    .kernarg_segment_size: 352
    .language:       OpenCL C
    .language_version:
      - 2
      - 0
    .max_flat_workgroup_size: 512
    .name:           _ZL18rocblas_dot_kernelIlLb0ELi512ELi4ELb1EfPKDF16_fEviT5_lT_lS2_lS3_liPT6_PT4_
    .private_segment_fixed_size: 0
    .sgpr_count:     30
    .sgpr_spill_count: 0
    .symbol:         _ZL18rocblas_dot_kernelIlLb0ELi512ELi4ELb1EfPKDF16_fEviT5_lT_lS2_lS3_liPT6_PT4_.kd
    .uniform_work_group_size: 1
    .uses_dynamic_stack: false
    .vgpr_count:     11
    .vgpr_spill_count: 0
    .wavefront_size: 32
    .workgroup_processor_mode: 1
  - .args:
      - .offset:         0
        .size:           4
        .value_kind:     by_value
      - .actual_access:  read_only
        .address_space:  global
        .offset:         8
        .size:           8
        .value_kind:     global_buffer
      - .offset:         16
        .size:           8
        .value_kind:     by_value
      - .offset:         24
        .size:           8
        .value_kind:     by_value
      - .offset:         32
        .size:           8
        .value_kind:     by_value
      - .offset:         40
        .size:           4
        .value_kind:     by_value
      - .actual_access:  write_only
        .address_space:  global
        .offset:         48
        .size:           8
        .value_kind:     global_buffer
      - .actual_access:  write_only
        .address_space:  global
        .offset:         56
        .size:           8
        .value_kind:     global_buffer
      - .offset:         64
        .size:           4
        .value_kind:     hidden_block_count_x
      - .offset:         68
        .size:           4
        .value_kind:     hidden_block_count_y
      - .offset:         72
        .size:           4
        .value_kind:     hidden_block_count_z
      - .offset:         76
        .size:           2
        .value_kind:     hidden_group_size_x
      - .offset:         78
        .size:           2
        .value_kind:     hidden_group_size_y
      - .offset:         80
        .size:           2
        .value_kind:     hidden_group_size_z
      - .offset:         82
        .size:           2
        .value_kind:     hidden_remainder_x
      - .offset:         84
        .size:           2
        .value_kind:     hidden_remainder_y
      - .offset:         86
        .size:           2
        .value_kind:     hidden_remainder_z
      - .offset:         104
        .size:           8
        .value_kind:     hidden_global_offset_x
      - .offset:         112
        .size:           8
        .value_kind:     hidden_global_offset_y
      - .offset:         120
        .size:           8
        .value_kind:     hidden_global_offset_z
      - .offset:         128
        .size:           2
        .value_kind:     hidden_grid_dims
    .group_segment_fixed_size: 128
    .kernarg_segment_align: 8
    .kernarg_segment_size: 320
    .language:       OpenCL C
    .language_version:
      - 2
      - 0
    .max_flat_workgroup_size: 512
    .name:           _ZL24rocblas_dot_kernel_magsqIlLb0ELi512ELi4ELb1EfPKDF16_fEviT5_lT_liPT6_PT4_
    .private_segment_fixed_size: 0
    .sgpr_count:     24
    .sgpr_spill_count: 0
    .symbol:         _ZL24rocblas_dot_kernel_magsqIlLb0ELi512ELi4ELb1EfPKDF16_fEviT5_lT_liPT6_PT4_.kd
    .uniform_work_group_size: 1
    .uses_dynamic_stack: false
    .vgpr_count:     9
    .vgpr_spill_count: 0
    .wavefront_size: 32
    .workgroup_processor_mode: 1
  - .args:
      - .offset:         0
        .size:           4
        .value_kind:     by_value
      - .actual_access:  read_only
        .address_space:  global
        .offset:         8
        .size:           8
        .value_kind:     global_buffer
      - .actual_access:  write_only
        .address_space:  global
        .offset:         16
        .size:           8
        .value_kind:     global_buffer
    .group_segment_fixed_size: 128
    .kernarg_segment_align: 8
    .kernarg_segment_size: 24
    .language:       OpenCL C
    .language_version:
      - 2
      - 0
    .max_flat_workgroup_size: 512
    .name:           _ZL30rocblas_reduction_kernel_part2ILi512ELi4E25rocblas_finalize_identityffEviPT2_PT3_
    .private_segment_fixed_size: 0
    .sgpr_count:     18
    .sgpr_spill_count: 0
    .symbol:         _ZL30rocblas_reduction_kernel_part2ILi512ELi4E25rocblas_finalize_identityffEviPT2_PT3_.kd
    .uniform_work_group_size: 1
    .uses_dynamic_stack: false
    .vgpr_count:     9
    .vgpr_spill_count: 0
    .wavefront_size: 32
    .workgroup_processor_mode: 1
  - .args:
      - .offset:         0
        .size:           4
        .value_kind:     by_value
      - .actual_access:  read_only
        .address_space:  global
        .offset:         8
        .size:           8
        .value_kind:     global_buffer
      - .offset:         16
        .size:           8
        .value_kind:     by_value
      - .offset:         24
        .size:           8
        .value_kind:     by_value
      - .offset:         32
        .size:           8
        .value_kind:     by_value
      - .actual_access:  read_only
        .address_space:  global
        .offset:         40
        .size:           8
        .value_kind:     global_buffer
      - .offset:         48
        .size:           8
        .value_kind:     by_value
      - .offset:         56
        .size:           8
        .value_kind:     by_value
      - .offset:         64
        .size:           8
        .value_kind:     by_value
      - .offset:         72
        .size:           4
        .value_kind:     by_value
      - .actual_access:  write_only
        .address_space:  global
        .offset:         80
        .size:           8
        .value_kind:     global_buffer
    .group_segment_fixed_size: 0
    .kernarg_segment_align: 8
    .kernarg_segment_size: 88
    .language:       OpenCL C
    .language_version:
      - 2
      - 0
    .max_flat_workgroup_size: 128
    .name:           _ZL28rocblas_dot_batched_4_kernelIlLi32ELi4ELb1EffPKPKDF16_EviT5_lT_lS4_lS5_liPT4_
    .private_segment_fixed_size: 0
    .sgpr_count:     18
    .sgpr_spill_count: 0
    .symbol:         _ZL28rocblas_dot_batched_4_kernelIlLi32ELi4ELb1EffPKPKDF16_EviT5_lT_lS4_lS5_liPT4_.kd
    .uniform_work_group_size: 1
    .uses_dynamic_stack: false
    .vgpr_count:     14
    .vgpr_spill_count: 0
    .wavefront_size: 32
    .workgroup_processor_mode: 1
  - .args:
      - .offset:         0
        .size:           4
        .value_kind:     by_value
      - .actual_access:  read_only
        .address_space:  global
        .offset:         8
        .size:           8
        .value_kind:     global_buffer
      - .offset:         16
        .size:           8
        .value_kind:     by_value
      - .offset:         24
        .size:           8
        .value_kind:     by_value
      - .offset:         32
        .size:           8
        .value_kind:     by_value
      - .actual_access:  read_only
        .address_space:  global
        .offset:         40
        .size:           8
        .value_kind:     global_buffer
      - .offset:         48
        .size:           8
        .value_kind:     by_value
      - .offset:         56
        .size:           8
        .value_kind:     by_value
      - .offset:         64
        .size:           8
        .value_kind:     by_value
      - .offset:         72
        .size:           4
        .value_kind:     by_value
      - .actual_access:  write_only
        .address_space:  global
        .offset:         80
        .size:           8
        .value_kind:     global_buffer
    .group_segment_fixed_size: 0
    .kernarg_segment_align: 8
    .kernarg_segment_size: 88
    .language:       OpenCL C
    .language_version:
      - 2
      - 0
    .max_flat_workgroup_size: 256
    .name:           _ZL28rocblas_dot_batched_4_kernelIlLi64ELi4ELb1EffPKPKDF16_EviT5_lT_lS4_lS5_liPT4_
    .private_segment_fixed_size: 0
    .sgpr_count:     18
    .sgpr_spill_count: 0
    .symbol:         _ZL28rocblas_dot_batched_4_kernelIlLi64ELi4ELb1EffPKPKDF16_EviT5_lT_lS4_lS5_liPT4_.kd
    .uniform_work_group_size: 1
    .uses_dynamic_stack: false
    .vgpr_count:     14
    .vgpr_spill_count: 0
    .wavefront_size: 32
    .workgroup_processor_mode: 1
  - .args:
      - .offset:         0
        .size:           4
        .value_kind:     by_value
      - .actual_access:  read_only
        .address_space:  global
        .offset:         8
        .size:           8
        .value_kind:     global_buffer
      - .offset:         16
        .size:           8
        .value_kind:     by_value
      - .offset:         24
        .size:           8
        .value_kind:     by_value
      - .actual_access:  read_only
        .address_space:  global
        .offset:         32
        .size:           8
        .value_kind:     global_buffer
      - .offset:         40
        .size:           8
        .value_kind:     by_value
      - .offset:         48
        .size:           8
        .value_kind:     by_value
      - .offset:         56
        .size:           4
        .value_kind:     by_value
      - .actual_access:  read_only
        .address_space:  global
        .offset:         64
        .size:           8
        .value_kind:     global_buffer
      - .actual_access:  write_only
        .address_space:  global
        .offset:         72
        .size:           8
        .value_kind:     global_buffer
    .group_segment_fixed_size: 128
    .kernarg_segment_align: 8
    .kernarg_segment_size: 80
    .language:       OpenCL C
    .language_version:
      - 2
      - 0
    .max_flat_workgroup_size: 1024
    .name:           _ZL26rocblas_dot_kernel_inc1by2ILb1ELi1024ELi32ELb1EfPKPKDF16_fEviT4_llS4_lliPT5_PT3_
    .private_segment_fixed_size: 0
    .sgpr_count:     21
    .sgpr_spill_count: 0
    .symbol:         _ZL26rocblas_dot_kernel_inc1by2ILb1ELi1024ELi32ELb1EfPKPKDF16_fEviT4_llS4_lliPT5_PT3_.kd
    .uniform_work_group_size: 1
    .uses_dynamic_stack: false
    .vgpr_count:     10
    .vgpr_spill_count: 0
    .wavefront_size: 32
    .workgroup_processor_mode: 1
  - .args:
      - .offset:         0
        .size:           4
        .value_kind:     by_value
      - .actual_access:  read_only
        .address_space:  global
        .offset:         8
        .size:           8
        .value_kind:     global_buffer
      - .offset:         16
        .size:           8
        .value_kind:     by_value
      - .offset:         24
        .size:           8
        .value_kind:     by_value
      - .offset:         32
        .size:           8
        .value_kind:     by_value
      - .actual_access:  read_only
        .address_space:  global
        .offset:         40
        .size:           8
        .value_kind:     global_buffer
      - .offset:         48
        .size:           8
        .value_kind:     by_value
      - .offset:         56
        .size:           8
        .value_kind:     by_value
      - .offset:         64
        .size:           8
        .value_kind:     by_value
      - .offset:         72
        .size:           4
        .value_kind:     by_value
      - .actual_access:  read_only
        .address_space:  global
        .offset:         80
        .size:           8
        .value_kind:     global_buffer
      - .actual_access:  write_only
        .address_space:  global
        .offset:         88
        .size:           8
        .value_kind:     global_buffer
      - .offset:         96
        .size:           4
        .value_kind:     hidden_block_count_x
      - .offset:         100
        .size:           4
        .value_kind:     hidden_block_count_y
      - .offset:         104
        .size:           4
        .value_kind:     hidden_block_count_z
      - .offset:         108
        .size:           2
        .value_kind:     hidden_group_size_x
      - .offset:         110
        .size:           2
        .value_kind:     hidden_group_size_y
      - .offset:         112
        .size:           2
        .value_kind:     hidden_group_size_z
      - .offset:         114
        .size:           2
        .value_kind:     hidden_remainder_x
      - .offset:         116
        .size:           2
        .value_kind:     hidden_remainder_y
      - .offset:         118
        .size:           2
        .value_kind:     hidden_remainder_z
      - .offset:         136
        .size:           8
        .value_kind:     hidden_global_offset_x
      - .offset:         144
        .size:           8
        .value_kind:     hidden_global_offset_y
      - .offset:         152
        .size:           8
        .value_kind:     hidden_global_offset_z
      - .offset:         160
        .size:           2
        .value_kind:     hidden_grid_dims
    .group_segment_fixed_size: 128
    .kernarg_segment_align: 8
    .kernarg_segment_size: 352
    .language:       OpenCL C
    .language_version:
      - 2
      - 0
    .max_flat_workgroup_size: 1024
    .name:           _ZL18rocblas_dot_kernelIlLb1ELi1024ELi32ELb1EfPKPKDF16_fEviT5_lT_lS4_lS5_liPT6_PT4_
    .private_segment_fixed_size: 0
    .sgpr_count:     27
    .sgpr_spill_count: 0
    .symbol:         _ZL18rocblas_dot_kernelIlLb1ELi1024ELi32ELb1EfPKPKDF16_fEviT5_lT_lS4_lS5_liPT6_PT4_.kd
    .uniform_work_group_size: 1
    .uses_dynamic_stack: false
    .vgpr_count:     10
    .vgpr_spill_count: 0
    .wavefront_size: 32
    .workgroup_processor_mode: 1
  - .args:
      - .offset:         0
        .size:           4
        .value_kind:     by_value
      - .actual_access:  read_only
        .address_space:  global
        .offset:         8
        .size:           8
        .value_kind:     global_buffer
      - .offset:         16
        .size:           8
        .value_kind:     by_value
      - .offset:         24
        .size:           8
        .value_kind:     by_value
      - .offset:         32
        .size:           8
        .value_kind:     by_value
      - .offset:         40
        .size:           4
        .value_kind:     by_value
      - .actual_access:  read_only
        .address_space:  global
        .offset:         48
        .size:           8
        .value_kind:     global_buffer
      - .actual_access:  write_only
        .address_space:  global
        .offset:         56
        .size:           8
        .value_kind:     global_buffer
      - .offset:         64
        .size:           4
        .value_kind:     hidden_block_count_x
      - .offset:         68
        .size:           4
        .value_kind:     hidden_block_count_y
      - .offset:         72
        .size:           4
        .value_kind:     hidden_block_count_z
      - .offset:         76
        .size:           2
        .value_kind:     hidden_group_size_x
      - .offset:         78
        .size:           2
        .value_kind:     hidden_group_size_y
      - .offset:         80
        .size:           2
        .value_kind:     hidden_group_size_z
      - .offset:         82
        .size:           2
        .value_kind:     hidden_remainder_x
      - .offset:         84
        .size:           2
        .value_kind:     hidden_remainder_y
      - .offset:         86
        .size:           2
        .value_kind:     hidden_remainder_z
      - .offset:         104
        .size:           8
        .value_kind:     hidden_global_offset_x
      - .offset:         112
        .size:           8
        .value_kind:     hidden_global_offset_y
      - .offset:         120
        .size:           8
        .value_kind:     hidden_global_offset_z
      - .offset:         128
        .size:           2
        .value_kind:     hidden_grid_dims
    .group_segment_fixed_size: 128
    .kernarg_segment_align: 8
    .kernarg_segment_size: 320
    .language:       OpenCL C
    .language_version:
      - 2
      - 0
    .max_flat_workgroup_size: 1024
    .name:           _ZL24rocblas_dot_kernel_magsqIlLb1ELi1024ELi32ELb1EfPKPKDF16_fEviT5_lT_liPT6_PT4_
    .private_segment_fixed_size: 0
    .sgpr_count:     19
    .sgpr_spill_count: 0
    .symbol:         _ZL24rocblas_dot_kernel_magsqIlLb1ELi1024ELi32ELb1EfPKPKDF16_fEviT5_lT_liPT6_PT4_.kd
    .uniform_work_group_size: 1
    .uses_dynamic_stack: false
    .vgpr_count:     10
    .vgpr_spill_count: 0
    .wavefront_size: 32
    .workgroup_processor_mode: 1
  - .args:
      - .offset:         0
        .size:           4
        .value_kind:     by_value
      - .actual_access:  read_only
        .address_space:  global
        .offset:         8
        .size:           8
        .value_kind:     global_buffer
      - .offset:         16
        .size:           8
        .value_kind:     by_value
      - .offset:         24
        .size:           8
        .value_kind:     by_value
      - .offset:         32
        .size:           8
        .value_kind:     by_value
      - .actual_access:  read_only
        .address_space:  global
        .offset:         40
        .size:           8
        .value_kind:     global_buffer
      - .offset:         48
        .size:           8
        .value_kind:     by_value
      - .offset:         56
        .size:           8
        .value_kind:     by_value
      - .offset:         64
        .size:           8
        .value_kind:     by_value
      - .actual_access:  read_only
        .address_space:  global
        .offset:         72
        .size:           8
        .value_kind:     global_buffer
      - .actual_access:  read_only
        .address_space:  global
        .offset:         80
        .size:           8
        .value_kind:     global_buffer
    .group_segment_fixed_size: 0
    .kernarg_segment_align: 8
    .kernarg_segment_size: 88
    .language:       OpenCL C
    .language_version:
      - 2
      - 0
    .max_flat_workgroup_size: 1024
    .name:           _ZL38rocblas_dot_kernel_gfx942_float_doubleIlLi1024EfPKPKDF16_fEviT2_lT_lS4_lS5_lPT3_PT1_
    .private_segment_fixed_size: 0
    .sgpr_count:     0
    .sgpr_spill_count: 0
    .symbol:         _ZL38rocblas_dot_kernel_gfx942_float_doubleIlLi1024EfPKPKDF16_fEviT2_lT_lS4_lS5_lPT3_PT1_.kd
    .uniform_work_group_size: 1
    .uses_dynamic_stack: false
    .vgpr_count:     0
    .vgpr_spill_count: 0
    .wavefront_size: 32
    .workgroup_processor_mode: 1
  - .args:
      - .offset:         0
        .size:           4
        .value_kind:     by_value
      - .actual_access:  read_only
        .address_space:  global
        .offset:         8
        .size:           8
        .value_kind:     global_buffer
      - .offset:         16
        .size:           8
        .value_kind:     by_value
      - .offset:         24
        .size:           8
        .value_kind:     by_value
      - .actual_access:  read_only
        .address_space:  global
        .offset:         32
        .size:           8
        .value_kind:     global_buffer
      - .offset:         40
        .size:           8
        .value_kind:     by_value
      - .offset:         48
        .size:           8
        .value_kind:     by_value
      - .offset:         56
        .size:           4
        .value_kind:     by_value
      - .actual_access:  write_only
        .address_space:  global
        .offset:         64
        .size:           8
        .value_kind:     global_buffer
      - .actual_access:  write_only
        .address_space:  global
        .offset:         72
        .size:           8
        .value_kind:     global_buffer
      - .offset:         80
        .size:           4
        .value_kind:     hidden_block_count_x
      - .offset:         84
        .size:           4
        .value_kind:     hidden_block_count_y
      - .offset:         88
        .size:           4
        .value_kind:     hidden_block_count_z
      - .offset:         92
        .size:           2
        .value_kind:     hidden_group_size_x
      - .offset:         94
        .size:           2
        .value_kind:     hidden_group_size_y
      - .offset:         96
        .size:           2
        .value_kind:     hidden_group_size_z
      - .offset:         98
        .size:           2
        .value_kind:     hidden_remainder_x
      - .offset:         100
        .size:           2
        .value_kind:     hidden_remainder_y
      - .offset:         102
        .size:           2
        .value_kind:     hidden_remainder_z
      - .offset:         120
        .size:           8
        .value_kind:     hidden_global_offset_x
      - .offset:         128
        .size:           8
        .value_kind:     hidden_global_offset_y
      - .offset:         136
        .size:           8
        .value_kind:     hidden_global_offset_z
      - .offset:         144
        .size:           2
        .value_kind:     hidden_grid_dims
    .group_segment_fixed_size: 128
    .kernarg_segment_align: 8
    .kernarg_segment_size: 336
    .language:       OpenCL C
    .language_version:
      - 2
      - 0
    .max_flat_workgroup_size: 512
    .name:           _ZL23rocblas_dot_kernel_inc1ILb0ELi512ELi4ELb1EfPKPKDF16_fEviT4_llS4_lliPT5_PT3_
    .private_segment_fixed_size: 0
    .sgpr_count:     26
    .sgpr_spill_count: 0
    .symbol:         _ZL23rocblas_dot_kernel_inc1ILb0ELi512ELi4ELb1EfPKPKDF16_fEviT4_llS4_lliPT5_PT3_.kd
    .uniform_work_group_size: 1
    .uses_dynamic_stack: false
    .vgpr_count:     10
    .vgpr_spill_count: 0
    .wavefront_size: 32
    .workgroup_processor_mode: 1
  - .args:
      - .offset:         0
        .size:           4
        .value_kind:     by_value
      - .actual_access:  read_only
        .address_space:  global
        .offset:         8
        .size:           8
        .value_kind:     global_buffer
      - .offset:         16
        .size:           8
        .value_kind:     by_value
      - .offset:         24
        .size:           8
        .value_kind:     by_value
      - .offset:         32
        .size:           8
        .value_kind:     by_value
      - .actual_access:  read_only
        .address_space:  global
        .offset:         40
        .size:           8
        .value_kind:     global_buffer
      - .offset:         48
        .size:           8
        .value_kind:     by_value
      - .offset:         56
        .size:           8
        .value_kind:     by_value
      - .offset:         64
        .size:           8
        .value_kind:     by_value
      - .offset:         72
        .size:           4
        .value_kind:     by_value
      - .actual_access:  write_only
        .address_space:  global
        .offset:         80
        .size:           8
        .value_kind:     global_buffer
      - .actual_access:  write_only
        .address_space:  global
        .offset:         88
        .size:           8
        .value_kind:     global_buffer
      - .offset:         96
        .size:           4
        .value_kind:     hidden_block_count_x
      - .offset:         100
        .size:           4
        .value_kind:     hidden_block_count_y
      - .offset:         104
        .size:           4
        .value_kind:     hidden_block_count_z
      - .offset:         108
        .size:           2
        .value_kind:     hidden_group_size_x
      - .offset:         110
        .size:           2
        .value_kind:     hidden_group_size_y
      - .offset:         112
        .size:           2
        .value_kind:     hidden_group_size_z
      - .offset:         114
        .size:           2
        .value_kind:     hidden_remainder_x
      - .offset:         116
        .size:           2
        .value_kind:     hidden_remainder_y
      - .offset:         118
        .size:           2
        .value_kind:     hidden_remainder_z
      - .offset:         136
        .size:           8
        .value_kind:     hidden_global_offset_x
      - .offset:         144
        .size:           8
        .value_kind:     hidden_global_offset_y
      - .offset:         152
        .size:           8
        .value_kind:     hidden_global_offset_z
      - .offset:         160
        .size:           2
        .value_kind:     hidden_grid_dims
    .group_segment_fixed_size: 128
    .kernarg_segment_align: 8
    .kernarg_segment_size: 352
    .language:       OpenCL C
    .language_version:
      - 2
      - 0
    .max_flat_workgroup_size: 512
    .name:           _ZL18rocblas_dot_kernelIlLb0ELi512ELi4ELb1EfPKPKDF16_fEviT5_lT_lS4_lS5_liPT6_PT4_
    .private_segment_fixed_size: 0
    .sgpr_count:     31
    .sgpr_spill_count: 0
    .symbol:         _ZL18rocblas_dot_kernelIlLb0ELi512ELi4ELb1EfPKPKDF16_fEviT5_lT_lS4_lS5_liPT6_PT4_.kd
    .uniform_work_group_size: 1
    .uses_dynamic_stack: false
    .vgpr_count:     12
    .vgpr_spill_count: 0
    .wavefront_size: 32
    .workgroup_processor_mode: 1
  - .args:
      - .offset:         0
        .size:           4
        .value_kind:     by_value
      - .actual_access:  read_only
        .address_space:  global
        .offset:         8
        .size:           8
        .value_kind:     global_buffer
      - .offset:         16
        .size:           8
        .value_kind:     by_value
      - .offset:         24
        .size:           8
        .value_kind:     by_value
      - .offset:         32
        .size:           8
        .value_kind:     by_value
      - .offset:         40
        .size:           4
        .value_kind:     by_value
      - .actual_access:  write_only
        .address_space:  global
        .offset:         48
        .size:           8
        .value_kind:     global_buffer
      - .actual_access:  write_only
        .address_space:  global
        .offset:         56
        .size:           8
        .value_kind:     global_buffer
      - .offset:         64
        .size:           4
        .value_kind:     hidden_block_count_x
      - .offset:         68
        .size:           4
        .value_kind:     hidden_block_count_y
      - .offset:         72
        .size:           4
        .value_kind:     hidden_block_count_z
      - .offset:         76
        .size:           2
        .value_kind:     hidden_group_size_x
      - .offset:         78
        .size:           2
        .value_kind:     hidden_group_size_y
      - .offset:         80
        .size:           2
        .value_kind:     hidden_group_size_z
      - .offset:         82
        .size:           2
        .value_kind:     hidden_remainder_x
      - .offset:         84
        .size:           2
        .value_kind:     hidden_remainder_y
      - .offset:         86
        .size:           2
        .value_kind:     hidden_remainder_z
      - .offset:         104
        .size:           8
        .value_kind:     hidden_global_offset_x
      - .offset:         112
        .size:           8
        .value_kind:     hidden_global_offset_y
      - .offset:         120
        .size:           8
        .value_kind:     hidden_global_offset_z
      - .offset:         128
        .size:           2
        .value_kind:     hidden_grid_dims
    .group_segment_fixed_size: 128
    .kernarg_segment_align: 8
    .kernarg_segment_size: 320
    .language:       OpenCL C
    .language_version:
      - 2
      - 0
    .max_flat_workgroup_size: 512
    .name:           _ZL24rocblas_dot_kernel_magsqIlLb0ELi512ELi4ELb1EfPKPKDF16_fEviT5_lT_liPT6_PT4_
    .private_segment_fixed_size: 0
    .sgpr_count:     22
    .sgpr_spill_count: 0
    .symbol:         _ZL24rocblas_dot_kernel_magsqIlLb0ELi512ELi4ELb1EfPKPKDF16_fEviT5_lT_liPT6_PT4_.kd
    .uniform_work_group_size: 1
    .uses_dynamic_stack: false
    .vgpr_count:     9
    .vgpr_spill_count: 0
    .wavefront_size: 32
    .workgroup_processor_mode: 1
  - .args:
      - .offset:         0
        .size:           4
        .value_kind:     by_value
      - .actual_access:  read_only
        .address_space:  global
        .offset:         8
        .size:           8
        .value_kind:     global_buffer
      - .offset:         16
        .size:           8
        .value_kind:     by_value
      - .offset:         24
        .size:           8
        .value_kind:     by_value
      - .offset:         32
        .size:           8
        .value_kind:     by_value
      - .actual_access:  read_only
        .address_space:  global
        .offset:         40
        .size:           8
        .value_kind:     global_buffer
      - .offset:         48
        .size:           8
        .value_kind:     by_value
      - .offset:         56
        .size:           8
        .value_kind:     by_value
      - .offset:         64
        .size:           8
        .value_kind:     by_value
      - .offset:         72
        .size:           4
        .value_kind:     by_value
      - .actual_access:  write_only
        .address_space:  global
        .offset:         80
        .size:           8
        .value_kind:     global_buffer
    .group_segment_fixed_size: 0
    .kernarg_segment_align: 8
    .kernarg_segment_size: 88
    .language:       OpenCL C
    .language_version:
      - 2
      - 0
    .max_flat_workgroup_size: 128
    .name:           _ZL28rocblas_dot_batched_4_kernelIlLi32ELi4ELb1EDF16_fPKDF16_EviT5_lT_lS2_lS3_liPT4_
    .private_segment_fixed_size: 0
    .sgpr_count:     22
    .sgpr_spill_count: 0
    .symbol:         _ZL28rocblas_dot_batched_4_kernelIlLi32ELi4ELb1EDF16_fPKDF16_EviT5_lT_lS2_lS3_liPT4_.kd
    .uniform_work_group_size: 1
    .uses_dynamic_stack: false
    .vgpr_count:     17
    .vgpr_spill_count: 0
    .wavefront_size: 32
    .workgroup_processor_mode: 1
  - .args:
      - .offset:         0
        .size:           4
        .value_kind:     by_value
      - .actual_access:  read_only
        .address_space:  global
        .offset:         8
        .size:           8
        .value_kind:     global_buffer
      - .offset:         16
        .size:           8
        .value_kind:     by_value
      - .offset:         24
        .size:           8
        .value_kind:     by_value
      - .offset:         32
        .size:           8
        .value_kind:     by_value
      - .actual_access:  read_only
        .address_space:  global
        .offset:         40
        .size:           8
        .value_kind:     global_buffer
      - .offset:         48
        .size:           8
        .value_kind:     by_value
      - .offset:         56
        .size:           8
        .value_kind:     by_value
      - .offset:         64
        .size:           8
        .value_kind:     by_value
      - .offset:         72
        .size:           4
        .value_kind:     by_value
      - .actual_access:  write_only
        .address_space:  global
        .offset:         80
        .size:           8
        .value_kind:     global_buffer
    .group_segment_fixed_size: 0
    .kernarg_segment_align: 8
    .kernarg_segment_size: 88
    .language:       OpenCL C
    .language_version:
      - 2
      - 0
    .max_flat_workgroup_size: 256
    .name:           _ZL28rocblas_dot_batched_4_kernelIlLi64ELi4ELb1EDF16_fPKDF16_EviT5_lT_lS2_lS3_liPT4_
    .private_segment_fixed_size: 0
    .sgpr_count:     22
    .sgpr_spill_count: 0
    .symbol:         _ZL28rocblas_dot_batched_4_kernelIlLi64ELi4ELb1EDF16_fPKDF16_EviT5_lT_lS2_lS3_liPT4_.kd
    .uniform_work_group_size: 1
    .uses_dynamic_stack: false
    .vgpr_count:     17
    .vgpr_spill_count: 0
    .wavefront_size: 32
    .workgroup_processor_mode: 1
  - .args:
      - .offset:         0
        .size:           4
        .value_kind:     by_value
      - .actual_access:  read_only
        .address_space:  global
        .offset:         8
        .size:           8
        .value_kind:     global_buffer
      - .offset:         16
        .size:           8
        .value_kind:     by_value
      - .offset:         24
        .size:           8
        .value_kind:     by_value
      - .actual_access:  read_only
        .address_space:  global
        .offset:         32
        .size:           8
        .value_kind:     global_buffer
      - .offset:         40
        .size:           8
        .value_kind:     by_value
      - .offset:         48
        .size:           8
        .value_kind:     by_value
      - .offset:         56
        .size:           4
        .value_kind:     by_value
      - .actual_access:  read_only
        .address_space:  global
        .offset:         64
        .size:           8
        .value_kind:     global_buffer
      - .actual_access:  write_only
        .address_space:  global
        .offset:         72
        .size:           8
        .value_kind:     global_buffer
    .group_segment_fixed_size: 64
    .kernarg_segment_align: 8
    .kernarg_segment_size: 80
    .language:       OpenCL C
    .language_version:
      - 2
      - 0
    .max_flat_workgroup_size: 1024
    .name:           _ZL26rocblas_dot_kernel_inc1by2ILb1ELi1024ELi32ELb1EfPKDF16_DF16_EviT4_llS2_lliPT5_PT3_
    .private_segment_fixed_size: 0
    .sgpr_count:     26
    .sgpr_spill_count: 0
    .symbol:         _ZL26rocblas_dot_kernel_inc1by2ILb1ELi1024ELi32ELb1EfPKDF16_DF16_EviT4_llS2_lliPT5_PT3_.kd
    .uniform_work_group_size: 1
    .uses_dynamic_stack: false
    .vgpr_count:     11
    .vgpr_spill_count: 0
    .wavefront_size: 32
    .workgroup_processor_mode: 1
  - .args:
      - .offset:         0
        .size:           4
        .value_kind:     by_value
      - .actual_access:  read_only
        .address_space:  global
        .offset:         8
        .size:           8
        .value_kind:     global_buffer
      - .offset:         16
        .size:           8
        .value_kind:     by_value
      - .offset:         24
        .size:           8
        .value_kind:     by_value
      - .offset:         32
        .size:           8
        .value_kind:     by_value
      - .actual_access:  read_only
        .address_space:  global
        .offset:         40
        .size:           8
        .value_kind:     global_buffer
      - .offset:         48
        .size:           8
        .value_kind:     by_value
      - .offset:         56
        .size:           8
        .value_kind:     by_value
      - .offset:         64
        .size:           8
        .value_kind:     by_value
      - .offset:         72
        .size:           4
        .value_kind:     by_value
      - .actual_access:  read_only
        .address_space:  global
        .offset:         80
        .size:           8
        .value_kind:     global_buffer
      - .actual_access:  write_only
        .address_space:  global
        .offset:         88
        .size:           8
        .value_kind:     global_buffer
      - .offset:         96
        .size:           4
        .value_kind:     hidden_block_count_x
      - .offset:         100
        .size:           4
        .value_kind:     hidden_block_count_y
      - .offset:         104
        .size:           4
        .value_kind:     hidden_block_count_z
      - .offset:         108
        .size:           2
        .value_kind:     hidden_group_size_x
      - .offset:         110
        .size:           2
        .value_kind:     hidden_group_size_y
      - .offset:         112
        .size:           2
        .value_kind:     hidden_group_size_z
      - .offset:         114
        .size:           2
        .value_kind:     hidden_remainder_x
      - .offset:         116
        .size:           2
        .value_kind:     hidden_remainder_y
      - .offset:         118
        .size:           2
        .value_kind:     hidden_remainder_z
      - .offset:         136
        .size:           8
        .value_kind:     hidden_global_offset_x
      - .offset:         144
        .size:           8
        .value_kind:     hidden_global_offset_y
      - .offset:         152
        .size:           8
        .value_kind:     hidden_global_offset_z
      - .offset:         160
        .size:           2
        .value_kind:     hidden_grid_dims
    .group_segment_fixed_size: 64
    .kernarg_segment_align: 8
    .kernarg_segment_size: 352
    .language:       OpenCL C
    .language_version:
      - 2
      - 0
    .max_flat_workgroup_size: 1024
    .name:           _ZL18rocblas_dot_kernelIlLb1ELi1024ELi32ELb1EfPKDF16_DF16_EviT5_lT_lS2_lS3_liPT6_PT4_
    .private_segment_fixed_size: 0
    .sgpr_count:     29
    .sgpr_spill_count: 0
    .symbol:         _ZL18rocblas_dot_kernelIlLb1ELi1024ELi32ELb1EfPKDF16_DF16_EviT5_lT_lS2_lS3_liPT6_PT4_.kd
    .uniform_work_group_size: 1
    .uses_dynamic_stack: false
    .vgpr_count:     11
    .vgpr_spill_count: 0
    .wavefront_size: 32
    .workgroup_processor_mode: 1
  - .args:
      - .offset:         0
        .size:           4
        .value_kind:     by_value
      - .actual_access:  read_only
        .address_space:  global
        .offset:         8
        .size:           8
        .value_kind:     global_buffer
      - .offset:         16
        .size:           8
        .value_kind:     by_value
      - .offset:         24
        .size:           8
        .value_kind:     by_value
      - .offset:         32
        .size:           8
        .value_kind:     by_value
      - .offset:         40
        .size:           4
        .value_kind:     by_value
      - .actual_access:  read_only
        .address_space:  global
        .offset:         48
        .size:           8
        .value_kind:     global_buffer
      - .actual_access:  write_only
        .address_space:  global
        .offset:         56
        .size:           8
        .value_kind:     global_buffer
      - .offset:         64
        .size:           4
        .value_kind:     hidden_block_count_x
      - .offset:         68
        .size:           4
        .value_kind:     hidden_block_count_y
      - .offset:         72
        .size:           4
        .value_kind:     hidden_block_count_z
      - .offset:         76
        .size:           2
        .value_kind:     hidden_group_size_x
      - .offset:         78
        .size:           2
        .value_kind:     hidden_group_size_y
      - .offset:         80
        .size:           2
        .value_kind:     hidden_group_size_z
      - .offset:         82
        .size:           2
        .value_kind:     hidden_remainder_x
      - .offset:         84
        .size:           2
        .value_kind:     hidden_remainder_y
      - .offset:         86
        .size:           2
        .value_kind:     hidden_remainder_z
      - .offset:         104
        .size:           8
        .value_kind:     hidden_global_offset_x
      - .offset:         112
        .size:           8
        .value_kind:     hidden_global_offset_y
      - .offset:         120
        .size:           8
        .value_kind:     hidden_global_offset_z
      - .offset:         128
        .size:           2
        .value_kind:     hidden_grid_dims
    .group_segment_fixed_size: 64
    .kernarg_segment_align: 8
    .kernarg_segment_size: 320
    .language:       OpenCL C
    .language_version:
      - 2
      - 0
    .max_flat_workgroup_size: 1024
    .name:           _ZL24rocblas_dot_kernel_magsqIlLb1ELi1024ELi32ELb1EfPKDF16_DF16_EviT5_lT_liPT6_PT4_
    .private_segment_fixed_size: 0
    .sgpr_count:     19
    .sgpr_spill_count: 0
    .symbol:         _ZL24rocblas_dot_kernel_magsqIlLb1ELi1024ELi32ELb1EfPKDF16_DF16_EviT5_lT_liPT6_PT4_.kd
    .uniform_work_group_size: 1
    .uses_dynamic_stack: false
    .vgpr_count:     11
    .vgpr_spill_count: 0
    .wavefront_size: 32
    .workgroup_processor_mode: 1
  - .args:
      - .offset:         0
        .size:           4
        .value_kind:     by_value
      - .actual_access:  read_only
        .address_space:  global
        .offset:         8
        .size:           8
        .value_kind:     global_buffer
      - .offset:         16
        .size:           8
        .value_kind:     by_value
      - .offset:         24
        .size:           8
        .value_kind:     by_value
      - .offset:         32
        .size:           8
        .value_kind:     by_value
      - .actual_access:  read_only
        .address_space:  global
        .offset:         40
        .size:           8
        .value_kind:     global_buffer
      - .offset:         48
        .size:           8
        .value_kind:     by_value
      - .offset:         56
        .size:           8
        .value_kind:     by_value
      - .offset:         64
        .size:           8
        .value_kind:     by_value
      - .actual_access:  read_only
        .address_space:  global
        .offset:         72
        .size:           8
        .value_kind:     global_buffer
      - .actual_access:  read_only
        .address_space:  global
        .offset:         80
        .size:           8
        .value_kind:     global_buffer
    .group_segment_fixed_size: 0
    .kernarg_segment_align: 8
    .kernarg_segment_size: 88
    .language:       OpenCL C
    .language_version:
      - 2
      - 0
    .max_flat_workgroup_size: 1024
    .name:           _ZL38rocblas_dot_kernel_gfx942_float_doubleIlLi1024EfPKDF16_DF16_EviT2_lT_lS2_lS3_lPT3_PT1_
    .private_segment_fixed_size: 0
    .sgpr_count:     0
    .sgpr_spill_count: 0
    .symbol:         _ZL38rocblas_dot_kernel_gfx942_float_doubleIlLi1024EfPKDF16_DF16_EviT2_lT_lS2_lS3_lPT3_PT1_.kd
    .uniform_work_group_size: 1
    .uses_dynamic_stack: false
    .vgpr_count:     0
    .vgpr_spill_count: 0
    .wavefront_size: 32
    .workgroup_processor_mode: 1
  - .args:
      - .offset:         0
        .size:           4
        .value_kind:     by_value
      - .actual_access:  read_only
        .address_space:  global
        .offset:         8
        .size:           8
        .value_kind:     global_buffer
      - .actual_access:  write_only
        .address_space:  global
        .offset:         16
        .size:           8
        .value_kind:     global_buffer
    .group_segment_fixed_size: 64
    .kernarg_segment_align: 8
    .kernarg_segment_size: 24
    .language:       OpenCL C
    .language_version:
      - 2
      - 0
    .max_flat_workgroup_size: 1024
    .name:           _ZL30rocblas_reduction_kernel_part2ILi1024ELi4E25rocblas_finalize_identityDF16_fEviPT2_PT3_
    .private_segment_fixed_size: 0
    .sgpr_count:     18
    .sgpr_spill_count: 0
    .symbol:         _ZL30rocblas_reduction_kernel_part2ILi1024ELi4E25rocblas_finalize_identityDF16_fEviPT2_PT3_.kd
    .uniform_work_group_size: 1
    .uses_dynamic_stack: false
    .vgpr_count:     11
    .vgpr_spill_count: 0
    .wavefront_size: 32
    .workgroup_processor_mode: 1
  - .args:
      - .offset:         0
        .size:           4
        .value_kind:     by_value
      - .actual_access:  read_only
        .address_space:  global
        .offset:         8
        .size:           8
        .value_kind:     global_buffer
      - .offset:         16
        .size:           8
        .value_kind:     by_value
      - .offset:         24
        .size:           8
        .value_kind:     by_value
      - .actual_access:  read_only
        .address_space:  global
        .offset:         32
        .size:           8
        .value_kind:     global_buffer
      - .offset:         40
        .size:           8
        .value_kind:     by_value
      - .offset:         48
        .size:           8
        .value_kind:     by_value
      - .offset:         56
        .size:           4
        .value_kind:     by_value
      - .actual_access:  write_only
        .address_space:  global
        .offset:         64
        .size:           8
        .value_kind:     global_buffer
      - .actual_access:  write_only
        .address_space:  global
        .offset:         72
        .size:           8
        .value_kind:     global_buffer
      - .offset:         80
        .size:           4
        .value_kind:     hidden_block_count_x
      - .offset:         84
        .size:           4
        .value_kind:     hidden_block_count_y
      - .offset:         88
        .size:           4
        .value_kind:     hidden_block_count_z
      - .offset:         92
        .size:           2
        .value_kind:     hidden_group_size_x
      - .offset:         94
        .size:           2
        .value_kind:     hidden_group_size_y
      - .offset:         96
        .size:           2
        .value_kind:     hidden_group_size_z
      - .offset:         98
        .size:           2
        .value_kind:     hidden_remainder_x
      - .offset:         100
        .size:           2
        .value_kind:     hidden_remainder_y
      - .offset:         102
        .size:           2
        .value_kind:     hidden_remainder_z
      - .offset:         120
        .size:           8
        .value_kind:     hidden_global_offset_x
      - .offset:         128
        .size:           8
        .value_kind:     hidden_global_offset_y
      - .offset:         136
        .size:           8
        .value_kind:     hidden_global_offset_z
      - .offset:         144
        .size:           2
        .value_kind:     hidden_grid_dims
    .group_segment_fixed_size: 64
    .kernarg_segment_align: 8
    .kernarg_segment_size: 336
    .language:       OpenCL C
    .language_version:
      - 2
      - 0
    .max_flat_workgroup_size: 512
    .name:           _ZL23rocblas_dot_kernel_inc1ILb0ELi512ELi4ELb1EfPKDF16_DF16_EviT4_llS2_lliPT5_PT3_
    .private_segment_fixed_size: 0
    .sgpr_count:     26
    .sgpr_spill_count: 0
    .symbol:         _ZL23rocblas_dot_kernel_inc1ILb0ELi512ELi4ELb1EfPKDF16_DF16_EviT4_llS2_lliPT5_PT3_.kd
    .uniform_work_group_size: 1
    .uses_dynamic_stack: false
    .vgpr_count:     10
    .vgpr_spill_count: 0
    .wavefront_size: 32
    .workgroup_processor_mode: 1
  - .args:
      - .offset:         0
        .size:           4
        .value_kind:     by_value
      - .actual_access:  read_only
        .address_space:  global
        .offset:         8
        .size:           8
        .value_kind:     global_buffer
      - .offset:         16
        .size:           8
        .value_kind:     by_value
      - .offset:         24
        .size:           8
        .value_kind:     by_value
      - .offset:         32
        .size:           8
        .value_kind:     by_value
      - .actual_access:  read_only
        .address_space:  global
        .offset:         40
        .size:           8
        .value_kind:     global_buffer
      - .offset:         48
        .size:           8
        .value_kind:     by_value
      - .offset:         56
        .size:           8
        .value_kind:     by_value
      - .offset:         64
        .size:           8
        .value_kind:     by_value
      - .offset:         72
        .size:           4
        .value_kind:     by_value
      - .actual_access:  write_only
        .address_space:  global
        .offset:         80
        .size:           8
        .value_kind:     global_buffer
      - .actual_access:  write_only
        .address_space:  global
        .offset:         88
        .size:           8
        .value_kind:     global_buffer
      - .offset:         96
        .size:           4
        .value_kind:     hidden_block_count_x
      - .offset:         100
        .size:           4
        .value_kind:     hidden_block_count_y
      - .offset:         104
        .size:           4
        .value_kind:     hidden_block_count_z
      - .offset:         108
        .size:           2
        .value_kind:     hidden_group_size_x
      - .offset:         110
        .size:           2
        .value_kind:     hidden_group_size_y
      - .offset:         112
        .size:           2
        .value_kind:     hidden_group_size_z
      - .offset:         114
        .size:           2
        .value_kind:     hidden_remainder_x
      - .offset:         116
        .size:           2
        .value_kind:     hidden_remainder_y
      - .offset:         118
        .size:           2
        .value_kind:     hidden_remainder_z
      - .offset:         136
        .size:           8
        .value_kind:     hidden_global_offset_x
      - .offset:         144
        .size:           8
        .value_kind:     hidden_global_offset_y
      - .offset:         152
        .size:           8
        .value_kind:     hidden_global_offset_z
      - .offset:         160
        .size:           2
        .value_kind:     hidden_grid_dims
    .group_segment_fixed_size: 64
    .kernarg_segment_align: 8
    .kernarg_segment_size: 352
    .language:       OpenCL C
    .language_version:
      - 2
      - 0
    .max_flat_workgroup_size: 512
    .name:           _ZL18rocblas_dot_kernelIlLb0ELi512ELi4ELb1EfPKDF16_DF16_EviT5_lT_lS2_lS3_liPT6_PT4_
    .private_segment_fixed_size: 0
    .sgpr_count:     30
    .sgpr_spill_count: 0
    .symbol:         _ZL18rocblas_dot_kernelIlLb0ELi512ELi4ELb1EfPKDF16_DF16_EviT5_lT_lS2_lS3_liPT6_PT4_.kd
    .uniform_work_group_size: 1
    .uses_dynamic_stack: false
    .vgpr_count:     11
    .vgpr_spill_count: 0
    .wavefront_size: 32
    .workgroup_processor_mode: 1
  - .args:
      - .offset:         0
        .size:           4
        .value_kind:     by_value
      - .actual_access:  read_only
        .address_space:  global
        .offset:         8
        .size:           8
        .value_kind:     global_buffer
      - .offset:         16
        .size:           8
        .value_kind:     by_value
      - .offset:         24
        .size:           8
        .value_kind:     by_value
      - .offset:         32
        .size:           8
        .value_kind:     by_value
      - .offset:         40
        .size:           4
        .value_kind:     by_value
      - .actual_access:  write_only
        .address_space:  global
        .offset:         48
        .size:           8
        .value_kind:     global_buffer
      - .actual_access:  write_only
        .address_space:  global
        .offset:         56
        .size:           8
        .value_kind:     global_buffer
      - .offset:         64
        .size:           4
        .value_kind:     hidden_block_count_x
      - .offset:         68
        .size:           4
        .value_kind:     hidden_block_count_y
      - .offset:         72
        .size:           4
        .value_kind:     hidden_block_count_z
      - .offset:         76
        .size:           2
        .value_kind:     hidden_group_size_x
      - .offset:         78
        .size:           2
        .value_kind:     hidden_group_size_y
      - .offset:         80
        .size:           2
        .value_kind:     hidden_group_size_z
      - .offset:         82
        .size:           2
        .value_kind:     hidden_remainder_x
      - .offset:         84
        .size:           2
        .value_kind:     hidden_remainder_y
      - .offset:         86
        .size:           2
        .value_kind:     hidden_remainder_z
      - .offset:         104
        .size:           8
        .value_kind:     hidden_global_offset_x
      - .offset:         112
        .size:           8
        .value_kind:     hidden_global_offset_y
      - .offset:         120
        .size:           8
        .value_kind:     hidden_global_offset_z
      - .offset:         128
        .size:           2
        .value_kind:     hidden_grid_dims
    .group_segment_fixed_size: 64
    .kernarg_segment_align: 8
    .kernarg_segment_size: 320
    .language:       OpenCL C
    .language_version:
      - 2
      - 0
    .max_flat_workgroup_size: 512
    .name:           _ZL24rocblas_dot_kernel_magsqIlLb0ELi512ELi4ELb1EfPKDF16_DF16_EviT5_lT_liPT6_PT4_
    .private_segment_fixed_size: 0
    .sgpr_count:     24
    .sgpr_spill_count: 0
    .symbol:         _ZL24rocblas_dot_kernel_magsqIlLb0ELi512ELi4ELb1EfPKDF16_DF16_EviT5_lT_liPT6_PT4_.kd
    .uniform_work_group_size: 1
    .uses_dynamic_stack: false
    .vgpr_count:     10
    .vgpr_spill_count: 0
    .wavefront_size: 32
    .workgroup_processor_mode: 1
  - .args:
      - .offset:         0
        .size:           4
        .value_kind:     by_value
      - .actual_access:  read_only
        .address_space:  global
        .offset:         8
        .size:           8
        .value_kind:     global_buffer
      - .actual_access:  write_only
        .address_space:  global
        .offset:         16
        .size:           8
        .value_kind:     global_buffer
    .group_segment_fixed_size: 64
    .kernarg_segment_align: 8
    .kernarg_segment_size: 24
    .language:       OpenCL C
    .language_version:
      - 2
      - 0
    .max_flat_workgroup_size: 512
    .name:           _ZL30rocblas_reduction_kernel_part2ILi512ELi4E25rocblas_finalize_identityDF16_fEviPT2_PT3_
    .private_segment_fixed_size: 0
    .sgpr_count:     18
    .sgpr_spill_count: 0
    .symbol:         _ZL30rocblas_reduction_kernel_part2ILi512ELi4E25rocblas_finalize_identityDF16_fEviPT2_PT3_.kd
    .uniform_work_group_size: 1
    .uses_dynamic_stack: false
    .vgpr_count:     10
    .vgpr_spill_count: 0
    .wavefront_size: 32
    .workgroup_processor_mode: 1
  - .args:
      - .offset:         0
        .size:           4
        .value_kind:     by_value
      - .actual_access:  read_only
        .address_space:  global
        .offset:         8
        .size:           8
        .value_kind:     global_buffer
      - .offset:         16
        .size:           8
        .value_kind:     by_value
      - .offset:         24
        .size:           8
        .value_kind:     by_value
      - .offset:         32
        .size:           8
        .value_kind:     by_value
      - .actual_access:  read_only
        .address_space:  global
        .offset:         40
        .size:           8
        .value_kind:     global_buffer
      - .offset:         48
        .size:           8
        .value_kind:     by_value
      - .offset:         56
        .size:           8
        .value_kind:     by_value
      - .offset:         64
        .size:           8
        .value_kind:     by_value
      - .offset:         72
        .size:           4
        .value_kind:     by_value
      - .actual_access:  write_only
        .address_space:  global
        .offset:         80
        .size:           8
        .value_kind:     global_buffer
    .group_segment_fixed_size: 0
    .kernarg_segment_align: 8
    .kernarg_segment_size: 88
    .language:       OpenCL C
    .language_version:
      - 2
      - 0
    .max_flat_workgroup_size: 128
    .name:           _ZL28rocblas_dot_batched_4_kernelIlLi32ELi4ELb1EDF16_fPKPKDF16_EviT5_lT_lS4_lS5_liPT4_
    .private_segment_fixed_size: 0
    .sgpr_count:     18
    .sgpr_spill_count: 0
    .symbol:         _ZL28rocblas_dot_batched_4_kernelIlLi32ELi4ELb1EDF16_fPKPKDF16_EviT5_lT_lS4_lS5_liPT4_.kd
    .uniform_work_group_size: 1
    .uses_dynamic_stack: false
    .vgpr_count:     14
    .vgpr_spill_count: 0
    .wavefront_size: 32
    .workgroup_processor_mode: 1
  - .args:
      - .offset:         0
        .size:           4
        .value_kind:     by_value
      - .actual_access:  read_only
        .address_space:  global
        .offset:         8
        .size:           8
        .value_kind:     global_buffer
      - .offset:         16
        .size:           8
        .value_kind:     by_value
      - .offset:         24
        .size:           8
        .value_kind:     by_value
      - .offset:         32
        .size:           8
        .value_kind:     by_value
      - .actual_access:  read_only
        .address_space:  global
        .offset:         40
        .size:           8
        .value_kind:     global_buffer
      - .offset:         48
        .size:           8
        .value_kind:     by_value
      - .offset:         56
        .size:           8
        .value_kind:     by_value
      - .offset:         64
        .size:           8
        .value_kind:     by_value
      - .offset:         72
        .size:           4
        .value_kind:     by_value
      - .actual_access:  write_only
        .address_space:  global
        .offset:         80
        .size:           8
        .value_kind:     global_buffer
    .group_segment_fixed_size: 0
    .kernarg_segment_align: 8
    .kernarg_segment_size: 88
    .language:       OpenCL C
    .language_version:
      - 2
      - 0
    .max_flat_workgroup_size: 256
    .name:           _ZL28rocblas_dot_batched_4_kernelIlLi64ELi4ELb1EDF16_fPKPKDF16_EviT5_lT_lS4_lS5_liPT4_
    .private_segment_fixed_size: 0
    .sgpr_count:     18
    .sgpr_spill_count: 0
    .symbol:         _ZL28rocblas_dot_batched_4_kernelIlLi64ELi4ELb1EDF16_fPKPKDF16_EviT5_lT_lS4_lS5_liPT4_.kd
    .uniform_work_group_size: 1
    .uses_dynamic_stack: false
    .vgpr_count:     14
    .vgpr_spill_count: 0
    .wavefront_size: 32
    .workgroup_processor_mode: 1
  - .args:
      - .offset:         0
        .size:           4
        .value_kind:     by_value
      - .actual_access:  read_only
        .address_space:  global
        .offset:         8
        .size:           8
        .value_kind:     global_buffer
      - .offset:         16
        .size:           8
        .value_kind:     by_value
      - .offset:         24
        .size:           8
        .value_kind:     by_value
      - .actual_access:  read_only
        .address_space:  global
        .offset:         32
        .size:           8
        .value_kind:     global_buffer
      - .offset:         40
        .size:           8
        .value_kind:     by_value
      - .offset:         48
        .size:           8
        .value_kind:     by_value
      - .offset:         56
        .size:           4
        .value_kind:     by_value
      - .actual_access:  read_only
        .address_space:  global
        .offset:         64
        .size:           8
        .value_kind:     global_buffer
      - .actual_access:  write_only
        .address_space:  global
        .offset:         72
        .size:           8
        .value_kind:     global_buffer
    .group_segment_fixed_size: 64
    .kernarg_segment_align: 8
    .kernarg_segment_size: 80
    .language:       OpenCL C
    .language_version:
      - 2
      - 0
    .max_flat_workgroup_size: 1024
    .name:           _ZL26rocblas_dot_kernel_inc1by2ILb1ELi1024ELi32ELb1EfPKPKDF16_DF16_EviT4_llS4_lliPT5_PT3_
    .private_segment_fixed_size: 0
    .sgpr_count:     21
    .sgpr_spill_count: 0
    .symbol:         _ZL26rocblas_dot_kernel_inc1by2ILb1ELi1024ELi32ELb1EfPKPKDF16_DF16_EviT4_llS4_lliPT5_PT3_.kd
    .uniform_work_group_size: 1
    .uses_dynamic_stack: false
    .vgpr_count:     11
    .vgpr_spill_count: 0
    .wavefront_size: 32
    .workgroup_processor_mode: 1
  - .args:
      - .offset:         0
        .size:           4
        .value_kind:     by_value
      - .actual_access:  read_only
        .address_space:  global
        .offset:         8
        .size:           8
        .value_kind:     global_buffer
      - .offset:         16
        .size:           8
        .value_kind:     by_value
      - .offset:         24
        .size:           8
        .value_kind:     by_value
      - .offset:         32
        .size:           8
        .value_kind:     by_value
      - .actual_access:  read_only
        .address_space:  global
        .offset:         40
        .size:           8
        .value_kind:     global_buffer
      - .offset:         48
        .size:           8
        .value_kind:     by_value
      - .offset:         56
        .size:           8
        .value_kind:     by_value
      - .offset:         64
        .size:           8
        .value_kind:     by_value
      - .offset:         72
        .size:           4
        .value_kind:     by_value
      - .actual_access:  read_only
        .address_space:  global
        .offset:         80
        .size:           8
        .value_kind:     global_buffer
      - .actual_access:  write_only
        .address_space:  global
        .offset:         88
        .size:           8
        .value_kind:     global_buffer
      - .offset:         96
        .size:           4
        .value_kind:     hidden_block_count_x
      - .offset:         100
        .size:           4
        .value_kind:     hidden_block_count_y
      - .offset:         104
        .size:           4
        .value_kind:     hidden_block_count_z
      - .offset:         108
        .size:           2
        .value_kind:     hidden_group_size_x
      - .offset:         110
        .size:           2
        .value_kind:     hidden_group_size_y
      - .offset:         112
        .size:           2
        .value_kind:     hidden_group_size_z
      - .offset:         114
        .size:           2
        .value_kind:     hidden_remainder_x
      - .offset:         116
        .size:           2
        .value_kind:     hidden_remainder_y
      - .offset:         118
        .size:           2
        .value_kind:     hidden_remainder_z
      - .offset:         136
        .size:           8
        .value_kind:     hidden_global_offset_x
      - .offset:         144
        .size:           8
        .value_kind:     hidden_global_offset_y
      - .offset:         152
        .size:           8
        .value_kind:     hidden_global_offset_z
      - .offset:         160
        .size:           2
        .value_kind:     hidden_grid_dims
    .group_segment_fixed_size: 64
    .kernarg_segment_align: 8
    .kernarg_segment_size: 352
    .language:       OpenCL C
    .language_version:
      - 2
      - 0
    .max_flat_workgroup_size: 1024
    .name:           _ZL18rocblas_dot_kernelIlLb1ELi1024ELi32ELb1EfPKPKDF16_DF16_EviT5_lT_lS4_lS5_liPT6_PT4_
    .private_segment_fixed_size: 0
    .sgpr_count:     27
    .sgpr_spill_count: 0
    .symbol:         _ZL18rocblas_dot_kernelIlLb1ELi1024ELi32ELb1EfPKPKDF16_DF16_EviT5_lT_lS4_lS5_liPT6_PT4_.kd
    .uniform_work_group_size: 1
    .uses_dynamic_stack: false
    .vgpr_count:     11
    .vgpr_spill_count: 0
    .wavefront_size: 32
    .workgroup_processor_mode: 1
  - .args:
      - .offset:         0
        .size:           4
        .value_kind:     by_value
      - .actual_access:  read_only
        .address_space:  global
        .offset:         8
        .size:           8
        .value_kind:     global_buffer
      - .offset:         16
        .size:           8
        .value_kind:     by_value
      - .offset:         24
        .size:           8
        .value_kind:     by_value
      - .offset:         32
        .size:           8
        .value_kind:     by_value
      - .offset:         40
        .size:           4
        .value_kind:     by_value
      - .actual_access:  read_only
        .address_space:  global
        .offset:         48
        .size:           8
        .value_kind:     global_buffer
      - .actual_access:  write_only
        .address_space:  global
        .offset:         56
        .size:           8
        .value_kind:     global_buffer
      - .offset:         64
        .size:           4
        .value_kind:     hidden_block_count_x
      - .offset:         68
        .size:           4
        .value_kind:     hidden_block_count_y
      - .offset:         72
        .size:           4
        .value_kind:     hidden_block_count_z
      - .offset:         76
        .size:           2
        .value_kind:     hidden_group_size_x
      - .offset:         78
        .size:           2
        .value_kind:     hidden_group_size_y
      - .offset:         80
        .size:           2
        .value_kind:     hidden_group_size_z
      - .offset:         82
        .size:           2
        .value_kind:     hidden_remainder_x
      - .offset:         84
        .size:           2
        .value_kind:     hidden_remainder_y
      - .offset:         86
        .size:           2
        .value_kind:     hidden_remainder_z
      - .offset:         104
        .size:           8
        .value_kind:     hidden_global_offset_x
      - .offset:         112
        .size:           8
        .value_kind:     hidden_global_offset_y
      - .offset:         120
        .size:           8
        .value_kind:     hidden_global_offset_z
      - .offset:         128
        .size:           2
        .value_kind:     hidden_grid_dims
    .group_segment_fixed_size: 64
    .kernarg_segment_align: 8
    .kernarg_segment_size: 320
    .language:       OpenCL C
    .language_version:
      - 2
      - 0
    .max_flat_workgroup_size: 1024
    .name:           _ZL24rocblas_dot_kernel_magsqIlLb1ELi1024ELi32ELb1EfPKPKDF16_DF16_EviT5_lT_liPT6_PT4_
    .private_segment_fixed_size: 0
    .sgpr_count:     19
    .sgpr_spill_count: 0
    .symbol:         _ZL24rocblas_dot_kernel_magsqIlLb1ELi1024ELi32ELb1EfPKPKDF16_DF16_EviT5_lT_liPT6_PT4_.kd
    .uniform_work_group_size: 1
    .uses_dynamic_stack: false
    .vgpr_count:     11
    .vgpr_spill_count: 0
    .wavefront_size: 32
    .workgroup_processor_mode: 1
  - .args:
      - .offset:         0
        .size:           4
        .value_kind:     by_value
      - .actual_access:  read_only
        .address_space:  global
        .offset:         8
        .size:           8
        .value_kind:     global_buffer
      - .offset:         16
        .size:           8
        .value_kind:     by_value
      - .offset:         24
        .size:           8
        .value_kind:     by_value
      - .offset:         32
        .size:           8
        .value_kind:     by_value
      - .actual_access:  read_only
        .address_space:  global
        .offset:         40
        .size:           8
        .value_kind:     global_buffer
      - .offset:         48
        .size:           8
        .value_kind:     by_value
      - .offset:         56
        .size:           8
        .value_kind:     by_value
      - .offset:         64
        .size:           8
        .value_kind:     by_value
      - .actual_access:  read_only
        .address_space:  global
        .offset:         72
        .size:           8
        .value_kind:     global_buffer
      - .actual_access:  read_only
        .address_space:  global
        .offset:         80
        .size:           8
        .value_kind:     global_buffer
    .group_segment_fixed_size: 0
    .kernarg_segment_align: 8
    .kernarg_segment_size: 88
    .language:       OpenCL C
    .language_version:
      - 2
      - 0
    .max_flat_workgroup_size: 1024
    .name:           _ZL38rocblas_dot_kernel_gfx942_float_doubleIlLi1024EfPKPKDF16_DF16_EviT2_lT_lS4_lS5_lPT3_PT1_
    .private_segment_fixed_size: 0
    .sgpr_count:     0
    .sgpr_spill_count: 0
    .symbol:         _ZL38rocblas_dot_kernel_gfx942_float_doubleIlLi1024EfPKPKDF16_DF16_EviT2_lT_lS4_lS5_lPT3_PT1_.kd
    .uniform_work_group_size: 1
    .uses_dynamic_stack: false
    .vgpr_count:     0
    .vgpr_spill_count: 0
    .wavefront_size: 32
    .workgroup_processor_mode: 1
  - .args:
      - .offset:         0
        .size:           4
        .value_kind:     by_value
      - .actual_access:  read_only
        .address_space:  global
        .offset:         8
        .size:           8
        .value_kind:     global_buffer
      - .offset:         16
        .size:           8
        .value_kind:     by_value
      - .offset:         24
        .size:           8
        .value_kind:     by_value
      - .actual_access:  read_only
        .address_space:  global
        .offset:         32
        .size:           8
        .value_kind:     global_buffer
      - .offset:         40
        .size:           8
        .value_kind:     by_value
      - .offset:         48
        .size:           8
        .value_kind:     by_value
      - .offset:         56
        .size:           4
        .value_kind:     by_value
      - .actual_access:  write_only
        .address_space:  global
        .offset:         64
        .size:           8
        .value_kind:     global_buffer
      - .actual_access:  write_only
        .address_space:  global
        .offset:         72
        .size:           8
        .value_kind:     global_buffer
      - .offset:         80
        .size:           4
        .value_kind:     hidden_block_count_x
      - .offset:         84
        .size:           4
        .value_kind:     hidden_block_count_y
      - .offset:         88
        .size:           4
        .value_kind:     hidden_block_count_z
      - .offset:         92
        .size:           2
        .value_kind:     hidden_group_size_x
      - .offset:         94
        .size:           2
        .value_kind:     hidden_group_size_y
      - .offset:         96
        .size:           2
        .value_kind:     hidden_group_size_z
      - .offset:         98
        .size:           2
        .value_kind:     hidden_remainder_x
      - .offset:         100
        .size:           2
        .value_kind:     hidden_remainder_y
      - .offset:         102
        .size:           2
        .value_kind:     hidden_remainder_z
      - .offset:         120
        .size:           8
        .value_kind:     hidden_global_offset_x
      - .offset:         128
        .size:           8
        .value_kind:     hidden_global_offset_y
      - .offset:         136
        .size:           8
        .value_kind:     hidden_global_offset_z
      - .offset:         144
        .size:           2
        .value_kind:     hidden_grid_dims
    .group_segment_fixed_size: 64
    .kernarg_segment_align: 8
    .kernarg_segment_size: 336
    .language:       OpenCL C
    .language_version:
      - 2
      - 0
    .max_flat_workgroup_size: 512
    .name:           _ZL23rocblas_dot_kernel_inc1ILb0ELi512ELi4ELb1EfPKPKDF16_DF16_EviT4_llS4_lliPT5_PT3_
    .private_segment_fixed_size: 0
    .sgpr_count:     26
    .sgpr_spill_count: 0
    .symbol:         _ZL23rocblas_dot_kernel_inc1ILb0ELi512ELi4ELb1EfPKPKDF16_DF16_EviT4_llS4_lliPT5_PT3_.kd
    .uniform_work_group_size: 1
    .uses_dynamic_stack: false
    .vgpr_count:     10
    .vgpr_spill_count: 0
    .wavefront_size: 32
    .workgroup_processor_mode: 1
  - .args:
      - .offset:         0
        .size:           4
        .value_kind:     by_value
      - .actual_access:  read_only
        .address_space:  global
        .offset:         8
        .size:           8
        .value_kind:     global_buffer
      - .offset:         16
        .size:           8
        .value_kind:     by_value
      - .offset:         24
        .size:           8
        .value_kind:     by_value
      - .offset:         32
        .size:           8
        .value_kind:     by_value
      - .actual_access:  read_only
        .address_space:  global
        .offset:         40
        .size:           8
        .value_kind:     global_buffer
      - .offset:         48
        .size:           8
        .value_kind:     by_value
      - .offset:         56
        .size:           8
        .value_kind:     by_value
      - .offset:         64
        .size:           8
        .value_kind:     by_value
      - .offset:         72
        .size:           4
        .value_kind:     by_value
      - .actual_access:  write_only
        .address_space:  global
        .offset:         80
        .size:           8
        .value_kind:     global_buffer
      - .actual_access:  write_only
        .address_space:  global
        .offset:         88
        .size:           8
        .value_kind:     global_buffer
      - .offset:         96
        .size:           4
        .value_kind:     hidden_block_count_x
      - .offset:         100
        .size:           4
        .value_kind:     hidden_block_count_y
      - .offset:         104
        .size:           4
        .value_kind:     hidden_block_count_z
      - .offset:         108
        .size:           2
        .value_kind:     hidden_group_size_x
      - .offset:         110
        .size:           2
        .value_kind:     hidden_group_size_y
      - .offset:         112
        .size:           2
        .value_kind:     hidden_group_size_z
      - .offset:         114
        .size:           2
        .value_kind:     hidden_remainder_x
      - .offset:         116
        .size:           2
        .value_kind:     hidden_remainder_y
      - .offset:         118
        .size:           2
        .value_kind:     hidden_remainder_z
      - .offset:         136
        .size:           8
        .value_kind:     hidden_global_offset_x
      - .offset:         144
        .size:           8
        .value_kind:     hidden_global_offset_y
      - .offset:         152
        .size:           8
        .value_kind:     hidden_global_offset_z
      - .offset:         160
        .size:           2
        .value_kind:     hidden_grid_dims
    .group_segment_fixed_size: 64
    .kernarg_segment_align: 8
    .kernarg_segment_size: 352
    .language:       OpenCL C
    .language_version:
      - 2
      - 0
    .max_flat_workgroup_size: 512
    .name:           _ZL18rocblas_dot_kernelIlLb0ELi512ELi4ELb1EfPKPKDF16_DF16_EviT5_lT_lS4_lS5_liPT6_PT4_
    .private_segment_fixed_size: 0
    .sgpr_count:     31
    .sgpr_spill_count: 0
    .symbol:         _ZL18rocblas_dot_kernelIlLb0ELi512ELi4ELb1EfPKPKDF16_DF16_EviT5_lT_lS4_lS5_liPT6_PT4_.kd
    .uniform_work_group_size: 1
    .uses_dynamic_stack: false
    .vgpr_count:     12
    .vgpr_spill_count: 0
    .wavefront_size: 32
    .workgroup_processor_mode: 1
  - .args:
      - .offset:         0
        .size:           4
        .value_kind:     by_value
      - .actual_access:  read_only
        .address_space:  global
        .offset:         8
        .size:           8
        .value_kind:     global_buffer
      - .offset:         16
        .size:           8
        .value_kind:     by_value
      - .offset:         24
        .size:           8
        .value_kind:     by_value
      - .offset:         32
        .size:           8
        .value_kind:     by_value
      - .offset:         40
        .size:           4
        .value_kind:     by_value
      - .actual_access:  write_only
        .address_space:  global
        .offset:         48
        .size:           8
        .value_kind:     global_buffer
      - .actual_access:  write_only
        .address_space:  global
        .offset:         56
        .size:           8
        .value_kind:     global_buffer
      - .offset:         64
        .size:           4
        .value_kind:     hidden_block_count_x
      - .offset:         68
        .size:           4
        .value_kind:     hidden_block_count_y
      - .offset:         72
        .size:           4
        .value_kind:     hidden_block_count_z
      - .offset:         76
        .size:           2
        .value_kind:     hidden_group_size_x
      - .offset:         78
        .size:           2
        .value_kind:     hidden_group_size_y
      - .offset:         80
        .size:           2
        .value_kind:     hidden_group_size_z
      - .offset:         82
        .size:           2
        .value_kind:     hidden_remainder_x
      - .offset:         84
        .size:           2
        .value_kind:     hidden_remainder_y
      - .offset:         86
        .size:           2
        .value_kind:     hidden_remainder_z
      - .offset:         104
        .size:           8
        .value_kind:     hidden_global_offset_x
      - .offset:         112
        .size:           8
        .value_kind:     hidden_global_offset_y
      - .offset:         120
        .size:           8
        .value_kind:     hidden_global_offset_z
      - .offset:         128
        .size:           2
        .value_kind:     hidden_grid_dims
    .group_segment_fixed_size: 64
    .kernarg_segment_align: 8
    .kernarg_segment_size: 320
    .language:       OpenCL C
    .language_version:
      - 2
      - 0
    .max_flat_workgroup_size: 512
    .name:           _ZL24rocblas_dot_kernel_magsqIlLb0ELi512ELi4ELb1EfPKPKDF16_DF16_EviT5_lT_liPT6_PT4_
    .private_segment_fixed_size: 0
    .sgpr_count:     22
    .sgpr_spill_count: 0
    .symbol:         _ZL24rocblas_dot_kernel_magsqIlLb0ELi512ELi4ELb1EfPKPKDF16_DF16_EviT5_lT_liPT6_PT4_.kd
    .uniform_work_group_size: 1
    .uses_dynamic_stack: false
    .vgpr_count:     10
    .vgpr_spill_count: 0
    .wavefront_size: 32
    .workgroup_processor_mode: 1
  - .args:
      - .offset:         0
        .size:           4
        .value_kind:     by_value
      - .actual_access:  read_only
        .address_space:  global
        .offset:         8
        .size:           8
        .value_kind:     global_buffer
      - .offset:         16
        .size:           8
        .value_kind:     by_value
      - .offset:         24
        .size:           8
        .value_kind:     by_value
      - .offset:         32
        .size:           8
        .value_kind:     by_value
      - .actual_access:  read_only
        .address_space:  global
        .offset:         40
        .size:           8
        .value_kind:     global_buffer
      - .offset:         48
        .size:           8
        .value_kind:     by_value
      - .offset:         56
        .size:           8
        .value_kind:     by_value
      - .offset:         64
        .size:           8
        .value_kind:     by_value
      - .offset:         72
        .size:           4
        .value_kind:     by_value
      - .actual_access:  write_only
        .address_space:  global
        .offset:         80
        .size:           8
        .value_kind:     global_buffer
    .group_segment_fixed_size: 0
    .kernarg_segment_align: 8
    .kernarg_segment_size: 88
    .language:       OpenCL C
    .language_version:
      - 2
      - 0
    .max_flat_workgroup_size: 128
    .name:           _ZL28rocblas_dot_batched_4_kernelIlLi32ELi4ELb1EffPK16rocblas_bfloat16EviT5_lT_lS3_lS4_liPT4_
    .private_segment_fixed_size: 0
    .sgpr_count:     22
    .sgpr_spill_count: 0
    .symbol:         _ZL28rocblas_dot_batched_4_kernelIlLi32ELi4ELb1EffPK16rocblas_bfloat16EviT5_lT_lS3_lS4_liPT4_.kd
    .uniform_work_group_size: 1
    .uses_dynamic_stack: false
    .vgpr_count:     17
    .vgpr_spill_count: 0
    .wavefront_size: 32
    .workgroup_processor_mode: 1
  - .args:
      - .offset:         0
        .size:           4
        .value_kind:     by_value
      - .actual_access:  read_only
        .address_space:  global
        .offset:         8
        .size:           8
        .value_kind:     global_buffer
      - .offset:         16
        .size:           8
        .value_kind:     by_value
      - .offset:         24
        .size:           8
        .value_kind:     by_value
      - .offset:         32
        .size:           8
        .value_kind:     by_value
      - .actual_access:  read_only
        .address_space:  global
        .offset:         40
        .size:           8
        .value_kind:     global_buffer
      - .offset:         48
        .size:           8
        .value_kind:     by_value
      - .offset:         56
        .size:           8
        .value_kind:     by_value
      - .offset:         64
        .size:           8
        .value_kind:     by_value
      - .offset:         72
        .size:           4
        .value_kind:     by_value
      - .actual_access:  write_only
        .address_space:  global
        .offset:         80
        .size:           8
        .value_kind:     global_buffer
    .group_segment_fixed_size: 0
    .kernarg_segment_align: 8
    .kernarg_segment_size: 88
    .language:       OpenCL C
    .language_version:
      - 2
      - 0
    .max_flat_workgroup_size: 256
    .name:           _ZL28rocblas_dot_batched_4_kernelIlLi64ELi4ELb1EffPK16rocblas_bfloat16EviT5_lT_lS3_lS4_liPT4_
    .private_segment_fixed_size: 0
    .sgpr_count:     22
    .sgpr_spill_count: 0
    .symbol:         _ZL28rocblas_dot_batched_4_kernelIlLi64ELi4ELb1EffPK16rocblas_bfloat16EviT5_lT_lS3_lS4_liPT4_.kd
    .uniform_work_group_size: 1
    .uses_dynamic_stack: false
    .vgpr_count:     17
    .vgpr_spill_count: 0
    .wavefront_size: 32
    .workgroup_processor_mode: 1
  - .args:
      - .offset:         0
        .size:           4
        .value_kind:     by_value
      - .actual_access:  read_only
        .address_space:  global
        .offset:         8
        .size:           8
        .value_kind:     global_buffer
      - .offset:         16
        .size:           8
        .value_kind:     by_value
      - .offset:         24
        .size:           8
        .value_kind:     by_value
      - .actual_access:  read_only
        .address_space:  global
        .offset:         32
        .size:           8
        .value_kind:     global_buffer
      - .offset:         40
        .size:           8
        .value_kind:     by_value
      - .offset:         48
        .size:           8
        .value_kind:     by_value
      - .offset:         56
        .size:           4
        .value_kind:     by_value
      - .actual_access:  read_only
        .address_space:  global
        .offset:         64
        .size:           8
        .value_kind:     global_buffer
      - .actual_access:  write_only
        .address_space:  global
        .offset:         72
        .size:           8
        .value_kind:     global_buffer
    .group_segment_fixed_size: 128
    .kernarg_segment_align: 8
    .kernarg_segment_size: 80
    .language:       OpenCL C
    .language_version:
      - 2
      - 0
    .max_flat_workgroup_size: 1024
    .name:           _ZL26rocblas_dot_kernel_inc1by2ILb1ELi1024ELi32ELb1EfPK16rocblas_bfloat16fEviT4_llS3_lliPT5_PT3_
    .private_segment_fixed_size: 0
    .sgpr_count:     26
    .sgpr_spill_count: 0
    .symbol:         _ZL26rocblas_dot_kernel_inc1by2ILb1ELi1024ELi32ELb1EfPK16rocblas_bfloat16fEviT4_llS3_lliPT5_PT3_.kd
    .uniform_work_group_size: 1
    .uses_dynamic_stack: false
    .vgpr_count:     11
    .vgpr_spill_count: 0
    .wavefront_size: 32
    .workgroup_processor_mode: 1
  - .args:
      - .offset:         0
        .size:           4
        .value_kind:     by_value
      - .actual_access:  read_only
        .address_space:  global
        .offset:         8
        .size:           8
        .value_kind:     global_buffer
      - .offset:         16
        .size:           8
        .value_kind:     by_value
      - .offset:         24
        .size:           8
        .value_kind:     by_value
      - .offset:         32
        .size:           8
        .value_kind:     by_value
      - .actual_access:  read_only
        .address_space:  global
        .offset:         40
        .size:           8
        .value_kind:     global_buffer
      - .offset:         48
        .size:           8
        .value_kind:     by_value
      - .offset:         56
        .size:           8
        .value_kind:     by_value
      - .offset:         64
        .size:           8
        .value_kind:     by_value
      - .offset:         72
        .size:           4
        .value_kind:     by_value
      - .actual_access:  read_only
        .address_space:  global
        .offset:         80
        .size:           8
        .value_kind:     global_buffer
      - .actual_access:  write_only
        .address_space:  global
        .offset:         88
        .size:           8
        .value_kind:     global_buffer
      - .offset:         96
        .size:           4
        .value_kind:     hidden_block_count_x
      - .offset:         100
        .size:           4
        .value_kind:     hidden_block_count_y
      - .offset:         104
        .size:           4
        .value_kind:     hidden_block_count_z
      - .offset:         108
        .size:           2
        .value_kind:     hidden_group_size_x
      - .offset:         110
        .size:           2
        .value_kind:     hidden_group_size_y
      - .offset:         112
        .size:           2
        .value_kind:     hidden_group_size_z
      - .offset:         114
        .size:           2
        .value_kind:     hidden_remainder_x
      - .offset:         116
        .size:           2
        .value_kind:     hidden_remainder_y
      - .offset:         118
        .size:           2
        .value_kind:     hidden_remainder_z
      - .offset:         136
        .size:           8
        .value_kind:     hidden_global_offset_x
      - .offset:         144
        .size:           8
        .value_kind:     hidden_global_offset_y
      - .offset:         152
        .size:           8
        .value_kind:     hidden_global_offset_z
      - .offset:         160
        .size:           2
        .value_kind:     hidden_grid_dims
    .group_segment_fixed_size: 128
    .kernarg_segment_align: 8
    .kernarg_segment_size: 352
    .language:       OpenCL C
    .language_version:
      - 2
      - 0
    .max_flat_workgroup_size: 1024
    .name:           _ZL18rocblas_dot_kernelIlLb1ELi1024ELi32ELb1EfPK16rocblas_bfloat16fEviT5_lT_lS3_lS4_liPT6_PT4_
    .private_segment_fixed_size: 0
    .sgpr_count:     29
    .sgpr_spill_count: 0
    .symbol:         _ZL18rocblas_dot_kernelIlLb1ELi1024ELi32ELb1EfPK16rocblas_bfloat16fEviT5_lT_lS3_lS4_liPT6_PT4_.kd
    .uniform_work_group_size: 1
    .uses_dynamic_stack: false
    .vgpr_count:     11
    .vgpr_spill_count: 0
    .wavefront_size: 32
    .workgroup_processor_mode: 1
  - .args:
      - .offset:         0
        .size:           4
        .value_kind:     by_value
      - .actual_access:  read_only
        .address_space:  global
        .offset:         8
        .size:           8
        .value_kind:     global_buffer
      - .offset:         16
        .size:           8
        .value_kind:     by_value
      - .offset:         24
        .size:           8
        .value_kind:     by_value
      - .offset:         32
        .size:           8
        .value_kind:     by_value
      - .offset:         40
        .size:           4
        .value_kind:     by_value
      - .actual_access:  read_only
        .address_space:  global
        .offset:         48
        .size:           8
        .value_kind:     global_buffer
      - .actual_access:  write_only
        .address_space:  global
        .offset:         56
        .size:           8
        .value_kind:     global_buffer
      - .offset:         64
        .size:           4
        .value_kind:     hidden_block_count_x
      - .offset:         68
        .size:           4
        .value_kind:     hidden_block_count_y
      - .offset:         72
        .size:           4
        .value_kind:     hidden_block_count_z
      - .offset:         76
        .size:           2
        .value_kind:     hidden_group_size_x
      - .offset:         78
        .size:           2
        .value_kind:     hidden_group_size_y
      - .offset:         80
        .size:           2
        .value_kind:     hidden_group_size_z
      - .offset:         82
        .size:           2
        .value_kind:     hidden_remainder_x
      - .offset:         84
        .size:           2
        .value_kind:     hidden_remainder_y
      - .offset:         86
        .size:           2
        .value_kind:     hidden_remainder_z
      - .offset:         104
        .size:           8
        .value_kind:     hidden_global_offset_x
      - .offset:         112
        .size:           8
        .value_kind:     hidden_global_offset_y
      - .offset:         120
        .size:           8
        .value_kind:     hidden_global_offset_z
      - .offset:         128
        .size:           2
        .value_kind:     hidden_grid_dims
    .group_segment_fixed_size: 128
    .kernarg_segment_align: 8
    .kernarg_segment_size: 320
    .language:       OpenCL C
    .language_version:
      - 2
      - 0
    .max_flat_workgroup_size: 1024
    .name:           _ZL24rocblas_dot_kernel_magsqIlLb1ELi1024ELi32ELb1EfPK16rocblas_bfloat16fEviT5_lT_liPT6_PT4_
    .private_segment_fixed_size: 0
    .sgpr_count:     19
    .sgpr_spill_count: 0
    .symbol:         _ZL24rocblas_dot_kernel_magsqIlLb1ELi1024ELi32ELb1EfPK16rocblas_bfloat16fEviT5_lT_liPT6_PT4_.kd
    .uniform_work_group_size: 1
    .uses_dynamic_stack: false
    .vgpr_count:     10
    .vgpr_spill_count: 0
    .wavefront_size: 32
    .workgroup_processor_mode: 1
  - .args:
      - .offset:         0
        .size:           4
        .value_kind:     by_value
      - .actual_access:  read_only
        .address_space:  global
        .offset:         8
        .size:           8
        .value_kind:     global_buffer
      - .offset:         16
        .size:           8
        .value_kind:     by_value
      - .offset:         24
        .size:           8
        .value_kind:     by_value
      - .offset:         32
        .size:           8
        .value_kind:     by_value
      - .actual_access:  read_only
        .address_space:  global
        .offset:         40
        .size:           8
        .value_kind:     global_buffer
      - .offset:         48
        .size:           8
        .value_kind:     by_value
      - .offset:         56
        .size:           8
        .value_kind:     by_value
      - .offset:         64
        .size:           8
        .value_kind:     by_value
      - .actual_access:  read_only
        .address_space:  global
        .offset:         72
        .size:           8
        .value_kind:     global_buffer
      - .actual_access:  read_only
        .address_space:  global
        .offset:         80
        .size:           8
        .value_kind:     global_buffer
    .group_segment_fixed_size: 0
    .kernarg_segment_align: 8
    .kernarg_segment_size: 88
    .language:       OpenCL C
    .language_version:
      - 2
      - 0
    .max_flat_workgroup_size: 1024
    .name:           _ZL38rocblas_dot_kernel_gfx942_float_doubleIlLi1024EfPK16rocblas_bfloat16fEviT2_lT_lS3_lS4_lPT3_PT1_
    .private_segment_fixed_size: 0
    .sgpr_count:     0
    .sgpr_spill_count: 0
    .symbol:         _ZL38rocblas_dot_kernel_gfx942_float_doubleIlLi1024EfPK16rocblas_bfloat16fEviT2_lT_lS3_lS4_lPT3_PT1_.kd
    .uniform_work_group_size: 1
    .uses_dynamic_stack: false
    .vgpr_count:     0
    .vgpr_spill_count: 0
    .wavefront_size: 32
    .workgroup_processor_mode: 1
  - .args:
      - .offset:         0
        .size:           4
        .value_kind:     by_value
      - .actual_access:  read_only
        .address_space:  global
        .offset:         8
        .size:           8
        .value_kind:     global_buffer
      - .offset:         16
        .size:           8
        .value_kind:     by_value
      - .offset:         24
        .size:           8
        .value_kind:     by_value
      - .actual_access:  read_only
        .address_space:  global
        .offset:         32
        .size:           8
        .value_kind:     global_buffer
      - .offset:         40
        .size:           8
        .value_kind:     by_value
      - .offset:         48
        .size:           8
        .value_kind:     by_value
      - .offset:         56
        .size:           4
        .value_kind:     by_value
      - .actual_access:  write_only
        .address_space:  global
        .offset:         64
        .size:           8
        .value_kind:     global_buffer
      - .actual_access:  write_only
        .address_space:  global
        .offset:         72
        .size:           8
        .value_kind:     global_buffer
      - .offset:         80
        .size:           4
        .value_kind:     hidden_block_count_x
      - .offset:         84
        .size:           4
        .value_kind:     hidden_block_count_y
      - .offset:         88
        .size:           4
        .value_kind:     hidden_block_count_z
      - .offset:         92
        .size:           2
        .value_kind:     hidden_group_size_x
      - .offset:         94
        .size:           2
        .value_kind:     hidden_group_size_y
      - .offset:         96
        .size:           2
        .value_kind:     hidden_group_size_z
      - .offset:         98
        .size:           2
        .value_kind:     hidden_remainder_x
      - .offset:         100
        .size:           2
        .value_kind:     hidden_remainder_y
      - .offset:         102
        .size:           2
        .value_kind:     hidden_remainder_z
      - .offset:         120
        .size:           8
        .value_kind:     hidden_global_offset_x
      - .offset:         128
        .size:           8
        .value_kind:     hidden_global_offset_y
      - .offset:         136
        .size:           8
        .value_kind:     hidden_global_offset_z
      - .offset:         144
        .size:           2
        .value_kind:     hidden_grid_dims
    .group_segment_fixed_size: 128
    .kernarg_segment_align: 8
    .kernarg_segment_size: 336
    .language:       OpenCL C
    .language_version:
      - 2
      - 0
    .max_flat_workgroup_size: 512
    .name:           _ZL23rocblas_dot_kernel_inc1ILb0ELi512ELi4ELb1EfPK16rocblas_bfloat16fEviT4_llS3_lliPT5_PT3_
    .private_segment_fixed_size: 0
    .sgpr_count:     26
    .sgpr_spill_count: 0
    .symbol:         _ZL23rocblas_dot_kernel_inc1ILb0ELi512ELi4ELb1EfPK16rocblas_bfloat16fEviT4_llS3_lliPT5_PT3_.kd
    .uniform_work_group_size: 1
    .uses_dynamic_stack: false
    .vgpr_count:     9
    .vgpr_spill_count: 0
    .wavefront_size: 32
    .workgroup_processor_mode: 1
  - .args:
      - .offset:         0
        .size:           4
        .value_kind:     by_value
      - .actual_access:  read_only
        .address_space:  global
        .offset:         8
        .size:           8
        .value_kind:     global_buffer
      - .offset:         16
        .size:           8
        .value_kind:     by_value
      - .offset:         24
        .size:           8
        .value_kind:     by_value
      - .offset:         32
        .size:           8
        .value_kind:     by_value
      - .actual_access:  read_only
        .address_space:  global
        .offset:         40
        .size:           8
        .value_kind:     global_buffer
      - .offset:         48
        .size:           8
        .value_kind:     by_value
      - .offset:         56
        .size:           8
        .value_kind:     by_value
      - .offset:         64
        .size:           8
        .value_kind:     by_value
      - .offset:         72
        .size:           4
        .value_kind:     by_value
      - .actual_access:  write_only
        .address_space:  global
        .offset:         80
        .size:           8
        .value_kind:     global_buffer
      - .actual_access:  write_only
        .address_space:  global
        .offset:         88
        .size:           8
        .value_kind:     global_buffer
      - .offset:         96
        .size:           4
        .value_kind:     hidden_block_count_x
      - .offset:         100
        .size:           4
        .value_kind:     hidden_block_count_y
      - .offset:         104
        .size:           4
        .value_kind:     hidden_block_count_z
      - .offset:         108
        .size:           2
        .value_kind:     hidden_group_size_x
      - .offset:         110
        .size:           2
        .value_kind:     hidden_group_size_y
      - .offset:         112
        .size:           2
        .value_kind:     hidden_group_size_z
      - .offset:         114
        .size:           2
        .value_kind:     hidden_remainder_x
      - .offset:         116
        .size:           2
        .value_kind:     hidden_remainder_y
      - .offset:         118
        .size:           2
        .value_kind:     hidden_remainder_z
      - .offset:         136
        .size:           8
        .value_kind:     hidden_global_offset_x
      - .offset:         144
        .size:           8
        .value_kind:     hidden_global_offset_y
      - .offset:         152
        .size:           8
        .value_kind:     hidden_global_offset_z
      - .offset:         160
        .size:           2
        .value_kind:     hidden_grid_dims
    .group_segment_fixed_size: 128
    .kernarg_segment_align: 8
    .kernarg_segment_size: 352
    .language:       OpenCL C
    .language_version:
      - 2
      - 0
    .max_flat_workgroup_size: 512
    .name:           _ZL18rocblas_dot_kernelIlLb0ELi512ELi4ELb1EfPK16rocblas_bfloat16fEviT5_lT_lS3_lS4_liPT6_PT4_
    .private_segment_fixed_size: 0
    .sgpr_count:     30
    .sgpr_spill_count: 0
    .symbol:         _ZL18rocblas_dot_kernelIlLb0ELi512ELi4ELb1EfPK16rocblas_bfloat16fEviT5_lT_lS3_lS4_liPT6_PT4_.kd
    .uniform_work_group_size: 1
    .uses_dynamic_stack: false
    .vgpr_count:     11
    .vgpr_spill_count: 0
    .wavefront_size: 32
    .workgroup_processor_mode: 1
  - .args:
      - .offset:         0
        .size:           4
        .value_kind:     by_value
      - .actual_access:  read_only
        .address_space:  global
        .offset:         8
        .size:           8
        .value_kind:     global_buffer
      - .offset:         16
        .size:           8
        .value_kind:     by_value
      - .offset:         24
        .size:           8
        .value_kind:     by_value
      - .offset:         32
        .size:           8
        .value_kind:     by_value
      - .offset:         40
        .size:           4
        .value_kind:     by_value
      - .actual_access:  write_only
        .address_space:  global
        .offset:         48
        .size:           8
        .value_kind:     global_buffer
      - .actual_access:  write_only
        .address_space:  global
        .offset:         56
        .size:           8
        .value_kind:     global_buffer
      - .offset:         64
        .size:           4
        .value_kind:     hidden_block_count_x
      - .offset:         68
        .size:           4
        .value_kind:     hidden_block_count_y
      - .offset:         72
        .size:           4
        .value_kind:     hidden_block_count_z
      - .offset:         76
        .size:           2
        .value_kind:     hidden_group_size_x
      - .offset:         78
        .size:           2
        .value_kind:     hidden_group_size_y
      - .offset:         80
        .size:           2
        .value_kind:     hidden_group_size_z
      - .offset:         82
        .size:           2
        .value_kind:     hidden_remainder_x
      - .offset:         84
        .size:           2
        .value_kind:     hidden_remainder_y
      - .offset:         86
        .size:           2
        .value_kind:     hidden_remainder_z
      - .offset:         104
        .size:           8
        .value_kind:     hidden_global_offset_x
      - .offset:         112
        .size:           8
        .value_kind:     hidden_global_offset_y
      - .offset:         120
        .size:           8
        .value_kind:     hidden_global_offset_z
      - .offset:         128
        .size:           2
        .value_kind:     hidden_grid_dims
    .group_segment_fixed_size: 128
    .kernarg_segment_align: 8
    .kernarg_segment_size: 320
    .language:       OpenCL C
    .language_version:
      - 2
      - 0
    .max_flat_workgroup_size: 512
    .name:           _ZL24rocblas_dot_kernel_magsqIlLb0ELi512ELi4ELb1EfPK16rocblas_bfloat16fEviT5_lT_liPT6_PT4_
    .private_segment_fixed_size: 0
    .sgpr_count:     24
    .sgpr_spill_count: 0
    .symbol:         _ZL24rocblas_dot_kernel_magsqIlLb0ELi512ELi4ELb1EfPK16rocblas_bfloat16fEviT5_lT_liPT6_PT4_.kd
    .uniform_work_group_size: 1
    .uses_dynamic_stack: false
    .vgpr_count:     9
    .vgpr_spill_count: 0
    .wavefront_size: 32
    .workgroup_processor_mode: 1
  - .args:
      - .offset:         0
        .size:           4
        .value_kind:     by_value
      - .actual_access:  read_only
        .address_space:  global
        .offset:         8
        .size:           8
        .value_kind:     global_buffer
      - .offset:         16
        .size:           8
        .value_kind:     by_value
      - .offset:         24
        .size:           8
        .value_kind:     by_value
      - .offset:         32
        .size:           8
        .value_kind:     by_value
      - .actual_access:  read_only
        .address_space:  global
        .offset:         40
        .size:           8
        .value_kind:     global_buffer
      - .offset:         48
        .size:           8
        .value_kind:     by_value
      - .offset:         56
        .size:           8
        .value_kind:     by_value
      - .offset:         64
        .size:           8
        .value_kind:     by_value
      - .offset:         72
        .size:           4
        .value_kind:     by_value
      - .actual_access:  write_only
        .address_space:  global
        .offset:         80
        .size:           8
        .value_kind:     global_buffer
    .group_segment_fixed_size: 0
    .kernarg_segment_align: 8
    .kernarg_segment_size: 88
    .language:       OpenCL C
    .language_version:
      - 2
      - 0
    .max_flat_workgroup_size: 128
    .name:           _ZL28rocblas_dot_batched_4_kernelIlLi32ELi4ELb1EffPKPK16rocblas_bfloat16EviT5_lT_lS5_lS6_liPT4_
    .private_segment_fixed_size: 0
    .sgpr_count:     18
    .sgpr_spill_count: 0
    .symbol:         _ZL28rocblas_dot_batched_4_kernelIlLi32ELi4ELb1EffPKPK16rocblas_bfloat16EviT5_lT_lS5_lS6_liPT4_.kd
    .uniform_work_group_size: 1
    .uses_dynamic_stack: false
    .vgpr_count:     14
    .vgpr_spill_count: 0
    .wavefront_size: 32
    .workgroup_processor_mode: 1
  - .args:
      - .offset:         0
        .size:           4
        .value_kind:     by_value
      - .actual_access:  read_only
        .address_space:  global
        .offset:         8
        .size:           8
        .value_kind:     global_buffer
      - .offset:         16
        .size:           8
        .value_kind:     by_value
      - .offset:         24
        .size:           8
        .value_kind:     by_value
      - .offset:         32
        .size:           8
        .value_kind:     by_value
      - .actual_access:  read_only
        .address_space:  global
        .offset:         40
        .size:           8
        .value_kind:     global_buffer
      - .offset:         48
        .size:           8
        .value_kind:     by_value
      - .offset:         56
        .size:           8
        .value_kind:     by_value
      - .offset:         64
        .size:           8
        .value_kind:     by_value
      - .offset:         72
        .size:           4
        .value_kind:     by_value
      - .actual_access:  write_only
        .address_space:  global
        .offset:         80
        .size:           8
        .value_kind:     global_buffer
    .group_segment_fixed_size: 0
    .kernarg_segment_align: 8
    .kernarg_segment_size: 88
    .language:       OpenCL C
    .language_version:
      - 2
      - 0
    .max_flat_workgroup_size: 256
    .name:           _ZL28rocblas_dot_batched_4_kernelIlLi64ELi4ELb1EffPKPK16rocblas_bfloat16EviT5_lT_lS5_lS6_liPT4_
    .private_segment_fixed_size: 0
    .sgpr_count:     18
    .sgpr_spill_count: 0
    .symbol:         _ZL28rocblas_dot_batched_4_kernelIlLi64ELi4ELb1EffPKPK16rocblas_bfloat16EviT5_lT_lS5_lS6_liPT4_.kd
    .uniform_work_group_size: 1
    .uses_dynamic_stack: false
    .vgpr_count:     14
    .vgpr_spill_count: 0
    .wavefront_size: 32
    .workgroup_processor_mode: 1
  - .args:
      - .offset:         0
        .size:           4
        .value_kind:     by_value
      - .actual_access:  read_only
        .address_space:  global
        .offset:         8
        .size:           8
        .value_kind:     global_buffer
      - .offset:         16
        .size:           8
        .value_kind:     by_value
      - .offset:         24
        .size:           8
        .value_kind:     by_value
      - .actual_access:  read_only
        .address_space:  global
        .offset:         32
        .size:           8
        .value_kind:     global_buffer
      - .offset:         40
        .size:           8
        .value_kind:     by_value
      - .offset:         48
        .size:           8
        .value_kind:     by_value
      - .offset:         56
        .size:           4
        .value_kind:     by_value
      - .actual_access:  read_only
        .address_space:  global
        .offset:         64
        .size:           8
        .value_kind:     global_buffer
      - .actual_access:  write_only
        .address_space:  global
        .offset:         72
        .size:           8
        .value_kind:     global_buffer
    .group_segment_fixed_size: 128
    .kernarg_segment_align: 8
    .kernarg_segment_size: 80
    .language:       OpenCL C
    .language_version:
      - 2
      - 0
    .max_flat_workgroup_size: 1024
    .name:           _ZL26rocblas_dot_kernel_inc1by2ILb1ELi1024ELi32ELb1EfPKPK16rocblas_bfloat16fEviT4_llS5_lliPT5_PT3_
    .private_segment_fixed_size: 0
    .sgpr_count:     21
    .sgpr_spill_count: 0
    .symbol:         _ZL26rocblas_dot_kernel_inc1by2ILb1ELi1024ELi32ELb1EfPKPK16rocblas_bfloat16fEviT4_llS5_lliPT5_PT3_.kd
    .uniform_work_group_size: 1
    .uses_dynamic_stack: false
    .vgpr_count:     11
    .vgpr_spill_count: 0
    .wavefront_size: 32
    .workgroup_processor_mode: 1
  - .args:
      - .offset:         0
        .size:           4
        .value_kind:     by_value
      - .actual_access:  read_only
        .address_space:  global
        .offset:         8
        .size:           8
        .value_kind:     global_buffer
      - .offset:         16
        .size:           8
        .value_kind:     by_value
      - .offset:         24
        .size:           8
        .value_kind:     by_value
      - .offset:         32
        .size:           8
        .value_kind:     by_value
      - .actual_access:  read_only
        .address_space:  global
        .offset:         40
        .size:           8
        .value_kind:     global_buffer
      - .offset:         48
        .size:           8
        .value_kind:     by_value
      - .offset:         56
        .size:           8
        .value_kind:     by_value
      - .offset:         64
        .size:           8
        .value_kind:     by_value
      - .offset:         72
        .size:           4
        .value_kind:     by_value
      - .actual_access:  read_only
        .address_space:  global
        .offset:         80
        .size:           8
        .value_kind:     global_buffer
      - .actual_access:  write_only
        .address_space:  global
        .offset:         88
        .size:           8
        .value_kind:     global_buffer
      - .offset:         96
        .size:           4
        .value_kind:     hidden_block_count_x
      - .offset:         100
        .size:           4
        .value_kind:     hidden_block_count_y
      - .offset:         104
        .size:           4
        .value_kind:     hidden_block_count_z
      - .offset:         108
        .size:           2
        .value_kind:     hidden_group_size_x
      - .offset:         110
        .size:           2
        .value_kind:     hidden_group_size_y
      - .offset:         112
        .size:           2
        .value_kind:     hidden_group_size_z
      - .offset:         114
        .size:           2
        .value_kind:     hidden_remainder_x
      - .offset:         116
        .size:           2
        .value_kind:     hidden_remainder_y
      - .offset:         118
        .size:           2
        .value_kind:     hidden_remainder_z
      - .offset:         136
        .size:           8
        .value_kind:     hidden_global_offset_x
      - .offset:         144
        .size:           8
        .value_kind:     hidden_global_offset_y
      - .offset:         152
        .size:           8
        .value_kind:     hidden_global_offset_z
      - .offset:         160
        .size:           2
        .value_kind:     hidden_grid_dims
    .group_segment_fixed_size: 128
    .kernarg_segment_align: 8
    .kernarg_segment_size: 352
    .language:       OpenCL C
    .language_version:
      - 2
      - 0
    .max_flat_workgroup_size: 1024
    .name:           _ZL18rocblas_dot_kernelIlLb1ELi1024ELi32ELb1EfPKPK16rocblas_bfloat16fEviT5_lT_lS5_lS6_liPT6_PT4_
    .private_segment_fixed_size: 0
    .sgpr_count:     27
    .sgpr_spill_count: 0
    .symbol:         _ZL18rocblas_dot_kernelIlLb1ELi1024ELi32ELb1EfPKPK16rocblas_bfloat16fEviT5_lT_lS5_lS6_liPT6_PT4_.kd
    .uniform_work_group_size: 1
    .uses_dynamic_stack: false
    .vgpr_count:     10
    .vgpr_spill_count: 0
    .wavefront_size: 32
    .workgroup_processor_mode: 1
  - .args:
      - .offset:         0
        .size:           4
        .value_kind:     by_value
      - .actual_access:  read_only
        .address_space:  global
        .offset:         8
        .size:           8
        .value_kind:     global_buffer
      - .offset:         16
        .size:           8
        .value_kind:     by_value
      - .offset:         24
        .size:           8
        .value_kind:     by_value
      - .offset:         32
        .size:           8
        .value_kind:     by_value
      - .offset:         40
        .size:           4
        .value_kind:     by_value
      - .actual_access:  read_only
        .address_space:  global
        .offset:         48
        .size:           8
        .value_kind:     global_buffer
      - .actual_access:  write_only
        .address_space:  global
        .offset:         56
        .size:           8
        .value_kind:     global_buffer
      - .offset:         64
        .size:           4
        .value_kind:     hidden_block_count_x
      - .offset:         68
        .size:           4
        .value_kind:     hidden_block_count_y
      - .offset:         72
        .size:           4
        .value_kind:     hidden_block_count_z
      - .offset:         76
        .size:           2
        .value_kind:     hidden_group_size_x
      - .offset:         78
        .size:           2
        .value_kind:     hidden_group_size_y
      - .offset:         80
        .size:           2
        .value_kind:     hidden_group_size_z
      - .offset:         82
        .size:           2
        .value_kind:     hidden_remainder_x
      - .offset:         84
        .size:           2
        .value_kind:     hidden_remainder_y
      - .offset:         86
        .size:           2
        .value_kind:     hidden_remainder_z
      - .offset:         104
        .size:           8
        .value_kind:     hidden_global_offset_x
      - .offset:         112
        .size:           8
        .value_kind:     hidden_global_offset_y
      - .offset:         120
        .size:           8
        .value_kind:     hidden_global_offset_z
      - .offset:         128
        .size:           2
        .value_kind:     hidden_grid_dims
    .group_segment_fixed_size: 128
    .kernarg_segment_align: 8
    .kernarg_segment_size: 320
    .language:       OpenCL C
    .language_version:
      - 2
      - 0
    .max_flat_workgroup_size: 1024
    .name:           _ZL24rocblas_dot_kernel_magsqIlLb1ELi1024ELi32ELb1EfPKPK16rocblas_bfloat16fEviT5_lT_liPT6_PT4_
    .private_segment_fixed_size: 0
    .sgpr_count:     19
    .sgpr_spill_count: 0
    .symbol:         _ZL24rocblas_dot_kernel_magsqIlLb1ELi1024ELi32ELb1EfPKPK16rocblas_bfloat16fEviT5_lT_liPT6_PT4_.kd
    .uniform_work_group_size: 1
    .uses_dynamic_stack: false
    .vgpr_count:     10
    .vgpr_spill_count: 0
    .wavefront_size: 32
    .workgroup_processor_mode: 1
  - .args:
      - .offset:         0
        .size:           4
        .value_kind:     by_value
      - .actual_access:  read_only
        .address_space:  global
        .offset:         8
        .size:           8
        .value_kind:     global_buffer
      - .offset:         16
        .size:           8
        .value_kind:     by_value
      - .offset:         24
        .size:           8
        .value_kind:     by_value
      - .offset:         32
        .size:           8
        .value_kind:     by_value
      - .actual_access:  read_only
        .address_space:  global
        .offset:         40
        .size:           8
        .value_kind:     global_buffer
      - .offset:         48
        .size:           8
        .value_kind:     by_value
      - .offset:         56
        .size:           8
        .value_kind:     by_value
      - .offset:         64
        .size:           8
        .value_kind:     by_value
      - .actual_access:  read_only
        .address_space:  global
        .offset:         72
        .size:           8
        .value_kind:     global_buffer
      - .actual_access:  read_only
        .address_space:  global
        .offset:         80
        .size:           8
        .value_kind:     global_buffer
    .group_segment_fixed_size: 0
    .kernarg_segment_align: 8
    .kernarg_segment_size: 88
    .language:       OpenCL C
    .language_version:
      - 2
      - 0
    .max_flat_workgroup_size: 1024
    .name:           _ZL38rocblas_dot_kernel_gfx942_float_doubleIlLi1024EfPKPK16rocblas_bfloat16fEviT2_lT_lS5_lS6_lPT3_PT1_
    .private_segment_fixed_size: 0
    .sgpr_count:     0
    .sgpr_spill_count: 0
    .symbol:         _ZL38rocblas_dot_kernel_gfx942_float_doubleIlLi1024EfPKPK16rocblas_bfloat16fEviT2_lT_lS5_lS6_lPT3_PT1_.kd
    .uniform_work_group_size: 1
    .uses_dynamic_stack: false
    .vgpr_count:     0
    .vgpr_spill_count: 0
    .wavefront_size: 32
    .workgroup_processor_mode: 1
  - .args:
      - .offset:         0
        .size:           4
        .value_kind:     by_value
      - .actual_access:  read_only
        .address_space:  global
        .offset:         8
        .size:           8
        .value_kind:     global_buffer
      - .offset:         16
        .size:           8
        .value_kind:     by_value
      - .offset:         24
        .size:           8
        .value_kind:     by_value
      - .actual_access:  read_only
        .address_space:  global
        .offset:         32
        .size:           8
        .value_kind:     global_buffer
      - .offset:         40
        .size:           8
        .value_kind:     by_value
      - .offset:         48
        .size:           8
        .value_kind:     by_value
      - .offset:         56
        .size:           4
        .value_kind:     by_value
      - .actual_access:  write_only
        .address_space:  global
        .offset:         64
        .size:           8
        .value_kind:     global_buffer
      - .actual_access:  write_only
        .address_space:  global
        .offset:         72
        .size:           8
        .value_kind:     global_buffer
      - .offset:         80
        .size:           4
        .value_kind:     hidden_block_count_x
      - .offset:         84
        .size:           4
        .value_kind:     hidden_block_count_y
      - .offset:         88
        .size:           4
        .value_kind:     hidden_block_count_z
      - .offset:         92
        .size:           2
        .value_kind:     hidden_group_size_x
      - .offset:         94
        .size:           2
        .value_kind:     hidden_group_size_y
      - .offset:         96
        .size:           2
        .value_kind:     hidden_group_size_z
      - .offset:         98
        .size:           2
        .value_kind:     hidden_remainder_x
      - .offset:         100
        .size:           2
        .value_kind:     hidden_remainder_y
      - .offset:         102
        .size:           2
        .value_kind:     hidden_remainder_z
      - .offset:         120
        .size:           8
        .value_kind:     hidden_global_offset_x
      - .offset:         128
        .size:           8
        .value_kind:     hidden_global_offset_y
      - .offset:         136
        .size:           8
        .value_kind:     hidden_global_offset_z
      - .offset:         144
        .size:           2
        .value_kind:     hidden_grid_dims
    .group_segment_fixed_size: 128
    .kernarg_segment_align: 8
    .kernarg_segment_size: 336
    .language:       OpenCL C
    .language_version:
      - 2
      - 0
    .max_flat_workgroup_size: 512
    .name:           _ZL23rocblas_dot_kernel_inc1ILb0ELi512ELi4ELb1EfPKPK16rocblas_bfloat16fEviT4_llS5_lliPT5_PT3_
    .private_segment_fixed_size: 0
    .sgpr_count:     26
    .sgpr_spill_count: 0
    .symbol:         _ZL23rocblas_dot_kernel_inc1ILb0ELi512ELi4ELb1EfPKPK16rocblas_bfloat16fEviT4_llS5_lliPT5_PT3_.kd
    .uniform_work_group_size: 1
    .uses_dynamic_stack: false
    .vgpr_count:     10
    .vgpr_spill_count: 0
    .wavefront_size: 32
    .workgroup_processor_mode: 1
  - .args:
      - .offset:         0
        .size:           4
        .value_kind:     by_value
      - .actual_access:  read_only
        .address_space:  global
        .offset:         8
        .size:           8
        .value_kind:     global_buffer
      - .offset:         16
        .size:           8
        .value_kind:     by_value
      - .offset:         24
        .size:           8
        .value_kind:     by_value
      - .offset:         32
        .size:           8
        .value_kind:     by_value
      - .actual_access:  read_only
        .address_space:  global
        .offset:         40
        .size:           8
        .value_kind:     global_buffer
      - .offset:         48
        .size:           8
        .value_kind:     by_value
      - .offset:         56
        .size:           8
        .value_kind:     by_value
      - .offset:         64
        .size:           8
        .value_kind:     by_value
      - .offset:         72
        .size:           4
        .value_kind:     by_value
      - .actual_access:  write_only
        .address_space:  global
        .offset:         80
        .size:           8
        .value_kind:     global_buffer
      - .actual_access:  write_only
        .address_space:  global
        .offset:         88
        .size:           8
        .value_kind:     global_buffer
      - .offset:         96
        .size:           4
        .value_kind:     hidden_block_count_x
      - .offset:         100
        .size:           4
        .value_kind:     hidden_block_count_y
      - .offset:         104
        .size:           4
        .value_kind:     hidden_block_count_z
      - .offset:         108
        .size:           2
        .value_kind:     hidden_group_size_x
      - .offset:         110
        .size:           2
        .value_kind:     hidden_group_size_y
      - .offset:         112
        .size:           2
        .value_kind:     hidden_group_size_z
      - .offset:         114
        .size:           2
        .value_kind:     hidden_remainder_x
      - .offset:         116
        .size:           2
        .value_kind:     hidden_remainder_y
      - .offset:         118
        .size:           2
        .value_kind:     hidden_remainder_z
      - .offset:         136
        .size:           8
        .value_kind:     hidden_global_offset_x
      - .offset:         144
        .size:           8
        .value_kind:     hidden_global_offset_y
      - .offset:         152
        .size:           8
        .value_kind:     hidden_global_offset_z
      - .offset:         160
        .size:           2
        .value_kind:     hidden_grid_dims
    .group_segment_fixed_size: 128
    .kernarg_segment_align: 8
    .kernarg_segment_size: 352
    .language:       OpenCL C
    .language_version:
      - 2
      - 0
    .max_flat_workgroup_size: 512
    .name:           _ZL18rocblas_dot_kernelIlLb0ELi512ELi4ELb1EfPKPK16rocblas_bfloat16fEviT5_lT_lS5_lS6_liPT6_PT4_
    .private_segment_fixed_size: 0
    .sgpr_count:     31
    .sgpr_spill_count: 0
    .symbol:         _ZL18rocblas_dot_kernelIlLb0ELi512ELi4ELb1EfPKPK16rocblas_bfloat16fEviT5_lT_lS5_lS6_liPT6_PT4_.kd
    .uniform_work_group_size: 1
    .uses_dynamic_stack: false
    .vgpr_count:     12
    .vgpr_spill_count: 0
    .wavefront_size: 32
    .workgroup_processor_mode: 1
  - .args:
      - .offset:         0
        .size:           4
        .value_kind:     by_value
      - .actual_access:  read_only
        .address_space:  global
        .offset:         8
        .size:           8
        .value_kind:     global_buffer
      - .offset:         16
        .size:           8
        .value_kind:     by_value
      - .offset:         24
        .size:           8
        .value_kind:     by_value
      - .offset:         32
        .size:           8
        .value_kind:     by_value
      - .offset:         40
        .size:           4
        .value_kind:     by_value
      - .actual_access:  write_only
        .address_space:  global
        .offset:         48
        .size:           8
        .value_kind:     global_buffer
      - .actual_access:  write_only
        .address_space:  global
        .offset:         56
        .size:           8
        .value_kind:     global_buffer
      - .offset:         64
        .size:           4
        .value_kind:     hidden_block_count_x
      - .offset:         68
        .size:           4
        .value_kind:     hidden_block_count_y
      - .offset:         72
        .size:           4
        .value_kind:     hidden_block_count_z
      - .offset:         76
        .size:           2
        .value_kind:     hidden_group_size_x
      - .offset:         78
        .size:           2
        .value_kind:     hidden_group_size_y
      - .offset:         80
        .size:           2
        .value_kind:     hidden_group_size_z
      - .offset:         82
        .size:           2
        .value_kind:     hidden_remainder_x
      - .offset:         84
        .size:           2
        .value_kind:     hidden_remainder_y
      - .offset:         86
        .size:           2
        .value_kind:     hidden_remainder_z
      - .offset:         104
        .size:           8
        .value_kind:     hidden_global_offset_x
      - .offset:         112
        .size:           8
        .value_kind:     hidden_global_offset_y
      - .offset:         120
        .size:           8
        .value_kind:     hidden_global_offset_z
      - .offset:         128
        .size:           2
        .value_kind:     hidden_grid_dims
    .group_segment_fixed_size: 128
    .kernarg_segment_align: 8
    .kernarg_segment_size: 320
    .language:       OpenCL C
    .language_version:
      - 2
      - 0
    .max_flat_workgroup_size: 512
    .name:           _ZL24rocblas_dot_kernel_magsqIlLb0ELi512ELi4ELb1EfPKPK16rocblas_bfloat16fEviT5_lT_liPT6_PT4_
    .private_segment_fixed_size: 0
    .sgpr_count:     22
    .sgpr_spill_count: 0
    .symbol:         _ZL24rocblas_dot_kernel_magsqIlLb0ELi512ELi4ELb1EfPKPK16rocblas_bfloat16fEviT5_lT_liPT6_PT4_.kd
    .uniform_work_group_size: 1
    .uses_dynamic_stack: false
    .vgpr_count:     9
    .vgpr_spill_count: 0
    .wavefront_size: 32
    .workgroup_processor_mode: 1
  - .args:
      - .offset:         0
        .size:           4
        .value_kind:     by_value
      - .actual_access:  read_only
        .address_space:  global
        .offset:         8
        .size:           8
        .value_kind:     global_buffer
      - .offset:         16
        .size:           8
        .value_kind:     by_value
      - .offset:         24
        .size:           8
        .value_kind:     by_value
      - .offset:         32
        .size:           8
        .value_kind:     by_value
      - .actual_access:  read_only
        .address_space:  global
        .offset:         40
        .size:           8
        .value_kind:     global_buffer
      - .offset:         48
        .size:           8
        .value_kind:     by_value
      - .offset:         56
        .size:           8
        .value_kind:     by_value
      - .offset:         64
        .size:           8
        .value_kind:     by_value
      - .offset:         72
        .size:           4
        .value_kind:     by_value
      - .actual_access:  write_only
        .address_space:  global
        .offset:         80
        .size:           8
        .value_kind:     global_buffer
    .group_segment_fixed_size: 0
    .kernarg_segment_align: 8
    .kernarg_segment_size: 88
    .language:       OpenCL C
    .language_version:
      - 2
      - 0
    .max_flat_workgroup_size: 128
    .name:           _ZL28rocblas_dot_batched_4_kernelIlLi32ELi4ELb0EffPKDF16_EviT5_lT_lS2_lS3_liPT4_
    .private_segment_fixed_size: 0
    .sgpr_count:     22
    .sgpr_spill_count: 0
    .symbol:         _ZL28rocblas_dot_batched_4_kernelIlLi32ELi4ELb0EffPKDF16_EviT5_lT_lS2_lS3_liPT4_.kd
    .uniform_work_group_size: 1
    .uses_dynamic_stack: false
    .vgpr_count:     17
    .vgpr_spill_count: 0
    .wavefront_size: 32
    .workgroup_processor_mode: 1
  - .args:
      - .offset:         0
        .size:           4
        .value_kind:     by_value
      - .actual_access:  read_only
        .address_space:  global
        .offset:         8
        .size:           8
        .value_kind:     global_buffer
      - .offset:         16
        .size:           8
        .value_kind:     by_value
      - .offset:         24
        .size:           8
        .value_kind:     by_value
      - .offset:         32
        .size:           8
        .value_kind:     by_value
      - .actual_access:  read_only
        .address_space:  global
        .offset:         40
        .size:           8
        .value_kind:     global_buffer
      - .offset:         48
        .size:           8
        .value_kind:     by_value
      - .offset:         56
        .size:           8
        .value_kind:     by_value
      - .offset:         64
        .size:           8
        .value_kind:     by_value
      - .offset:         72
        .size:           4
        .value_kind:     by_value
      - .actual_access:  write_only
        .address_space:  global
        .offset:         80
        .size:           8
        .value_kind:     global_buffer
    .group_segment_fixed_size: 0
    .kernarg_segment_align: 8
    .kernarg_segment_size: 88
    .language:       OpenCL C
    .language_version:
      - 2
      - 0
    .max_flat_workgroup_size: 256
    .name:           _ZL28rocblas_dot_batched_4_kernelIlLi64ELi4ELb0EffPKDF16_EviT5_lT_lS2_lS3_liPT4_
    .private_segment_fixed_size: 0
    .sgpr_count:     22
    .sgpr_spill_count: 0
    .symbol:         _ZL28rocblas_dot_batched_4_kernelIlLi64ELi4ELb0EffPKDF16_EviT5_lT_lS2_lS3_liPT4_.kd
    .uniform_work_group_size: 1
    .uses_dynamic_stack: false
    .vgpr_count:     17
    .vgpr_spill_count: 0
    .wavefront_size: 32
    .workgroup_processor_mode: 1
  - .args:
      - .offset:         0
        .size:           4
        .value_kind:     by_value
      - .actual_access:  read_only
        .address_space:  global
        .offset:         8
        .size:           8
        .value_kind:     global_buffer
      - .offset:         16
        .size:           8
        .value_kind:     by_value
      - .offset:         24
        .size:           8
        .value_kind:     by_value
      - .actual_access:  read_only
        .address_space:  global
        .offset:         32
        .size:           8
        .value_kind:     global_buffer
      - .offset:         40
        .size:           8
        .value_kind:     by_value
      - .offset:         48
        .size:           8
        .value_kind:     by_value
      - .offset:         56
        .size:           4
        .value_kind:     by_value
      - .actual_access:  read_only
        .address_space:  global
        .offset:         64
        .size:           8
        .value_kind:     global_buffer
      - .actual_access:  write_only
        .address_space:  global
        .offset:         72
        .size:           8
        .value_kind:     global_buffer
    .group_segment_fixed_size: 128
    .kernarg_segment_align: 8
    .kernarg_segment_size: 80
    .language:       OpenCL C
    .language_version:
      - 2
      - 0
    .max_flat_workgroup_size: 1024
    .name:           _ZL26rocblas_dot_kernel_inc1by2ILb1ELi1024ELi32ELb0EfPKDF16_fEviT4_llS2_lliPT5_PT3_
    .private_segment_fixed_size: 0
    .sgpr_count:     26
    .sgpr_spill_count: 0
    .symbol:         _ZL26rocblas_dot_kernel_inc1by2ILb1ELi1024ELi32ELb0EfPKDF16_fEviT4_llS2_lliPT5_PT3_.kd
    .uniform_work_group_size: 1
    .uses_dynamic_stack: false
    .vgpr_count:     10
    .vgpr_spill_count: 0
    .wavefront_size: 32
    .workgroup_processor_mode: 1
  - .args:
      - .offset:         0
        .size:           4
        .value_kind:     by_value
      - .actual_access:  read_only
        .address_space:  global
        .offset:         8
        .size:           8
        .value_kind:     global_buffer
      - .offset:         16
        .size:           8
        .value_kind:     by_value
      - .offset:         24
        .size:           8
        .value_kind:     by_value
      - .offset:         32
        .size:           8
        .value_kind:     by_value
      - .actual_access:  read_only
        .address_space:  global
        .offset:         40
        .size:           8
        .value_kind:     global_buffer
      - .offset:         48
        .size:           8
        .value_kind:     by_value
      - .offset:         56
        .size:           8
        .value_kind:     by_value
      - .offset:         64
        .size:           8
        .value_kind:     by_value
      - .offset:         72
        .size:           4
        .value_kind:     by_value
      - .actual_access:  read_only
        .address_space:  global
        .offset:         80
        .size:           8
        .value_kind:     global_buffer
      - .actual_access:  write_only
        .address_space:  global
        .offset:         88
        .size:           8
        .value_kind:     global_buffer
      - .offset:         96
        .size:           4
        .value_kind:     hidden_block_count_x
      - .offset:         100
        .size:           4
        .value_kind:     hidden_block_count_y
      - .offset:         104
        .size:           4
        .value_kind:     hidden_block_count_z
      - .offset:         108
        .size:           2
        .value_kind:     hidden_group_size_x
      - .offset:         110
        .size:           2
        .value_kind:     hidden_group_size_y
      - .offset:         112
        .size:           2
        .value_kind:     hidden_group_size_z
      - .offset:         114
        .size:           2
        .value_kind:     hidden_remainder_x
      - .offset:         116
        .size:           2
        .value_kind:     hidden_remainder_y
      - .offset:         118
        .size:           2
        .value_kind:     hidden_remainder_z
      - .offset:         136
        .size:           8
        .value_kind:     hidden_global_offset_x
      - .offset:         144
        .size:           8
        .value_kind:     hidden_global_offset_y
      - .offset:         152
        .size:           8
        .value_kind:     hidden_global_offset_z
      - .offset:         160
        .size:           2
        .value_kind:     hidden_grid_dims
    .group_segment_fixed_size: 128
    .kernarg_segment_align: 8
    .kernarg_segment_size: 352
    .language:       OpenCL C
    .language_version:
      - 2
      - 0
    .max_flat_workgroup_size: 1024
    .name:           _ZL18rocblas_dot_kernelIlLb1ELi1024ELi32ELb0EfPKDF16_fEviT5_lT_lS2_lS3_liPT6_PT4_
    .private_segment_fixed_size: 0
    .sgpr_count:     29
    .sgpr_spill_count: 0
    .symbol:         _ZL18rocblas_dot_kernelIlLb1ELi1024ELi32ELb0EfPKDF16_fEviT5_lT_lS2_lS3_liPT6_PT4_.kd
    .uniform_work_group_size: 1
    .uses_dynamic_stack: false
    .vgpr_count:     11
    .vgpr_spill_count: 0
    .wavefront_size: 32
    .workgroup_processor_mode: 1
  - .args:
      - .offset:         0
        .size:           4
        .value_kind:     by_value
      - .actual_access:  read_only
        .address_space:  global
        .offset:         8
        .size:           8
        .value_kind:     global_buffer
      - .offset:         16
        .size:           8
        .value_kind:     by_value
      - .offset:         24
        .size:           8
        .value_kind:     by_value
      - .offset:         32
        .size:           8
        .value_kind:     by_value
      - .offset:         40
        .size:           4
        .value_kind:     by_value
      - .actual_access:  read_only
        .address_space:  global
        .offset:         48
        .size:           8
        .value_kind:     global_buffer
      - .actual_access:  write_only
        .address_space:  global
        .offset:         56
        .size:           8
        .value_kind:     global_buffer
      - .offset:         64
        .size:           4
        .value_kind:     hidden_block_count_x
      - .offset:         68
        .size:           4
        .value_kind:     hidden_block_count_y
      - .offset:         72
        .size:           4
        .value_kind:     hidden_block_count_z
      - .offset:         76
        .size:           2
        .value_kind:     hidden_group_size_x
      - .offset:         78
        .size:           2
        .value_kind:     hidden_group_size_y
      - .offset:         80
        .size:           2
        .value_kind:     hidden_group_size_z
      - .offset:         82
        .size:           2
        .value_kind:     hidden_remainder_x
      - .offset:         84
        .size:           2
        .value_kind:     hidden_remainder_y
      - .offset:         86
        .size:           2
        .value_kind:     hidden_remainder_z
      - .offset:         104
        .size:           8
        .value_kind:     hidden_global_offset_x
      - .offset:         112
        .size:           8
        .value_kind:     hidden_global_offset_y
      - .offset:         120
        .size:           8
        .value_kind:     hidden_global_offset_z
      - .offset:         128
        .size:           2
        .value_kind:     hidden_grid_dims
    .group_segment_fixed_size: 128
    .kernarg_segment_align: 8
    .kernarg_segment_size: 320
    .language:       OpenCL C
    .language_version:
      - 2
      - 0
    .max_flat_workgroup_size: 1024
    .name:           _ZL24rocblas_dot_kernel_magsqIlLb1ELi1024ELi32ELb0EfPKDF16_fEviT5_lT_liPT6_PT4_
    .private_segment_fixed_size: 0
    .sgpr_count:     19
    .sgpr_spill_count: 0
    .symbol:         _ZL24rocblas_dot_kernel_magsqIlLb1ELi1024ELi32ELb0EfPKDF16_fEviT5_lT_liPT6_PT4_.kd
    .uniform_work_group_size: 1
    .uses_dynamic_stack: false
    .vgpr_count:     10
    .vgpr_spill_count: 0
    .wavefront_size: 32
    .workgroup_processor_mode: 1
  - .args:
      - .offset:         0
        .size:           4
        .value_kind:     by_value
      - .actual_access:  read_only
        .address_space:  global
        .offset:         8
        .size:           8
        .value_kind:     global_buffer
      - .offset:         16
        .size:           8
        .value_kind:     by_value
      - .offset:         24
        .size:           8
        .value_kind:     by_value
      - .actual_access:  read_only
        .address_space:  global
        .offset:         32
        .size:           8
        .value_kind:     global_buffer
      - .offset:         40
        .size:           8
        .value_kind:     by_value
      - .offset:         48
        .size:           8
        .value_kind:     by_value
      - .offset:         56
        .size:           4
        .value_kind:     by_value
      - .actual_access:  write_only
        .address_space:  global
        .offset:         64
        .size:           8
        .value_kind:     global_buffer
      - .actual_access:  write_only
        .address_space:  global
        .offset:         72
        .size:           8
        .value_kind:     global_buffer
      - .offset:         80
        .size:           4
        .value_kind:     hidden_block_count_x
      - .offset:         84
        .size:           4
        .value_kind:     hidden_block_count_y
      - .offset:         88
        .size:           4
        .value_kind:     hidden_block_count_z
      - .offset:         92
        .size:           2
        .value_kind:     hidden_group_size_x
      - .offset:         94
        .size:           2
        .value_kind:     hidden_group_size_y
      - .offset:         96
        .size:           2
        .value_kind:     hidden_group_size_z
      - .offset:         98
        .size:           2
        .value_kind:     hidden_remainder_x
      - .offset:         100
        .size:           2
        .value_kind:     hidden_remainder_y
      - .offset:         102
        .size:           2
        .value_kind:     hidden_remainder_z
      - .offset:         120
        .size:           8
        .value_kind:     hidden_global_offset_x
      - .offset:         128
        .size:           8
        .value_kind:     hidden_global_offset_y
      - .offset:         136
        .size:           8
        .value_kind:     hidden_global_offset_z
      - .offset:         144
        .size:           2
        .value_kind:     hidden_grid_dims
    .group_segment_fixed_size: 128
    .kernarg_segment_align: 8
    .kernarg_segment_size: 336
    .language:       OpenCL C
    .language_version:
      - 2
      - 0
    .max_flat_workgroup_size: 512
    .name:           _ZL23rocblas_dot_kernel_inc1ILb0ELi512ELi4ELb0EfPKDF16_fEviT4_llS2_lliPT5_PT3_
    .private_segment_fixed_size: 0
    .sgpr_count:     26
    .sgpr_spill_count: 0
    .symbol:         _ZL23rocblas_dot_kernel_inc1ILb0ELi512ELi4ELb0EfPKDF16_fEviT4_llS2_lliPT5_PT3_.kd
    .uniform_work_group_size: 1
    .uses_dynamic_stack: false
    .vgpr_count:     9
    .vgpr_spill_count: 0
    .wavefront_size: 32
    .workgroup_processor_mode: 1
  - .args:
      - .offset:         0
        .size:           4
        .value_kind:     by_value
      - .actual_access:  read_only
        .address_space:  global
        .offset:         8
        .size:           8
        .value_kind:     global_buffer
      - .offset:         16
        .size:           8
        .value_kind:     by_value
      - .offset:         24
        .size:           8
        .value_kind:     by_value
      - .offset:         32
        .size:           8
        .value_kind:     by_value
      - .actual_access:  read_only
        .address_space:  global
        .offset:         40
        .size:           8
        .value_kind:     global_buffer
      - .offset:         48
        .size:           8
        .value_kind:     by_value
      - .offset:         56
        .size:           8
        .value_kind:     by_value
      - .offset:         64
        .size:           8
        .value_kind:     by_value
      - .offset:         72
        .size:           4
        .value_kind:     by_value
      - .actual_access:  write_only
        .address_space:  global
        .offset:         80
        .size:           8
        .value_kind:     global_buffer
      - .actual_access:  write_only
        .address_space:  global
        .offset:         88
        .size:           8
        .value_kind:     global_buffer
      - .offset:         96
        .size:           4
        .value_kind:     hidden_block_count_x
      - .offset:         100
        .size:           4
        .value_kind:     hidden_block_count_y
      - .offset:         104
        .size:           4
        .value_kind:     hidden_block_count_z
      - .offset:         108
        .size:           2
        .value_kind:     hidden_group_size_x
      - .offset:         110
        .size:           2
        .value_kind:     hidden_group_size_y
      - .offset:         112
        .size:           2
        .value_kind:     hidden_group_size_z
      - .offset:         114
        .size:           2
        .value_kind:     hidden_remainder_x
      - .offset:         116
        .size:           2
        .value_kind:     hidden_remainder_y
      - .offset:         118
        .size:           2
        .value_kind:     hidden_remainder_z
      - .offset:         136
        .size:           8
        .value_kind:     hidden_global_offset_x
      - .offset:         144
        .size:           8
        .value_kind:     hidden_global_offset_y
      - .offset:         152
        .size:           8
        .value_kind:     hidden_global_offset_z
      - .offset:         160
        .size:           2
        .value_kind:     hidden_grid_dims
    .group_segment_fixed_size: 128
    .kernarg_segment_align: 8
    .kernarg_segment_size: 352
    .language:       OpenCL C
    .language_version:
      - 2
      - 0
    .max_flat_workgroup_size: 512
    .name:           _ZL18rocblas_dot_kernelIlLb0ELi512ELi4ELb0EfPKDF16_fEviT5_lT_lS2_lS3_liPT6_PT4_
    .private_segment_fixed_size: 0
    .sgpr_count:     30
    .sgpr_spill_count: 0
    .symbol:         _ZL18rocblas_dot_kernelIlLb0ELi512ELi4ELb0EfPKDF16_fEviT5_lT_lS2_lS3_liPT6_PT4_.kd
    .uniform_work_group_size: 1
    .uses_dynamic_stack: false
    .vgpr_count:     11
    .vgpr_spill_count: 0
    .wavefront_size: 32
    .workgroup_processor_mode: 1
  - .args:
      - .offset:         0
        .size:           4
        .value_kind:     by_value
      - .actual_access:  read_only
        .address_space:  global
        .offset:         8
        .size:           8
        .value_kind:     global_buffer
      - .offset:         16
        .size:           8
        .value_kind:     by_value
      - .offset:         24
        .size:           8
        .value_kind:     by_value
      - .offset:         32
        .size:           8
        .value_kind:     by_value
      - .offset:         40
        .size:           4
        .value_kind:     by_value
      - .actual_access:  write_only
        .address_space:  global
        .offset:         48
        .size:           8
        .value_kind:     global_buffer
      - .actual_access:  write_only
        .address_space:  global
        .offset:         56
        .size:           8
        .value_kind:     global_buffer
      - .offset:         64
        .size:           4
        .value_kind:     hidden_block_count_x
      - .offset:         68
        .size:           4
        .value_kind:     hidden_block_count_y
      - .offset:         72
        .size:           4
        .value_kind:     hidden_block_count_z
      - .offset:         76
        .size:           2
        .value_kind:     hidden_group_size_x
      - .offset:         78
        .size:           2
        .value_kind:     hidden_group_size_y
      - .offset:         80
        .size:           2
        .value_kind:     hidden_group_size_z
      - .offset:         82
        .size:           2
        .value_kind:     hidden_remainder_x
      - .offset:         84
        .size:           2
        .value_kind:     hidden_remainder_y
      - .offset:         86
        .size:           2
        .value_kind:     hidden_remainder_z
      - .offset:         104
        .size:           8
        .value_kind:     hidden_global_offset_x
      - .offset:         112
        .size:           8
        .value_kind:     hidden_global_offset_y
      - .offset:         120
        .size:           8
        .value_kind:     hidden_global_offset_z
      - .offset:         128
        .size:           2
        .value_kind:     hidden_grid_dims
    .group_segment_fixed_size: 128
    .kernarg_segment_align: 8
    .kernarg_segment_size: 320
    .language:       OpenCL C
    .language_version:
      - 2
      - 0
    .max_flat_workgroup_size: 512
    .name:           _ZL24rocblas_dot_kernel_magsqIlLb0ELi512ELi4ELb0EfPKDF16_fEviT5_lT_liPT6_PT4_
    .private_segment_fixed_size: 0
    .sgpr_count:     24
    .sgpr_spill_count: 0
    .symbol:         _ZL24rocblas_dot_kernel_magsqIlLb0ELi512ELi4ELb0EfPKDF16_fEviT5_lT_liPT6_PT4_.kd
    .uniform_work_group_size: 1
    .uses_dynamic_stack: false
    .vgpr_count:     9
    .vgpr_spill_count: 0
    .wavefront_size: 32
    .workgroup_processor_mode: 1
  - .args:
      - .offset:         0
        .size:           4
        .value_kind:     by_value
      - .actual_access:  read_only
        .address_space:  global
        .offset:         8
        .size:           8
        .value_kind:     global_buffer
      - .offset:         16
        .size:           8
        .value_kind:     by_value
      - .offset:         24
        .size:           8
        .value_kind:     by_value
      - .offset:         32
        .size:           8
        .value_kind:     by_value
      - .actual_access:  read_only
        .address_space:  global
        .offset:         40
        .size:           8
        .value_kind:     global_buffer
      - .offset:         48
        .size:           8
        .value_kind:     by_value
      - .offset:         56
        .size:           8
        .value_kind:     by_value
      - .offset:         64
        .size:           8
        .value_kind:     by_value
      - .offset:         72
        .size:           4
        .value_kind:     by_value
      - .actual_access:  write_only
        .address_space:  global
        .offset:         80
        .size:           8
        .value_kind:     global_buffer
    .group_segment_fixed_size: 0
    .kernarg_segment_align: 8
    .kernarg_segment_size: 88
    .language:       OpenCL C
    .language_version:
      - 2
      - 0
    .max_flat_workgroup_size: 128
    .name:           _ZL28rocblas_dot_batched_4_kernelIlLi32ELi4ELb0EffPKPKDF16_EviT5_lT_lS4_lS5_liPT4_
    .private_segment_fixed_size: 0
    .sgpr_count:     18
    .sgpr_spill_count: 0
    .symbol:         _ZL28rocblas_dot_batched_4_kernelIlLi32ELi4ELb0EffPKPKDF16_EviT5_lT_lS4_lS5_liPT4_.kd
    .uniform_work_group_size: 1
    .uses_dynamic_stack: false
    .vgpr_count:     14
    .vgpr_spill_count: 0
    .wavefront_size: 32
    .workgroup_processor_mode: 1
  - .args:
      - .offset:         0
        .size:           4
        .value_kind:     by_value
      - .actual_access:  read_only
        .address_space:  global
        .offset:         8
        .size:           8
        .value_kind:     global_buffer
      - .offset:         16
        .size:           8
        .value_kind:     by_value
      - .offset:         24
        .size:           8
        .value_kind:     by_value
      - .offset:         32
        .size:           8
        .value_kind:     by_value
      - .actual_access:  read_only
        .address_space:  global
        .offset:         40
        .size:           8
        .value_kind:     global_buffer
      - .offset:         48
        .size:           8
        .value_kind:     by_value
      - .offset:         56
        .size:           8
        .value_kind:     by_value
      - .offset:         64
        .size:           8
        .value_kind:     by_value
      - .offset:         72
        .size:           4
        .value_kind:     by_value
      - .actual_access:  write_only
        .address_space:  global
        .offset:         80
        .size:           8
        .value_kind:     global_buffer
    .group_segment_fixed_size: 0
    .kernarg_segment_align: 8
    .kernarg_segment_size: 88
    .language:       OpenCL C
    .language_version:
      - 2
      - 0
    .max_flat_workgroup_size: 256
    .name:           _ZL28rocblas_dot_batched_4_kernelIlLi64ELi4ELb0EffPKPKDF16_EviT5_lT_lS4_lS5_liPT4_
    .private_segment_fixed_size: 0
    .sgpr_count:     18
    .sgpr_spill_count: 0
    .symbol:         _ZL28rocblas_dot_batched_4_kernelIlLi64ELi4ELb0EffPKPKDF16_EviT5_lT_lS4_lS5_liPT4_.kd
    .uniform_work_group_size: 1
    .uses_dynamic_stack: false
    .vgpr_count:     14
    .vgpr_spill_count: 0
    .wavefront_size: 32
    .workgroup_processor_mode: 1
  - .args:
      - .offset:         0
        .size:           4
        .value_kind:     by_value
      - .actual_access:  read_only
        .address_space:  global
        .offset:         8
        .size:           8
        .value_kind:     global_buffer
      - .offset:         16
        .size:           8
        .value_kind:     by_value
      - .offset:         24
        .size:           8
        .value_kind:     by_value
      - .actual_access:  read_only
        .address_space:  global
        .offset:         32
        .size:           8
        .value_kind:     global_buffer
      - .offset:         40
        .size:           8
        .value_kind:     by_value
      - .offset:         48
        .size:           8
        .value_kind:     by_value
      - .offset:         56
        .size:           4
        .value_kind:     by_value
      - .actual_access:  read_only
        .address_space:  global
        .offset:         64
        .size:           8
        .value_kind:     global_buffer
      - .actual_access:  write_only
        .address_space:  global
        .offset:         72
        .size:           8
        .value_kind:     global_buffer
    .group_segment_fixed_size: 128
    .kernarg_segment_align: 8
    .kernarg_segment_size: 80
    .language:       OpenCL C
    .language_version:
      - 2
      - 0
    .max_flat_workgroup_size: 1024
    .name:           _ZL26rocblas_dot_kernel_inc1by2ILb1ELi1024ELi32ELb0EfPKPKDF16_fEviT4_llS4_lliPT5_PT3_
    .private_segment_fixed_size: 0
    .sgpr_count:     21
    .sgpr_spill_count: 0
    .symbol:         _ZL26rocblas_dot_kernel_inc1by2ILb1ELi1024ELi32ELb0EfPKPKDF16_fEviT4_llS4_lliPT5_PT3_.kd
    .uniform_work_group_size: 1
    .uses_dynamic_stack: false
    .vgpr_count:     10
    .vgpr_spill_count: 0
    .wavefront_size: 32
    .workgroup_processor_mode: 1
  - .args:
      - .offset:         0
        .size:           4
        .value_kind:     by_value
      - .actual_access:  read_only
        .address_space:  global
        .offset:         8
        .size:           8
        .value_kind:     global_buffer
      - .offset:         16
        .size:           8
        .value_kind:     by_value
      - .offset:         24
        .size:           8
        .value_kind:     by_value
      - .offset:         32
        .size:           8
        .value_kind:     by_value
      - .actual_access:  read_only
        .address_space:  global
        .offset:         40
        .size:           8
        .value_kind:     global_buffer
      - .offset:         48
        .size:           8
        .value_kind:     by_value
      - .offset:         56
        .size:           8
        .value_kind:     by_value
      - .offset:         64
        .size:           8
        .value_kind:     by_value
      - .offset:         72
        .size:           4
        .value_kind:     by_value
      - .actual_access:  read_only
        .address_space:  global
        .offset:         80
        .size:           8
        .value_kind:     global_buffer
      - .actual_access:  write_only
        .address_space:  global
        .offset:         88
        .size:           8
        .value_kind:     global_buffer
      - .offset:         96
        .size:           4
        .value_kind:     hidden_block_count_x
      - .offset:         100
        .size:           4
        .value_kind:     hidden_block_count_y
      - .offset:         104
        .size:           4
        .value_kind:     hidden_block_count_z
      - .offset:         108
        .size:           2
        .value_kind:     hidden_group_size_x
      - .offset:         110
        .size:           2
        .value_kind:     hidden_group_size_y
      - .offset:         112
        .size:           2
        .value_kind:     hidden_group_size_z
      - .offset:         114
        .size:           2
        .value_kind:     hidden_remainder_x
      - .offset:         116
        .size:           2
        .value_kind:     hidden_remainder_y
      - .offset:         118
        .size:           2
        .value_kind:     hidden_remainder_z
      - .offset:         136
        .size:           8
        .value_kind:     hidden_global_offset_x
      - .offset:         144
        .size:           8
        .value_kind:     hidden_global_offset_y
      - .offset:         152
        .size:           8
        .value_kind:     hidden_global_offset_z
      - .offset:         160
        .size:           2
        .value_kind:     hidden_grid_dims
    .group_segment_fixed_size: 128
    .kernarg_segment_align: 8
    .kernarg_segment_size: 352
    .language:       OpenCL C
    .language_version:
      - 2
      - 0
    .max_flat_workgroup_size: 1024
    .name:           _ZL18rocblas_dot_kernelIlLb1ELi1024ELi32ELb0EfPKPKDF16_fEviT5_lT_lS4_lS5_liPT6_PT4_
    .private_segment_fixed_size: 0
    .sgpr_count:     27
    .sgpr_spill_count: 0
    .symbol:         _ZL18rocblas_dot_kernelIlLb1ELi1024ELi32ELb0EfPKPKDF16_fEviT5_lT_lS4_lS5_liPT6_PT4_.kd
    .uniform_work_group_size: 1
    .uses_dynamic_stack: false
    .vgpr_count:     10
    .vgpr_spill_count: 0
    .wavefront_size: 32
    .workgroup_processor_mode: 1
  - .args:
      - .offset:         0
        .size:           4
        .value_kind:     by_value
      - .actual_access:  read_only
        .address_space:  global
        .offset:         8
        .size:           8
        .value_kind:     global_buffer
      - .offset:         16
        .size:           8
        .value_kind:     by_value
      - .offset:         24
        .size:           8
        .value_kind:     by_value
      - .offset:         32
        .size:           8
        .value_kind:     by_value
      - .offset:         40
        .size:           4
        .value_kind:     by_value
      - .actual_access:  read_only
        .address_space:  global
        .offset:         48
        .size:           8
        .value_kind:     global_buffer
      - .actual_access:  write_only
        .address_space:  global
        .offset:         56
        .size:           8
        .value_kind:     global_buffer
      - .offset:         64
        .size:           4
        .value_kind:     hidden_block_count_x
      - .offset:         68
        .size:           4
        .value_kind:     hidden_block_count_y
      - .offset:         72
        .size:           4
        .value_kind:     hidden_block_count_z
      - .offset:         76
        .size:           2
        .value_kind:     hidden_group_size_x
      - .offset:         78
        .size:           2
        .value_kind:     hidden_group_size_y
      - .offset:         80
        .size:           2
        .value_kind:     hidden_group_size_z
      - .offset:         82
        .size:           2
        .value_kind:     hidden_remainder_x
      - .offset:         84
        .size:           2
        .value_kind:     hidden_remainder_y
      - .offset:         86
        .size:           2
        .value_kind:     hidden_remainder_z
      - .offset:         104
        .size:           8
        .value_kind:     hidden_global_offset_x
      - .offset:         112
        .size:           8
        .value_kind:     hidden_global_offset_y
      - .offset:         120
        .size:           8
        .value_kind:     hidden_global_offset_z
      - .offset:         128
        .size:           2
        .value_kind:     hidden_grid_dims
    .group_segment_fixed_size: 128
    .kernarg_segment_align: 8
    .kernarg_segment_size: 320
    .language:       OpenCL C
    .language_version:
      - 2
      - 0
    .max_flat_workgroup_size: 1024
    .name:           _ZL24rocblas_dot_kernel_magsqIlLb1ELi1024ELi32ELb0EfPKPKDF16_fEviT5_lT_liPT6_PT4_
    .private_segment_fixed_size: 0
    .sgpr_count:     19
    .sgpr_spill_count: 0
    .symbol:         _ZL24rocblas_dot_kernel_magsqIlLb1ELi1024ELi32ELb0EfPKPKDF16_fEviT5_lT_liPT6_PT4_.kd
    .uniform_work_group_size: 1
    .uses_dynamic_stack: false
    .vgpr_count:     10
    .vgpr_spill_count: 0
    .wavefront_size: 32
    .workgroup_processor_mode: 1
  - .args:
      - .offset:         0
        .size:           4
        .value_kind:     by_value
      - .actual_access:  read_only
        .address_space:  global
        .offset:         8
        .size:           8
        .value_kind:     global_buffer
      - .offset:         16
        .size:           8
        .value_kind:     by_value
      - .offset:         24
        .size:           8
        .value_kind:     by_value
      - .actual_access:  read_only
        .address_space:  global
        .offset:         32
        .size:           8
        .value_kind:     global_buffer
      - .offset:         40
        .size:           8
        .value_kind:     by_value
      - .offset:         48
        .size:           8
        .value_kind:     by_value
      - .offset:         56
        .size:           4
        .value_kind:     by_value
      - .actual_access:  write_only
        .address_space:  global
        .offset:         64
        .size:           8
        .value_kind:     global_buffer
      - .actual_access:  write_only
        .address_space:  global
        .offset:         72
        .size:           8
        .value_kind:     global_buffer
      - .offset:         80
        .size:           4
        .value_kind:     hidden_block_count_x
      - .offset:         84
        .size:           4
        .value_kind:     hidden_block_count_y
      - .offset:         88
        .size:           4
        .value_kind:     hidden_block_count_z
      - .offset:         92
        .size:           2
        .value_kind:     hidden_group_size_x
      - .offset:         94
        .size:           2
        .value_kind:     hidden_group_size_y
      - .offset:         96
        .size:           2
        .value_kind:     hidden_group_size_z
      - .offset:         98
        .size:           2
        .value_kind:     hidden_remainder_x
      - .offset:         100
        .size:           2
        .value_kind:     hidden_remainder_y
      - .offset:         102
        .size:           2
        .value_kind:     hidden_remainder_z
      - .offset:         120
        .size:           8
        .value_kind:     hidden_global_offset_x
      - .offset:         128
        .size:           8
        .value_kind:     hidden_global_offset_y
      - .offset:         136
        .size:           8
        .value_kind:     hidden_global_offset_z
      - .offset:         144
        .size:           2
        .value_kind:     hidden_grid_dims
    .group_segment_fixed_size: 128
    .kernarg_segment_align: 8
    .kernarg_segment_size: 336
    .language:       OpenCL C
    .language_version:
      - 2
      - 0
    .max_flat_workgroup_size: 512
    .name:           _ZL23rocblas_dot_kernel_inc1ILb0ELi512ELi4ELb0EfPKPKDF16_fEviT4_llS4_lliPT5_PT3_
    .private_segment_fixed_size: 0
    .sgpr_count:     26
    .sgpr_spill_count: 0
    .symbol:         _ZL23rocblas_dot_kernel_inc1ILb0ELi512ELi4ELb0EfPKPKDF16_fEviT4_llS4_lliPT5_PT3_.kd
    .uniform_work_group_size: 1
    .uses_dynamic_stack: false
    .vgpr_count:     10
    .vgpr_spill_count: 0
    .wavefront_size: 32
    .workgroup_processor_mode: 1
  - .args:
      - .offset:         0
        .size:           4
        .value_kind:     by_value
      - .actual_access:  read_only
        .address_space:  global
        .offset:         8
        .size:           8
        .value_kind:     global_buffer
      - .offset:         16
        .size:           8
        .value_kind:     by_value
      - .offset:         24
        .size:           8
        .value_kind:     by_value
      - .offset:         32
        .size:           8
        .value_kind:     by_value
      - .actual_access:  read_only
        .address_space:  global
        .offset:         40
        .size:           8
        .value_kind:     global_buffer
      - .offset:         48
        .size:           8
        .value_kind:     by_value
      - .offset:         56
        .size:           8
        .value_kind:     by_value
      - .offset:         64
        .size:           8
        .value_kind:     by_value
      - .offset:         72
        .size:           4
        .value_kind:     by_value
      - .actual_access:  write_only
        .address_space:  global
        .offset:         80
        .size:           8
        .value_kind:     global_buffer
      - .actual_access:  write_only
        .address_space:  global
        .offset:         88
        .size:           8
        .value_kind:     global_buffer
      - .offset:         96
        .size:           4
        .value_kind:     hidden_block_count_x
      - .offset:         100
        .size:           4
        .value_kind:     hidden_block_count_y
      - .offset:         104
        .size:           4
        .value_kind:     hidden_block_count_z
      - .offset:         108
        .size:           2
        .value_kind:     hidden_group_size_x
      - .offset:         110
        .size:           2
        .value_kind:     hidden_group_size_y
      - .offset:         112
        .size:           2
        .value_kind:     hidden_group_size_z
      - .offset:         114
        .size:           2
        .value_kind:     hidden_remainder_x
      - .offset:         116
        .size:           2
        .value_kind:     hidden_remainder_y
      - .offset:         118
        .size:           2
        .value_kind:     hidden_remainder_z
      - .offset:         136
        .size:           8
        .value_kind:     hidden_global_offset_x
      - .offset:         144
        .size:           8
        .value_kind:     hidden_global_offset_y
      - .offset:         152
        .size:           8
        .value_kind:     hidden_global_offset_z
      - .offset:         160
        .size:           2
        .value_kind:     hidden_grid_dims
    .group_segment_fixed_size: 128
    .kernarg_segment_align: 8
    .kernarg_segment_size: 352
    .language:       OpenCL C
    .language_version:
      - 2
      - 0
    .max_flat_workgroup_size: 512
    .name:           _ZL18rocblas_dot_kernelIlLb0ELi512ELi4ELb0EfPKPKDF16_fEviT5_lT_lS4_lS5_liPT6_PT4_
    .private_segment_fixed_size: 0
    .sgpr_count:     31
    .sgpr_spill_count: 0
    .symbol:         _ZL18rocblas_dot_kernelIlLb0ELi512ELi4ELb0EfPKPKDF16_fEviT5_lT_lS4_lS5_liPT6_PT4_.kd
    .uniform_work_group_size: 1
    .uses_dynamic_stack: false
    .vgpr_count:     12
    .vgpr_spill_count: 0
    .wavefront_size: 32
    .workgroup_processor_mode: 1
  - .args:
      - .offset:         0
        .size:           4
        .value_kind:     by_value
      - .actual_access:  read_only
        .address_space:  global
        .offset:         8
        .size:           8
        .value_kind:     global_buffer
      - .offset:         16
        .size:           8
        .value_kind:     by_value
      - .offset:         24
        .size:           8
        .value_kind:     by_value
      - .offset:         32
        .size:           8
        .value_kind:     by_value
      - .offset:         40
        .size:           4
        .value_kind:     by_value
      - .actual_access:  write_only
        .address_space:  global
        .offset:         48
        .size:           8
        .value_kind:     global_buffer
      - .actual_access:  write_only
        .address_space:  global
        .offset:         56
        .size:           8
        .value_kind:     global_buffer
      - .offset:         64
        .size:           4
        .value_kind:     hidden_block_count_x
      - .offset:         68
        .size:           4
        .value_kind:     hidden_block_count_y
      - .offset:         72
        .size:           4
        .value_kind:     hidden_block_count_z
      - .offset:         76
        .size:           2
        .value_kind:     hidden_group_size_x
      - .offset:         78
        .size:           2
        .value_kind:     hidden_group_size_y
      - .offset:         80
        .size:           2
        .value_kind:     hidden_group_size_z
      - .offset:         82
        .size:           2
        .value_kind:     hidden_remainder_x
      - .offset:         84
        .size:           2
        .value_kind:     hidden_remainder_y
      - .offset:         86
        .size:           2
        .value_kind:     hidden_remainder_z
      - .offset:         104
        .size:           8
        .value_kind:     hidden_global_offset_x
      - .offset:         112
        .size:           8
        .value_kind:     hidden_global_offset_y
      - .offset:         120
        .size:           8
        .value_kind:     hidden_global_offset_z
      - .offset:         128
        .size:           2
        .value_kind:     hidden_grid_dims
    .group_segment_fixed_size: 128
    .kernarg_segment_align: 8
    .kernarg_segment_size: 320
    .language:       OpenCL C
    .language_version:
      - 2
      - 0
    .max_flat_workgroup_size: 512
    .name:           _ZL24rocblas_dot_kernel_magsqIlLb0ELi512ELi4ELb0EfPKPKDF16_fEviT5_lT_liPT6_PT4_
    .private_segment_fixed_size: 0
    .sgpr_count:     22
    .sgpr_spill_count: 0
    .symbol:         _ZL24rocblas_dot_kernel_magsqIlLb0ELi512ELi4ELb0EfPKPKDF16_fEviT5_lT_liPT6_PT4_.kd
    .uniform_work_group_size: 1
    .uses_dynamic_stack: false
    .vgpr_count:     9
    .vgpr_spill_count: 0
    .wavefront_size: 32
    .workgroup_processor_mode: 1
  - .args:
      - .offset:         0
        .size:           4
        .value_kind:     by_value
      - .actual_access:  read_only
        .address_space:  global
        .offset:         8
        .size:           8
        .value_kind:     global_buffer
      - .offset:         16
        .size:           8
        .value_kind:     by_value
      - .offset:         24
        .size:           8
        .value_kind:     by_value
      - .offset:         32
        .size:           8
        .value_kind:     by_value
      - .actual_access:  read_only
        .address_space:  global
        .offset:         40
        .size:           8
        .value_kind:     global_buffer
      - .offset:         48
        .size:           8
        .value_kind:     by_value
      - .offset:         56
        .size:           8
        .value_kind:     by_value
      - .offset:         64
        .size:           8
        .value_kind:     by_value
      - .offset:         72
        .size:           4
        .value_kind:     by_value
      - .actual_access:  write_only
        .address_space:  global
        .offset:         80
        .size:           8
        .value_kind:     global_buffer
    .group_segment_fixed_size: 0
    .kernarg_segment_align: 8
    .kernarg_segment_size: 88
    .language:       OpenCL C
    .language_version:
      - 2
      - 0
    .max_flat_workgroup_size: 128
    .name:           _ZL28rocblas_dot_batched_4_kernelIlLi32ELi4ELb0EDF16_fPKDF16_EviT5_lT_lS2_lS3_liPT4_
    .private_segment_fixed_size: 0
    .sgpr_count:     22
    .sgpr_spill_count: 0
    .symbol:         _ZL28rocblas_dot_batched_4_kernelIlLi32ELi4ELb0EDF16_fPKDF16_EviT5_lT_lS2_lS3_liPT4_.kd
    .uniform_work_group_size: 1
    .uses_dynamic_stack: false
    .vgpr_count:     17
    .vgpr_spill_count: 0
    .wavefront_size: 32
    .workgroup_processor_mode: 1
  - .args:
      - .offset:         0
        .size:           4
        .value_kind:     by_value
      - .actual_access:  read_only
        .address_space:  global
        .offset:         8
        .size:           8
        .value_kind:     global_buffer
      - .offset:         16
        .size:           8
        .value_kind:     by_value
      - .offset:         24
        .size:           8
        .value_kind:     by_value
      - .offset:         32
        .size:           8
        .value_kind:     by_value
      - .actual_access:  read_only
        .address_space:  global
        .offset:         40
        .size:           8
        .value_kind:     global_buffer
      - .offset:         48
        .size:           8
        .value_kind:     by_value
      - .offset:         56
        .size:           8
        .value_kind:     by_value
      - .offset:         64
        .size:           8
        .value_kind:     by_value
      - .offset:         72
        .size:           4
        .value_kind:     by_value
      - .actual_access:  write_only
        .address_space:  global
        .offset:         80
        .size:           8
        .value_kind:     global_buffer
    .group_segment_fixed_size: 0
    .kernarg_segment_align: 8
    .kernarg_segment_size: 88
    .language:       OpenCL C
    .language_version:
      - 2
      - 0
    .max_flat_workgroup_size: 256
    .name:           _ZL28rocblas_dot_batched_4_kernelIlLi64ELi4ELb0EDF16_fPKDF16_EviT5_lT_lS2_lS3_liPT4_
    .private_segment_fixed_size: 0
    .sgpr_count:     22
    .sgpr_spill_count: 0
    .symbol:         _ZL28rocblas_dot_batched_4_kernelIlLi64ELi4ELb0EDF16_fPKDF16_EviT5_lT_lS2_lS3_liPT4_.kd
    .uniform_work_group_size: 1
    .uses_dynamic_stack: false
    .vgpr_count:     17
    .vgpr_spill_count: 0
    .wavefront_size: 32
    .workgroup_processor_mode: 1
  - .args:
      - .offset:         0
        .size:           4
        .value_kind:     by_value
      - .actual_access:  read_only
        .address_space:  global
        .offset:         8
        .size:           8
        .value_kind:     global_buffer
      - .offset:         16
        .size:           8
        .value_kind:     by_value
      - .offset:         24
        .size:           8
        .value_kind:     by_value
      - .actual_access:  read_only
        .address_space:  global
        .offset:         32
        .size:           8
        .value_kind:     global_buffer
      - .offset:         40
        .size:           8
        .value_kind:     by_value
      - .offset:         48
        .size:           8
        .value_kind:     by_value
      - .offset:         56
        .size:           4
        .value_kind:     by_value
      - .actual_access:  read_only
        .address_space:  global
        .offset:         64
        .size:           8
        .value_kind:     global_buffer
      - .actual_access:  write_only
        .address_space:  global
        .offset:         72
        .size:           8
        .value_kind:     global_buffer
    .group_segment_fixed_size: 64
    .kernarg_segment_align: 8
    .kernarg_segment_size: 80
    .language:       OpenCL C
    .language_version:
      - 2
      - 0
    .max_flat_workgroup_size: 1024
    .name:           _ZL26rocblas_dot_kernel_inc1by2ILb1ELi1024ELi32ELb0EfPKDF16_DF16_EviT4_llS2_lliPT5_PT3_
    .private_segment_fixed_size: 0
    .sgpr_count:     26
    .sgpr_spill_count: 0
    .symbol:         _ZL26rocblas_dot_kernel_inc1by2ILb1ELi1024ELi32ELb0EfPKDF16_DF16_EviT4_llS2_lliPT5_PT3_.kd
    .uniform_work_group_size: 1
    .uses_dynamic_stack: false
    .vgpr_count:     11
    .vgpr_spill_count: 0
    .wavefront_size: 32
    .workgroup_processor_mode: 1
  - .args:
      - .offset:         0
        .size:           4
        .value_kind:     by_value
      - .actual_access:  read_only
        .address_space:  global
        .offset:         8
        .size:           8
        .value_kind:     global_buffer
      - .offset:         16
        .size:           8
        .value_kind:     by_value
      - .offset:         24
        .size:           8
        .value_kind:     by_value
      - .offset:         32
        .size:           8
        .value_kind:     by_value
      - .actual_access:  read_only
        .address_space:  global
        .offset:         40
        .size:           8
        .value_kind:     global_buffer
      - .offset:         48
        .size:           8
        .value_kind:     by_value
      - .offset:         56
        .size:           8
        .value_kind:     by_value
      - .offset:         64
        .size:           8
        .value_kind:     by_value
      - .offset:         72
        .size:           4
        .value_kind:     by_value
      - .actual_access:  read_only
        .address_space:  global
        .offset:         80
        .size:           8
        .value_kind:     global_buffer
      - .actual_access:  write_only
        .address_space:  global
        .offset:         88
        .size:           8
        .value_kind:     global_buffer
      - .offset:         96
        .size:           4
        .value_kind:     hidden_block_count_x
      - .offset:         100
        .size:           4
        .value_kind:     hidden_block_count_y
      - .offset:         104
        .size:           4
        .value_kind:     hidden_block_count_z
      - .offset:         108
        .size:           2
        .value_kind:     hidden_group_size_x
      - .offset:         110
        .size:           2
        .value_kind:     hidden_group_size_y
      - .offset:         112
        .size:           2
        .value_kind:     hidden_group_size_z
      - .offset:         114
        .size:           2
        .value_kind:     hidden_remainder_x
      - .offset:         116
        .size:           2
        .value_kind:     hidden_remainder_y
      - .offset:         118
        .size:           2
        .value_kind:     hidden_remainder_z
      - .offset:         136
        .size:           8
        .value_kind:     hidden_global_offset_x
      - .offset:         144
        .size:           8
        .value_kind:     hidden_global_offset_y
      - .offset:         152
        .size:           8
        .value_kind:     hidden_global_offset_z
      - .offset:         160
        .size:           2
        .value_kind:     hidden_grid_dims
    .group_segment_fixed_size: 64
    .kernarg_segment_align: 8
    .kernarg_segment_size: 352
    .language:       OpenCL C
    .language_version:
      - 2
      - 0
    .max_flat_workgroup_size: 1024
    .name:           _ZL18rocblas_dot_kernelIlLb1ELi1024ELi32ELb0EfPKDF16_DF16_EviT5_lT_lS2_lS3_liPT6_PT4_
    .private_segment_fixed_size: 0
    .sgpr_count:     29
    .sgpr_spill_count: 0
    .symbol:         _ZL18rocblas_dot_kernelIlLb1ELi1024ELi32ELb0EfPKDF16_DF16_EviT5_lT_lS2_lS3_liPT6_PT4_.kd
    .uniform_work_group_size: 1
    .uses_dynamic_stack: false
    .vgpr_count:     11
    .vgpr_spill_count: 0
    .wavefront_size: 32
    .workgroup_processor_mode: 1
  - .args:
      - .offset:         0
        .size:           4
        .value_kind:     by_value
      - .actual_access:  read_only
        .address_space:  global
        .offset:         8
        .size:           8
        .value_kind:     global_buffer
      - .offset:         16
        .size:           8
        .value_kind:     by_value
      - .offset:         24
        .size:           8
        .value_kind:     by_value
      - .offset:         32
        .size:           8
        .value_kind:     by_value
      - .offset:         40
        .size:           4
        .value_kind:     by_value
      - .actual_access:  read_only
        .address_space:  global
        .offset:         48
        .size:           8
        .value_kind:     global_buffer
      - .actual_access:  write_only
        .address_space:  global
        .offset:         56
        .size:           8
        .value_kind:     global_buffer
      - .offset:         64
        .size:           4
        .value_kind:     hidden_block_count_x
      - .offset:         68
        .size:           4
        .value_kind:     hidden_block_count_y
      - .offset:         72
        .size:           4
        .value_kind:     hidden_block_count_z
      - .offset:         76
        .size:           2
        .value_kind:     hidden_group_size_x
      - .offset:         78
        .size:           2
        .value_kind:     hidden_group_size_y
      - .offset:         80
        .size:           2
        .value_kind:     hidden_group_size_z
      - .offset:         82
        .size:           2
        .value_kind:     hidden_remainder_x
      - .offset:         84
        .size:           2
        .value_kind:     hidden_remainder_y
      - .offset:         86
        .size:           2
        .value_kind:     hidden_remainder_z
      - .offset:         104
        .size:           8
        .value_kind:     hidden_global_offset_x
      - .offset:         112
        .size:           8
        .value_kind:     hidden_global_offset_y
      - .offset:         120
        .size:           8
        .value_kind:     hidden_global_offset_z
      - .offset:         128
        .size:           2
        .value_kind:     hidden_grid_dims
    .group_segment_fixed_size: 64
    .kernarg_segment_align: 8
    .kernarg_segment_size: 320
    .language:       OpenCL C
    .language_version:
      - 2
      - 0
    .max_flat_workgroup_size: 1024
    .name:           _ZL24rocblas_dot_kernel_magsqIlLb1ELi1024ELi32ELb0EfPKDF16_DF16_EviT5_lT_liPT6_PT4_
    .private_segment_fixed_size: 0
    .sgpr_count:     19
    .sgpr_spill_count: 0
    .symbol:         _ZL24rocblas_dot_kernel_magsqIlLb1ELi1024ELi32ELb0EfPKDF16_DF16_EviT5_lT_liPT6_PT4_.kd
    .uniform_work_group_size: 1
    .uses_dynamic_stack: false
    .vgpr_count:     11
    .vgpr_spill_count: 0
    .wavefront_size: 32
    .workgroup_processor_mode: 1
  - .args:
      - .offset:         0
        .size:           4
        .value_kind:     by_value
      - .actual_access:  read_only
        .address_space:  global
        .offset:         8
        .size:           8
        .value_kind:     global_buffer
      - .offset:         16
        .size:           8
        .value_kind:     by_value
      - .offset:         24
        .size:           8
        .value_kind:     by_value
      - .actual_access:  read_only
        .address_space:  global
        .offset:         32
        .size:           8
        .value_kind:     global_buffer
      - .offset:         40
        .size:           8
        .value_kind:     by_value
      - .offset:         48
        .size:           8
        .value_kind:     by_value
      - .offset:         56
        .size:           4
        .value_kind:     by_value
      - .actual_access:  write_only
        .address_space:  global
        .offset:         64
        .size:           8
        .value_kind:     global_buffer
      - .actual_access:  write_only
        .address_space:  global
        .offset:         72
        .size:           8
        .value_kind:     global_buffer
      - .offset:         80
        .size:           4
        .value_kind:     hidden_block_count_x
      - .offset:         84
        .size:           4
        .value_kind:     hidden_block_count_y
      - .offset:         88
        .size:           4
        .value_kind:     hidden_block_count_z
      - .offset:         92
        .size:           2
        .value_kind:     hidden_group_size_x
      - .offset:         94
        .size:           2
        .value_kind:     hidden_group_size_y
      - .offset:         96
        .size:           2
        .value_kind:     hidden_group_size_z
      - .offset:         98
        .size:           2
        .value_kind:     hidden_remainder_x
      - .offset:         100
        .size:           2
        .value_kind:     hidden_remainder_y
      - .offset:         102
        .size:           2
        .value_kind:     hidden_remainder_z
      - .offset:         120
        .size:           8
        .value_kind:     hidden_global_offset_x
      - .offset:         128
        .size:           8
        .value_kind:     hidden_global_offset_y
      - .offset:         136
        .size:           8
        .value_kind:     hidden_global_offset_z
      - .offset:         144
        .size:           2
        .value_kind:     hidden_grid_dims
    .group_segment_fixed_size: 64
    .kernarg_segment_align: 8
    .kernarg_segment_size: 336
    .language:       OpenCL C
    .language_version:
      - 2
      - 0
    .max_flat_workgroup_size: 512
    .name:           _ZL23rocblas_dot_kernel_inc1ILb0ELi512ELi4ELb0EfPKDF16_DF16_EviT4_llS2_lliPT5_PT3_
    .private_segment_fixed_size: 0
    .sgpr_count:     26
    .sgpr_spill_count: 0
    .symbol:         _ZL23rocblas_dot_kernel_inc1ILb0ELi512ELi4ELb0EfPKDF16_DF16_EviT4_llS2_lliPT5_PT3_.kd
    .uniform_work_group_size: 1
    .uses_dynamic_stack: false
    .vgpr_count:     10
    .vgpr_spill_count: 0
    .wavefront_size: 32
    .workgroup_processor_mode: 1
  - .args:
      - .offset:         0
        .size:           4
        .value_kind:     by_value
      - .actual_access:  read_only
        .address_space:  global
        .offset:         8
        .size:           8
        .value_kind:     global_buffer
      - .offset:         16
        .size:           8
        .value_kind:     by_value
      - .offset:         24
        .size:           8
        .value_kind:     by_value
      - .offset:         32
        .size:           8
        .value_kind:     by_value
      - .actual_access:  read_only
        .address_space:  global
        .offset:         40
        .size:           8
        .value_kind:     global_buffer
      - .offset:         48
        .size:           8
        .value_kind:     by_value
      - .offset:         56
        .size:           8
        .value_kind:     by_value
      - .offset:         64
        .size:           8
        .value_kind:     by_value
      - .offset:         72
        .size:           4
        .value_kind:     by_value
      - .actual_access:  write_only
        .address_space:  global
        .offset:         80
        .size:           8
        .value_kind:     global_buffer
      - .actual_access:  write_only
        .address_space:  global
        .offset:         88
        .size:           8
        .value_kind:     global_buffer
      - .offset:         96
        .size:           4
        .value_kind:     hidden_block_count_x
      - .offset:         100
        .size:           4
        .value_kind:     hidden_block_count_y
      - .offset:         104
        .size:           4
        .value_kind:     hidden_block_count_z
      - .offset:         108
        .size:           2
        .value_kind:     hidden_group_size_x
      - .offset:         110
        .size:           2
        .value_kind:     hidden_group_size_y
      - .offset:         112
        .size:           2
        .value_kind:     hidden_group_size_z
      - .offset:         114
        .size:           2
        .value_kind:     hidden_remainder_x
      - .offset:         116
        .size:           2
        .value_kind:     hidden_remainder_y
      - .offset:         118
        .size:           2
        .value_kind:     hidden_remainder_z
      - .offset:         136
        .size:           8
        .value_kind:     hidden_global_offset_x
      - .offset:         144
        .size:           8
        .value_kind:     hidden_global_offset_y
      - .offset:         152
        .size:           8
        .value_kind:     hidden_global_offset_z
      - .offset:         160
        .size:           2
        .value_kind:     hidden_grid_dims
    .group_segment_fixed_size: 64
    .kernarg_segment_align: 8
    .kernarg_segment_size: 352
    .language:       OpenCL C
    .language_version:
      - 2
      - 0
    .max_flat_workgroup_size: 512
    .name:           _ZL18rocblas_dot_kernelIlLb0ELi512ELi4ELb0EfPKDF16_DF16_EviT5_lT_lS2_lS3_liPT6_PT4_
    .private_segment_fixed_size: 0
    .sgpr_count:     30
    .sgpr_spill_count: 0
    .symbol:         _ZL18rocblas_dot_kernelIlLb0ELi512ELi4ELb0EfPKDF16_DF16_EviT5_lT_lS2_lS3_liPT6_PT4_.kd
    .uniform_work_group_size: 1
    .uses_dynamic_stack: false
    .vgpr_count:     11
    .vgpr_spill_count: 0
    .wavefront_size: 32
    .workgroup_processor_mode: 1
  - .args:
      - .offset:         0
        .size:           4
        .value_kind:     by_value
      - .actual_access:  read_only
        .address_space:  global
        .offset:         8
        .size:           8
        .value_kind:     global_buffer
      - .offset:         16
        .size:           8
        .value_kind:     by_value
      - .offset:         24
        .size:           8
        .value_kind:     by_value
      - .offset:         32
        .size:           8
        .value_kind:     by_value
      - .offset:         40
        .size:           4
        .value_kind:     by_value
      - .actual_access:  write_only
        .address_space:  global
        .offset:         48
        .size:           8
        .value_kind:     global_buffer
      - .actual_access:  write_only
        .address_space:  global
        .offset:         56
        .size:           8
        .value_kind:     global_buffer
      - .offset:         64
        .size:           4
        .value_kind:     hidden_block_count_x
      - .offset:         68
        .size:           4
        .value_kind:     hidden_block_count_y
      - .offset:         72
        .size:           4
        .value_kind:     hidden_block_count_z
      - .offset:         76
        .size:           2
        .value_kind:     hidden_group_size_x
      - .offset:         78
        .size:           2
        .value_kind:     hidden_group_size_y
      - .offset:         80
        .size:           2
        .value_kind:     hidden_group_size_z
      - .offset:         82
        .size:           2
        .value_kind:     hidden_remainder_x
      - .offset:         84
        .size:           2
        .value_kind:     hidden_remainder_y
      - .offset:         86
        .size:           2
        .value_kind:     hidden_remainder_z
      - .offset:         104
        .size:           8
        .value_kind:     hidden_global_offset_x
      - .offset:         112
        .size:           8
        .value_kind:     hidden_global_offset_y
      - .offset:         120
        .size:           8
        .value_kind:     hidden_global_offset_z
      - .offset:         128
        .size:           2
        .value_kind:     hidden_grid_dims
    .group_segment_fixed_size: 64
    .kernarg_segment_align: 8
    .kernarg_segment_size: 320
    .language:       OpenCL C
    .language_version:
      - 2
      - 0
    .max_flat_workgroup_size: 512
    .name:           _ZL24rocblas_dot_kernel_magsqIlLb0ELi512ELi4ELb0EfPKDF16_DF16_EviT5_lT_liPT6_PT4_
    .private_segment_fixed_size: 0
    .sgpr_count:     24
    .sgpr_spill_count: 0
    .symbol:         _ZL24rocblas_dot_kernel_magsqIlLb0ELi512ELi4ELb0EfPKDF16_DF16_EviT5_lT_liPT6_PT4_.kd
    .uniform_work_group_size: 1
    .uses_dynamic_stack: false
    .vgpr_count:     10
    .vgpr_spill_count: 0
    .wavefront_size: 32
    .workgroup_processor_mode: 1
  - .args:
      - .offset:         0
        .size:           4
        .value_kind:     by_value
      - .actual_access:  read_only
        .address_space:  global
        .offset:         8
        .size:           8
        .value_kind:     global_buffer
      - .offset:         16
        .size:           8
        .value_kind:     by_value
      - .offset:         24
        .size:           8
        .value_kind:     by_value
      - .offset:         32
        .size:           8
        .value_kind:     by_value
      - .actual_access:  read_only
        .address_space:  global
        .offset:         40
        .size:           8
        .value_kind:     global_buffer
      - .offset:         48
        .size:           8
        .value_kind:     by_value
      - .offset:         56
        .size:           8
        .value_kind:     by_value
      - .offset:         64
        .size:           8
        .value_kind:     by_value
      - .offset:         72
        .size:           4
        .value_kind:     by_value
      - .actual_access:  write_only
        .address_space:  global
        .offset:         80
        .size:           8
        .value_kind:     global_buffer
    .group_segment_fixed_size: 0
    .kernarg_segment_align: 8
    .kernarg_segment_size: 88
    .language:       OpenCL C
    .language_version:
      - 2
      - 0
    .max_flat_workgroup_size: 128
    .name:           _ZL28rocblas_dot_batched_4_kernelIlLi32ELi4ELb0EDF16_fPKPKDF16_EviT5_lT_lS4_lS5_liPT4_
    .private_segment_fixed_size: 0
    .sgpr_count:     18
    .sgpr_spill_count: 0
    .symbol:         _ZL28rocblas_dot_batched_4_kernelIlLi32ELi4ELb0EDF16_fPKPKDF16_EviT5_lT_lS4_lS5_liPT4_.kd
    .uniform_work_group_size: 1
    .uses_dynamic_stack: false
    .vgpr_count:     14
    .vgpr_spill_count: 0
    .wavefront_size: 32
    .workgroup_processor_mode: 1
  - .args:
      - .offset:         0
        .size:           4
        .value_kind:     by_value
      - .actual_access:  read_only
        .address_space:  global
        .offset:         8
        .size:           8
        .value_kind:     global_buffer
      - .offset:         16
        .size:           8
        .value_kind:     by_value
      - .offset:         24
        .size:           8
        .value_kind:     by_value
      - .offset:         32
        .size:           8
        .value_kind:     by_value
      - .actual_access:  read_only
        .address_space:  global
        .offset:         40
        .size:           8
        .value_kind:     global_buffer
      - .offset:         48
        .size:           8
        .value_kind:     by_value
      - .offset:         56
        .size:           8
        .value_kind:     by_value
      - .offset:         64
        .size:           8
        .value_kind:     by_value
      - .offset:         72
        .size:           4
        .value_kind:     by_value
      - .actual_access:  write_only
        .address_space:  global
        .offset:         80
        .size:           8
        .value_kind:     global_buffer
    .group_segment_fixed_size: 0
    .kernarg_segment_align: 8
    .kernarg_segment_size: 88
    .language:       OpenCL C
    .language_version:
      - 2
      - 0
    .max_flat_workgroup_size: 256
    .name:           _ZL28rocblas_dot_batched_4_kernelIlLi64ELi4ELb0EDF16_fPKPKDF16_EviT5_lT_lS4_lS5_liPT4_
    .private_segment_fixed_size: 0
    .sgpr_count:     18
    .sgpr_spill_count: 0
    .symbol:         _ZL28rocblas_dot_batched_4_kernelIlLi64ELi4ELb0EDF16_fPKPKDF16_EviT5_lT_lS4_lS5_liPT4_.kd
    .uniform_work_group_size: 1
    .uses_dynamic_stack: false
    .vgpr_count:     14
    .vgpr_spill_count: 0
    .wavefront_size: 32
    .workgroup_processor_mode: 1
  - .args:
      - .offset:         0
        .size:           4
        .value_kind:     by_value
      - .actual_access:  read_only
        .address_space:  global
        .offset:         8
        .size:           8
        .value_kind:     global_buffer
      - .offset:         16
        .size:           8
        .value_kind:     by_value
      - .offset:         24
        .size:           8
        .value_kind:     by_value
      - .actual_access:  read_only
        .address_space:  global
        .offset:         32
        .size:           8
        .value_kind:     global_buffer
      - .offset:         40
        .size:           8
        .value_kind:     by_value
      - .offset:         48
        .size:           8
        .value_kind:     by_value
      - .offset:         56
        .size:           4
        .value_kind:     by_value
      - .actual_access:  read_only
        .address_space:  global
        .offset:         64
        .size:           8
        .value_kind:     global_buffer
      - .actual_access:  write_only
        .address_space:  global
        .offset:         72
        .size:           8
        .value_kind:     global_buffer
    .group_segment_fixed_size: 64
    .kernarg_segment_align: 8
    .kernarg_segment_size: 80
    .language:       OpenCL C
    .language_version:
      - 2
      - 0
    .max_flat_workgroup_size: 1024
    .name:           _ZL26rocblas_dot_kernel_inc1by2ILb1ELi1024ELi32ELb0EfPKPKDF16_DF16_EviT4_llS4_lliPT5_PT3_
    .private_segment_fixed_size: 0
    .sgpr_count:     21
    .sgpr_spill_count: 0
    .symbol:         _ZL26rocblas_dot_kernel_inc1by2ILb1ELi1024ELi32ELb0EfPKPKDF16_DF16_EviT4_llS4_lliPT5_PT3_.kd
    .uniform_work_group_size: 1
    .uses_dynamic_stack: false
    .vgpr_count:     11
    .vgpr_spill_count: 0
    .wavefront_size: 32
    .workgroup_processor_mode: 1
  - .args:
      - .offset:         0
        .size:           4
        .value_kind:     by_value
      - .actual_access:  read_only
        .address_space:  global
        .offset:         8
        .size:           8
        .value_kind:     global_buffer
      - .offset:         16
        .size:           8
        .value_kind:     by_value
      - .offset:         24
        .size:           8
        .value_kind:     by_value
      - .offset:         32
        .size:           8
        .value_kind:     by_value
      - .actual_access:  read_only
        .address_space:  global
        .offset:         40
        .size:           8
        .value_kind:     global_buffer
      - .offset:         48
        .size:           8
        .value_kind:     by_value
      - .offset:         56
        .size:           8
        .value_kind:     by_value
      - .offset:         64
        .size:           8
        .value_kind:     by_value
      - .offset:         72
        .size:           4
        .value_kind:     by_value
      - .actual_access:  read_only
        .address_space:  global
        .offset:         80
        .size:           8
        .value_kind:     global_buffer
      - .actual_access:  write_only
        .address_space:  global
        .offset:         88
        .size:           8
        .value_kind:     global_buffer
      - .offset:         96
        .size:           4
        .value_kind:     hidden_block_count_x
      - .offset:         100
        .size:           4
        .value_kind:     hidden_block_count_y
      - .offset:         104
        .size:           4
        .value_kind:     hidden_block_count_z
      - .offset:         108
        .size:           2
        .value_kind:     hidden_group_size_x
      - .offset:         110
        .size:           2
        .value_kind:     hidden_group_size_y
      - .offset:         112
        .size:           2
        .value_kind:     hidden_group_size_z
      - .offset:         114
        .size:           2
        .value_kind:     hidden_remainder_x
      - .offset:         116
        .size:           2
        .value_kind:     hidden_remainder_y
      - .offset:         118
        .size:           2
        .value_kind:     hidden_remainder_z
      - .offset:         136
        .size:           8
        .value_kind:     hidden_global_offset_x
      - .offset:         144
        .size:           8
        .value_kind:     hidden_global_offset_y
      - .offset:         152
        .size:           8
        .value_kind:     hidden_global_offset_z
      - .offset:         160
        .size:           2
        .value_kind:     hidden_grid_dims
    .group_segment_fixed_size: 64
    .kernarg_segment_align: 8
    .kernarg_segment_size: 352
    .language:       OpenCL C
    .language_version:
      - 2
      - 0
    .max_flat_workgroup_size: 1024
    .name:           _ZL18rocblas_dot_kernelIlLb1ELi1024ELi32ELb0EfPKPKDF16_DF16_EviT5_lT_lS4_lS5_liPT6_PT4_
    .private_segment_fixed_size: 0
    .sgpr_count:     27
    .sgpr_spill_count: 0
    .symbol:         _ZL18rocblas_dot_kernelIlLb1ELi1024ELi32ELb0EfPKPKDF16_DF16_EviT5_lT_lS4_lS5_liPT6_PT4_.kd
    .uniform_work_group_size: 1
    .uses_dynamic_stack: false
    .vgpr_count:     11
    .vgpr_spill_count: 0
    .wavefront_size: 32
    .workgroup_processor_mode: 1
  - .args:
      - .offset:         0
        .size:           4
        .value_kind:     by_value
      - .actual_access:  read_only
        .address_space:  global
        .offset:         8
        .size:           8
        .value_kind:     global_buffer
      - .offset:         16
        .size:           8
        .value_kind:     by_value
      - .offset:         24
        .size:           8
        .value_kind:     by_value
      - .offset:         32
        .size:           8
        .value_kind:     by_value
      - .offset:         40
        .size:           4
        .value_kind:     by_value
      - .actual_access:  read_only
        .address_space:  global
        .offset:         48
        .size:           8
        .value_kind:     global_buffer
      - .actual_access:  write_only
        .address_space:  global
        .offset:         56
        .size:           8
        .value_kind:     global_buffer
      - .offset:         64
        .size:           4
        .value_kind:     hidden_block_count_x
      - .offset:         68
        .size:           4
        .value_kind:     hidden_block_count_y
      - .offset:         72
        .size:           4
        .value_kind:     hidden_block_count_z
      - .offset:         76
        .size:           2
        .value_kind:     hidden_group_size_x
      - .offset:         78
        .size:           2
        .value_kind:     hidden_group_size_y
      - .offset:         80
        .size:           2
        .value_kind:     hidden_group_size_z
      - .offset:         82
        .size:           2
        .value_kind:     hidden_remainder_x
      - .offset:         84
        .size:           2
        .value_kind:     hidden_remainder_y
      - .offset:         86
        .size:           2
        .value_kind:     hidden_remainder_z
      - .offset:         104
        .size:           8
        .value_kind:     hidden_global_offset_x
      - .offset:         112
        .size:           8
        .value_kind:     hidden_global_offset_y
      - .offset:         120
        .size:           8
        .value_kind:     hidden_global_offset_z
      - .offset:         128
        .size:           2
        .value_kind:     hidden_grid_dims
    .group_segment_fixed_size: 64
    .kernarg_segment_align: 8
    .kernarg_segment_size: 320
    .language:       OpenCL C
    .language_version:
      - 2
      - 0
    .max_flat_workgroup_size: 1024
    .name:           _ZL24rocblas_dot_kernel_magsqIlLb1ELi1024ELi32ELb0EfPKPKDF16_DF16_EviT5_lT_liPT6_PT4_
    .private_segment_fixed_size: 0
    .sgpr_count:     19
    .sgpr_spill_count: 0
    .symbol:         _ZL24rocblas_dot_kernel_magsqIlLb1ELi1024ELi32ELb0EfPKPKDF16_DF16_EviT5_lT_liPT6_PT4_.kd
    .uniform_work_group_size: 1
    .uses_dynamic_stack: false
    .vgpr_count:     11
    .vgpr_spill_count: 0
    .wavefront_size: 32
    .workgroup_processor_mode: 1
  - .args:
      - .offset:         0
        .size:           4
        .value_kind:     by_value
      - .actual_access:  read_only
        .address_space:  global
        .offset:         8
        .size:           8
        .value_kind:     global_buffer
      - .offset:         16
        .size:           8
        .value_kind:     by_value
      - .offset:         24
        .size:           8
        .value_kind:     by_value
      - .actual_access:  read_only
        .address_space:  global
        .offset:         32
        .size:           8
        .value_kind:     global_buffer
      - .offset:         40
        .size:           8
        .value_kind:     by_value
      - .offset:         48
        .size:           8
        .value_kind:     by_value
      - .offset:         56
        .size:           4
        .value_kind:     by_value
      - .actual_access:  write_only
        .address_space:  global
        .offset:         64
        .size:           8
        .value_kind:     global_buffer
      - .actual_access:  write_only
        .address_space:  global
        .offset:         72
        .size:           8
        .value_kind:     global_buffer
      - .offset:         80
        .size:           4
        .value_kind:     hidden_block_count_x
      - .offset:         84
        .size:           4
        .value_kind:     hidden_block_count_y
      - .offset:         88
        .size:           4
        .value_kind:     hidden_block_count_z
      - .offset:         92
        .size:           2
        .value_kind:     hidden_group_size_x
      - .offset:         94
        .size:           2
        .value_kind:     hidden_group_size_y
      - .offset:         96
        .size:           2
        .value_kind:     hidden_group_size_z
      - .offset:         98
        .size:           2
        .value_kind:     hidden_remainder_x
      - .offset:         100
        .size:           2
        .value_kind:     hidden_remainder_y
      - .offset:         102
        .size:           2
        .value_kind:     hidden_remainder_z
      - .offset:         120
        .size:           8
        .value_kind:     hidden_global_offset_x
      - .offset:         128
        .size:           8
        .value_kind:     hidden_global_offset_y
      - .offset:         136
        .size:           8
        .value_kind:     hidden_global_offset_z
      - .offset:         144
        .size:           2
        .value_kind:     hidden_grid_dims
    .group_segment_fixed_size: 64
    .kernarg_segment_align: 8
    .kernarg_segment_size: 336
    .language:       OpenCL C
    .language_version:
      - 2
      - 0
    .max_flat_workgroup_size: 512
    .name:           _ZL23rocblas_dot_kernel_inc1ILb0ELi512ELi4ELb0EfPKPKDF16_DF16_EviT4_llS4_lliPT5_PT3_
    .private_segment_fixed_size: 0
    .sgpr_count:     26
    .sgpr_spill_count: 0
    .symbol:         _ZL23rocblas_dot_kernel_inc1ILb0ELi512ELi4ELb0EfPKPKDF16_DF16_EviT4_llS4_lliPT5_PT3_.kd
    .uniform_work_group_size: 1
    .uses_dynamic_stack: false
    .vgpr_count:     10
    .vgpr_spill_count: 0
    .wavefront_size: 32
    .workgroup_processor_mode: 1
  - .args:
      - .offset:         0
        .size:           4
        .value_kind:     by_value
      - .actual_access:  read_only
        .address_space:  global
        .offset:         8
        .size:           8
        .value_kind:     global_buffer
      - .offset:         16
        .size:           8
        .value_kind:     by_value
      - .offset:         24
        .size:           8
        .value_kind:     by_value
      - .offset:         32
        .size:           8
        .value_kind:     by_value
      - .actual_access:  read_only
        .address_space:  global
        .offset:         40
        .size:           8
        .value_kind:     global_buffer
      - .offset:         48
        .size:           8
        .value_kind:     by_value
      - .offset:         56
        .size:           8
        .value_kind:     by_value
      - .offset:         64
        .size:           8
        .value_kind:     by_value
      - .offset:         72
        .size:           4
        .value_kind:     by_value
      - .actual_access:  write_only
        .address_space:  global
        .offset:         80
        .size:           8
        .value_kind:     global_buffer
      - .actual_access:  write_only
        .address_space:  global
        .offset:         88
        .size:           8
        .value_kind:     global_buffer
      - .offset:         96
        .size:           4
        .value_kind:     hidden_block_count_x
      - .offset:         100
        .size:           4
        .value_kind:     hidden_block_count_y
      - .offset:         104
        .size:           4
        .value_kind:     hidden_block_count_z
      - .offset:         108
        .size:           2
        .value_kind:     hidden_group_size_x
      - .offset:         110
        .size:           2
        .value_kind:     hidden_group_size_y
      - .offset:         112
        .size:           2
        .value_kind:     hidden_group_size_z
      - .offset:         114
        .size:           2
        .value_kind:     hidden_remainder_x
      - .offset:         116
        .size:           2
        .value_kind:     hidden_remainder_y
      - .offset:         118
        .size:           2
        .value_kind:     hidden_remainder_z
      - .offset:         136
        .size:           8
        .value_kind:     hidden_global_offset_x
      - .offset:         144
        .size:           8
        .value_kind:     hidden_global_offset_y
      - .offset:         152
        .size:           8
        .value_kind:     hidden_global_offset_z
      - .offset:         160
        .size:           2
        .value_kind:     hidden_grid_dims
    .group_segment_fixed_size: 64
    .kernarg_segment_align: 8
    .kernarg_segment_size: 352
    .language:       OpenCL C
    .language_version:
      - 2
      - 0
    .max_flat_workgroup_size: 512
    .name:           _ZL18rocblas_dot_kernelIlLb0ELi512ELi4ELb0EfPKPKDF16_DF16_EviT5_lT_lS4_lS5_liPT6_PT4_
    .private_segment_fixed_size: 0
    .sgpr_count:     31
    .sgpr_spill_count: 0
    .symbol:         _ZL18rocblas_dot_kernelIlLb0ELi512ELi4ELb0EfPKPKDF16_DF16_EviT5_lT_lS4_lS5_liPT6_PT4_.kd
    .uniform_work_group_size: 1
    .uses_dynamic_stack: false
    .vgpr_count:     12
    .vgpr_spill_count: 0
    .wavefront_size: 32
    .workgroup_processor_mode: 1
  - .args:
      - .offset:         0
        .size:           4
        .value_kind:     by_value
      - .actual_access:  read_only
        .address_space:  global
        .offset:         8
        .size:           8
        .value_kind:     global_buffer
      - .offset:         16
        .size:           8
        .value_kind:     by_value
      - .offset:         24
        .size:           8
        .value_kind:     by_value
      - .offset:         32
        .size:           8
        .value_kind:     by_value
      - .offset:         40
        .size:           4
        .value_kind:     by_value
      - .actual_access:  write_only
        .address_space:  global
        .offset:         48
        .size:           8
        .value_kind:     global_buffer
      - .actual_access:  write_only
        .address_space:  global
        .offset:         56
        .size:           8
        .value_kind:     global_buffer
      - .offset:         64
        .size:           4
        .value_kind:     hidden_block_count_x
      - .offset:         68
        .size:           4
        .value_kind:     hidden_block_count_y
      - .offset:         72
        .size:           4
        .value_kind:     hidden_block_count_z
      - .offset:         76
        .size:           2
        .value_kind:     hidden_group_size_x
      - .offset:         78
        .size:           2
        .value_kind:     hidden_group_size_y
      - .offset:         80
        .size:           2
        .value_kind:     hidden_group_size_z
      - .offset:         82
        .size:           2
        .value_kind:     hidden_remainder_x
      - .offset:         84
        .size:           2
        .value_kind:     hidden_remainder_y
      - .offset:         86
        .size:           2
        .value_kind:     hidden_remainder_z
      - .offset:         104
        .size:           8
        .value_kind:     hidden_global_offset_x
      - .offset:         112
        .size:           8
        .value_kind:     hidden_global_offset_y
      - .offset:         120
        .size:           8
        .value_kind:     hidden_global_offset_z
      - .offset:         128
        .size:           2
        .value_kind:     hidden_grid_dims
    .group_segment_fixed_size: 64
    .kernarg_segment_align: 8
    .kernarg_segment_size: 320
    .language:       OpenCL C
    .language_version:
      - 2
      - 0
    .max_flat_workgroup_size: 512
    .name:           _ZL24rocblas_dot_kernel_magsqIlLb0ELi512ELi4ELb0EfPKPKDF16_DF16_EviT5_lT_liPT6_PT4_
    .private_segment_fixed_size: 0
    .sgpr_count:     22
    .sgpr_spill_count: 0
    .symbol:         _ZL24rocblas_dot_kernel_magsqIlLb0ELi512ELi4ELb0EfPKPKDF16_DF16_EviT5_lT_liPT6_PT4_.kd
    .uniform_work_group_size: 1
    .uses_dynamic_stack: false
    .vgpr_count:     10
    .vgpr_spill_count: 0
    .wavefront_size: 32
    .workgroup_processor_mode: 1
  - .args:
      - .offset:         0
        .size:           4
        .value_kind:     by_value
      - .actual_access:  read_only
        .address_space:  global
        .offset:         8
        .size:           8
        .value_kind:     global_buffer
      - .offset:         16
        .size:           8
        .value_kind:     by_value
      - .offset:         24
        .size:           8
        .value_kind:     by_value
      - .offset:         32
        .size:           8
        .value_kind:     by_value
      - .actual_access:  read_only
        .address_space:  global
        .offset:         40
        .size:           8
        .value_kind:     global_buffer
      - .offset:         48
        .size:           8
        .value_kind:     by_value
      - .offset:         56
        .size:           8
        .value_kind:     by_value
      - .offset:         64
        .size:           8
        .value_kind:     by_value
      - .offset:         72
        .size:           4
        .value_kind:     by_value
      - .actual_access:  write_only
        .address_space:  global
        .offset:         80
        .size:           8
        .value_kind:     global_buffer
    .group_segment_fixed_size: 0
    .kernarg_segment_align: 8
    .kernarg_segment_size: 88
    .language:       OpenCL C
    .language_version:
      - 2
      - 0
    .max_flat_workgroup_size: 128
    .name:           _ZL28rocblas_dot_batched_4_kernelIlLi32ELi4ELb0EffPK16rocblas_bfloat16EviT5_lT_lS3_lS4_liPT4_
    .private_segment_fixed_size: 0
    .sgpr_count:     22
    .sgpr_spill_count: 0
    .symbol:         _ZL28rocblas_dot_batched_4_kernelIlLi32ELi4ELb0EffPK16rocblas_bfloat16EviT5_lT_lS3_lS4_liPT4_.kd
    .uniform_work_group_size: 1
    .uses_dynamic_stack: false
    .vgpr_count:     17
    .vgpr_spill_count: 0
    .wavefront_size: 32
    .workgroup_processor_mode: 1
  - .args:
      - .offset:         0
        .size:           4
        .value_kind:     by_value
      - .actual_access:  read_only
        .address_space:  global
        .offset:         8
        .size:           8
        .value_kind:     global_buffer
      - .offset:         16
        .size:           8
        .value_kind:     by_value
      - .offset:         24
        .size:           8
        .value_kind:     by_value
      - .offset:         32
        .size:           8
        .value_kind:     by_value
      - .actual_access:  read_only
        .address_space:  global
        .offset:         40
        .size:           8
        .value_kind:     global_buffer
      - .offset:         48
        .size:           8
        .value_kind:     by_value
      - .offset:         56
        .size:           8
        .value_kind:     by_value
      - .offset:         64
        .size:           8
        .value_kind:     by_value
      - .offset:         72
        .size:           4
        .value_kind:     by_value
      - .actual_access:  write_only
        .address_space:  global
        .offset:         80
        .size:           8
        .value_kind:     global_buffer
    .group_segment_fixed_size: 0
    .kernarg_segment_align: 8
    .kernarg_segment_size: 88
    .language:       OpenCL C
    .language_version:
      - 2
      - 0
    .max_flat_workgroup_size: 256
    .name:           _ZL28rocblas_dot_batched_4_kernelIlLi64ELi4ELb0EffPK16rocblas_bfloat16EviT5_lT_lS3_lS4_liPT4_
    .private_segment_fixed_size: 0
    .sgpr_count:     22
    .sgpr_spill_count: 0
    .symbol:         _ZL28rocblas_dot_batched_4_kernelIlLi64ELi4ELb0EffPK16rocblas_bfloat16EviT5_lT_lS3_lS4_liPT4_.kd
    .uniform_work_group_size: 1
    .uses_dynamic_stack: false
    .vgpr_count:     17
    .vgpr_spill_count: 0
    .wavefront_size: 32
    .workgroup_processor_mode: 1
  - .args:
      - .offset:         0
        .size:           4
        .value_kind:     by_value
      - .actual_access:  read_only
        .address_space:  global
        .offset:         8
        .size:           8
        .value_kind:     global_buffer
      - .offset:         16
        .size:           8
        .value_kind:     by_value
      - .offset:         24
        .size:           8
        .value_kind:     by_value
      - .actual_access:  read_only
        .address_space:  global
        .offset:         32
        .size:           8
        .value_kind:     global_buffer
      - .offset:         40
        .size:           8
        .value_kind:     by_value
      - .offset:         48
        .size:           8
        .value_kind:     by_value
      - .offset:         56
        .size:           4
        .value_kind:     by_value
      - .actual_access:  read_only
        .address_space:  global
        .offset:         64
        .size:           8
        .value_kind:     global_buffer
      - .actual_access:  write_only
        .address_space:  global
        .offset:         72
        .size:           8
        .value_kind:     global_buffer
    .group_segment_fixed_size: 128
    .kernarg_segment_align: 8
    .kernarg_segment_size: 80
    .language:       OpenCL C
    .language_version:
      - 2
      - 0
    .max_flat_workgroup_size: 1024
    .name:           _ZL26rocblas_dot_kernel_inc1by2ILb1ELi1024ELi32ELb0EfPK16rocblas_bfloat16fEviT4_llS3_lliPT5_PT3_
    .private_segment_fixed_size: 0
    .sgpr_count:     26
    .sgpr_spill_count: 0
    .symbol:         _ZL26rocblas_dot_kernel_inc1by2ILb1ELi1024ELi32ELb0EfPK16rocblas_bfloat16fEviT4_llS3_lliPT5_PT3_.kd
    .uniform_work_group_size: 1
    .uses_dynamic_stack: false
    .vgpr_count:     11
    .vgpr_spill_count: 0
    .wavefront_size: 32
    .workgroup_processor_mode: 1
  - .args:
      - .offset:         0
        .size:           4
        .value_kind:     by_value
      - .actual_access:  read_only
        .address_space:  global
        .offset:         8
        .size:           8
        .value_kind:     global_buffer
      - .offset:         16
        .size:           8
        .value_kind:     by_value
      - .offset:         24
        .size:           8
        .value_kind:     by_value
      - .offset:         32
        .size:           8
        .value_kind:     by_value
      - .actual_access:  read_only
        .address_space:  global
        .offset:         40
        .size:           8
        .value_kind:     global_buffer
      - .offset:         48
        .size:           8
        .value_kind:     by_value
      - .offset:         56
        .size:           8
        .value_kind:     by_value
      - .offset:         64
        .size:           8
        .value_kind:     by_value
      - .offset:         72
        .size:           4
        .value_kind:     by_value
      - .actual_access:  read_only
        .address_space:  global
        .offset:         80
        .size:           8
        .value_kind:     global_buffer
      - .actual_access:  write_only
        .address_space:  global
        .offset:         88
        .size:           8
        .value_kind:     global_buffer
      - .offset:         96
        .size:           4
        .value_kind:     hidden_block_count_x
      - .offset:         100
        .size:           4
        .value_kind:     hidden_block_count_y
      - .offset:         104
        .size:           4
        .value_kind:     hidden_block_count_z
      - .offset:         108
        .size:           2
        .value_kind:     hidden_group_size_x
      - .offset:         110
        .size:           2
        .value_kind:     hidden_group_size_y
      - .offset:         112
        .size:           2
        .value_kind:     hidden_group_size_z
      - .offset:         114
        .size:           2
        .value_kind:     hidden_remainder_x
      - .offset:         116
        .size:           2
        .value_kind:     hidden_remainder_y
      - .offset:         118
        .size:           2
        .value_kind:     hidden_remainder_z
      - .offset:         136
        .size:           8
        .value_kind:     hidden_global_offset_x
      - .offset:         144
        .size:           8
        .value_kind:     hidden_global_offset_y
      - .offset:         152
        .size:           8
        .value_kind:     hidden_global_offset_z
      - .offset:         160
        .size:           2
        .value_kind:     hidden_grid_dims
    .group_segment_fixed_size: 128
    .kernarg_segment_align: 8
    .kernarg_segment_size: 352
    .language:       OpenCL C
    .language_version:
      - 2
      - 0
    .max_flat_workgroup_size: 1024
    .name:           _ZL18rocblas_dot_kernelIlLb1ELi1024ELi32ELb0EfPK16rocblas_bfloat16fEviT5_lT_lS3_lS4_liPT6_PT4_
    .private_segment_fixed_size: 0
    .sgpr_count:     29
    .sgpr_spill_count: 0
    .symbol:         _ZL18rocblas_dot_kernelIlLb1ELi1024ELi32ELb0EfPK16rocblas_bfloat16fEviT5_lT_lS3_lS4_liPT6_PT4_.kd
    .uniform_work_group_size: 1
    .uses_dynamic_stack: false
    .vgpr_count:     11
    .vgpr_spill_count: 0
    .wavefront_size: 32
    .workgroup_processor_mode: 1
  - .args:
      - .offset:         0
        .size:           4
        .value_kind:     by_value
      - .actual_access:  read_only
        .address_space:  global
        .offset:         8
        .size:           8
        .value_kind:     global_buffer
      - .offset:         16
        .size:           8
        .value_kind:     by_value
      - .offset:         24
        .size:           8
        .value_kind:     by_value
      - .offset:         32
        .size:           8
        .value_kind:     by_value
      - .offset:         40
        .size:           4
        .value_kind:     by_value
      - .actual_access:  read_only
        .address_space:  global
        .offset:         48
        .size:           8
        .value_kind:     global_buffer
      - .actual_access:  write_only
        .address_space:  global
        .offset:         56
        .size:           8
        .value_kind:     global_buffer
      - .offset:         64
        .size:           4
        .value_kind:     hidden_block_count_x
      - .offset:         68
        .size:           4
        .value_kind:     hidden_block_count_y
      - .offset:         72
        .size:           4
        .value_kind:     hidden_block_count_z
      - .offset:         76
        .size:           2
        .value_kind:     hidden_group_size_x
      - .offset:         78
        .size:           2
        .value_kind:     hidden_group_size_y
      - .offset:         80
        .size:           2
        .value_kind:     hidden_group_size_z
      - .offset:         82
        .size:           2
        .value_kind:     hidden_remainder_x
      - .offset:         84
        .size:           2
        .value_kind:     hidden_remainder_y
      - .offset:         86
        .size:           2
        .value_kind:     hidden_remainder_z
      - .offset:         104
        .size:           8
        .value_kind:     hidden_global_offset_x
      - .offset:         112
        .size:           8
        .value_kind:     hidden_global_offset_y
      - .offset:         120
        .size:           8
        .value_kind:     hidden_global_offset_z
      - .offset:         128
        .size:           2
        .value_kind:     hidden_grid_dims
    .group_segment_fixed_size: 128
    .kernarg_segment_align: 8
    .kernarg_segment_size: 320
    .language:       OpenCL C
    .language_version:
      - 2
      - 0
    .max_flat_workgroup_size: 1024
    .name:           _ZL24rocblas_dot_kernel_magsqIlLb1ELi1024ELi32ELb0EfPK16rocblas_bfloat16fEviT5_lT_liPT6_PT4_
    .private_segment_fixed_size: 0
    .sgpr_count:     19
    .sgpr_spill_count: 0
    .symbol:         _ZL24rocblas_dot_kernel_magsqIlLb1ELi1024ELi32ELb0EfPK16rocblas_bfloat16fEviT5_lT_liPT6_PT4_.kd
    .uniform_work_group_size: 1
    .uses_dynamic_stack: false
    .vgpr_count:     10
    .vgpr_spill_count: 0
    .wavefront_size: 32
    .workgroup_processor_mode: 1
  - .args:
      - .offset:         0
        .size:           4
        .value_kind:     by_value
      - .actual_access:  read_only
        .address_space:  global
        .offset:         8
        .size:           8
        .value_kind:     global_buffer
      - .offset:         16
        .size:           8
        .value_kind:     by_value
      - .offset:         24
        .size:           8
        .value_kind:     by_value
      - .actual_access:  read_only
        .address_space:  global
        .offset:         32
        .size:           8
        .value_kind:     global_buffer
      - .offset:         40
        .size:           8
        .value_kind:     by_value
      - .offset:         48
        .size:           8
        .value_kind:     by_value
      - .offset:         56
        .size:           4
        .value_kind:     by_value
      - .actual_access:  write_only
        .address_space:  global
        .offset:         64
        .size:           8
        .value_kind:     global_buffer
      - .actual_access:  write_only
        .address_space:  global
        .offset:         72
        .size:           8
        .value_kind:     global_buffer
      - .offset:         80
        .size:           4
        .value_kind:     hidden_block_count_x
      - .offset:         84
        .size:           4
        .value_kind:     hidden_block_count_y
      - .offset:         88
        .size:           4
        .value_kind:     hidden_block_count_z
      - .offset:         92
        .size:           2
        .value_kind:     hidden_group_size_x
      - .offset:         94
        .size:           2
        .value_kind:     hidden_group_size_y
      - .offset:         96
        .size:           2
        .value_kind:     hidden_group_size_z
      - .offset:         98
        .size:           2
        .value_kind:     hidden_remainder_x
      - .offset:         100
        .size:           2
        .value_kind:     hidden_remainder_y
      - .offset:         102
        .size:           2
        .value_kind:     hidden_remainder_z
      - .offset:         120
        .size:           8
        .value_kind:     hidden_global_offset_x
      - .offset:         128
        .size:           8
        .value_kind:     hidden_global_offset_y
      - .offset:         136
        .size:           8
        .value_kind:     hidden_global_offset_z
      - .offset:         144
        .size:           2
        .value_kind:     hidden_grid_dims
    .group_segment_fixed_size: 128
    .kernarg_segment_align: 8
    .kernarg_segment_size: 336
    .language:       OpenCL C
    .language_version:
      - 2
      - 0
    .max_flat_workgroup_size: 512
    .name:           _ZL23rocblas_dot_kernel_inc1ILb0ELi512ELi4ELb0EfPK16rocblas_bfloat16fEviT4_llS3_lliPT5_PT3_
    .private_segment_fixed_size: 0
    .sgpr_count:     26
    .sgpr_spill_count: 0
    .symbol:         _ZL23rocblas_dot_kernel_inc1ILb0ELi512ELi4ELb0EfPK16rocblas_bfloat16fEviT4_llS3_lliPT5_PT3_.kd
    .uniform_work_group_size: 1
    .uses_dynamic_stack: false
    .vgpr_count:     9
    .vgpr_spill_count: 0
    .wavefront_size: 32
    .workgroup_processor_mode: 1
  - .args:
      - .offset:         0
        .size:           4
        .value_kind:     by_value
      - .actual_access:  read_only
        .address_space:  global
        .offset:         8
        .size:           8
        .value_kind:     global_buffer
      - .offset:         16
        .size:           8
        .value_kind:     by_value
      - .offset:         24
        .size:           8
        .value_kind:     by_value
      - .offset:         32
        .size:           8
        .value_kind:     by_value
      - .actual_access:  read_only
        .address_space:  global
        .offset:         40
        .size:           8
        .value_kind:     global_buffer
      - .offset:         48
        .size:           8
        .value_kind:     by_value
      - .offset:         56
        .size:           8
        .value_kind:     by_value
      - .offset:         64
        .size:           8
        .value_kind:     by_value
      - .offset:         72
        .size:           4
        .value_kind:     by_value
      - .actual_access:  write_only
        .address_space:  global
        .offset:         80
        .size:           8
        .value_kind:     global_buffer
      - .actual_access:  write_only
        .address_space:  global
        .offset:         88
        .size:           8
        .value_kind:     global_buffer
      - .offset:         96
        .size:           4
        .value_kind:     hidden_block_count_x
      - .offset:         100
        .size:           4
        .value_kind:     hidden_block_count_y
      - .offset:         104
        .size:           4
        .value_kind:     hidden_block_count_z
      - .offset:         108
        .size:           2
        .value_kind:     hidden_group_size_x
      - .offset:         110
        .size:           2
        .value_kind:     hidden_group_size_y
      - .offset:         112
        .size:           2
        .value_kind:     hidden_group_size_z
      - .offset:         114
        .size:           2
        .value_kind:     hidden_remainder_x
      - .offset:         116
        .size:           2
        .value_kind:     hidden_remainder_y
      - .offset:         118
        .size:           2
        .value_kind:     hidden_remainder_z
      - .offset:         136
        .size:           8
        .value_kind:     hidden_global_offset_x
      - .offset:         144
        .size:           8
        .value_kind:     hidden_global_offset_y
      - .offset:         152
        .size:           8
        .value_kind:     hidden_global_offset_z
      - .offset:         160
        .size:           2
        .value_kind:     hidden_grid_dims
    .group_segment_fixed_size: 128
    .kernarg_segment_align: 8
    .kernarg_segment_size: 352
    .language:       OpenCL C
    .language_version:
      - 2
      - 0
    .max_flat_workgroup_size: 512
    .name:           _ZL18rocblas_dot_kernelIlLb0ELi512ELi4ELb0EfPK16rocblas_bfloat16fEviT5_lT_lS3_lS4_liPT6_PT4_
    .private_segment_fixed_size: 0
    .sgpr_count:     30
    .sgpr_spill_count: 0
    .symbol:         _ZL18rocblas_dot_kernelIlLb0ELi512ELi4ELb0EfPK16rocblas_bfloat16fEviT5_lT_lS3_lS4_liPT6_PT4_.kd
    .uniform_work_group_size: 1
    .uses_dynamic_stack: false
    .vgpr_count:     11
    .vgpr_spill_count: 0
    .wavefront_size: 32
    .workgroup_processor_mode: 1
  - .args:
      - .offset:         0
        .size:           4
        .value_kind:     by_value
      - .actual_access:  read_only
        .address_space:  global
        .offset:         8
        .size:           8
        .value_kind:     global_buffer
      - .offset:         16
        .size:           8
        .value_kind:     by_value
      - .offset:         24
        .size:           8
        .value_kind:     by_value
      - .offset:         32
        .size:           8
        .value_kind:     by_value
      - .offset:         40
        .size:           4
        .value_kind:     by_value
      - .actual_access:  write_only
        .address_space:  global
        .offset:         48
        .size:           8
        .value_kind:     global_buffer
      - .actual_access:  write_only
        .address_space:  global
        .offset:         56
        .size:           8
        .value_kind:     global_buffer
      - .offset:         64
        .size:           4
        .value_kind:     hidden_block_count_x
      - .offset:         68
        .size:           4
        .value_kind:     hidden_block_count_y
      - .offset:         72
        .size:           4
        .value_kind:     hidden_block_count_z
      - .offset:         76
        .size:           2
        .value_kind:     hidden_group_size_x
      - .offset:         78
        .size:           2
        .value_kind:     hidden_group_size_y
      - .offset:         80
        .size:           2
        .value_kind:     hidden_group_size_z
      - .offset:         82
        .size:           2
        .value_kind:     hidden_remainder_x
      - .offset:         84
        .size:           2
        .value_kind:     hidden_remainder_y
      - .offset:         86
        .size:           2
        .value_kind:     hidden_remainder_z
      - .offset:         104
        .size:           8
        .value_kind:     hidden_global_offset_x
      - .offset:         112
        .size:           8
        .value_kind:     hidden_global_offset_y
      - .offset:         120
        .size:           8
        .value_kind:     hidden_global_offset_z
      - .offset:         128
        .size:           2
        .value_kind:     hidden_grid_dims
    .group_segment_fixed_size: 128
    .kernarg_segment_align: 8
    .kernarg_segment_size: 320
    .language:       OpenCL C
    .language_version:
      - 2
      - 0
    .max_flat_workgroup_size: 512
    .name:           _ZL24rocblas_dot_kernel_magsqIlLb0ELi512ELi4ELb0EfPK16rocblas_bfloat16fEviT5_lT_liPT6_PT4_
    .private_segment_fixed_size: 0
    .sgpr_count:     24
    .sgpr_spill_count: 0
    .symbol:         _ZL24rocblas_dot_kernel_magsqIlLb0ELi512ELi4ELb0EfPK16rocblas_bfloat16fEviT5_lT_liPT6_PT4_.kd
    .uniform_work_group_size: 1
    .uses_dynamic_stack: false
    .vgpr_count:     9
    .vgpr_spill_count: 0
    .wavefront_size: 32
    .workgroup_processor_mode: 1
  - .args:
      - .offset:         0
        .size:           4
        .value_kind:     by_value
      - .actual_access:  read_only
        .address_space:  global
        .offset:         8
        .size:           8
        .value_kind:     global_buffer
      - .offset:         16
        .size:           8
        .value_kind:     by_value
      - .offset:         24
        .size:           8
        .value_kind:     by_value
      - .offset:         32
        .size:           8
        .value_kind:     by_value
      - .actual_access:  read_only
        .address_space:  global
        .offset:         40
        .size:           8
        .value_kind:     global_buffer
      - .offset:         48
        .size:           8
        .value_kind:     by_value
      - .offset:         56
        .size:           8
        .value_kind:     by_value
      - .offset:         64
        .size:           8
        .value_kind:     by_value
      - .offset:         72
        .size:           4
        .value_kind:     by_value
      - .actual_access:  write_only
        .address_space:  global
        .offset:         80
        .size:           8
        .value_kind:     global_buffer
    .group_segment_fixed_size: 0
    .kernarg_segment_align: 8
    .kernarg_segment_size: 88
    .language:       OpenCL C
    .language_version:
      - 2
      - 0
    .max_flat_workgroup_size: 128
    .name:           _ZL28rocblas_dot_batched_4_kernelIlLi32ELi4ELb0EffPKPK16rocblas_bfloat16EviT5_lT_lS5_lS6_liPT4_
    .private_segment_fixed_size: 0
    .sgpr_count:     18
    .sgpr_spill_count: 0
    .symbol:         _ZL28rocblas_dot_batched_4_kernelIlLi32ELi4ELb0EffPKPK16rocblas_bfloat16EviT5_lT_lS5_lS6_liPT4_.kd
    .uniform_work_group_size: 1
    .uses_dynamic_stack: false
    .vgpr_count:     14
    .vgpr_spill_count: 0
    .wavefront_size: 32
    .workgroup_processor_mode: 1
  - .args:
      - .offset:         0
        .size:           4
        .value_kind:     by_value
      - .actual_access:  read_only
        .address_space:  global
        .offset:         8
        .size:           8
        .value_kind:     global_buffer
      - .offset:         16
        .size:           8
        .value_kind:     by_value
      - .offset:         24
        .size:           8
        .value_kind:     by_value
      - .offset:         32
        .size:           8
        .value_kind:     by_value
      - .actual_access:  read_only
        .address_space:  global
        .offset:         40
        .size:           8
        .value_kind:     global_buffer
      - .offset:         48
        .size:           8
        .value_kind:     by_value
      - .offset:         56
        .size:           8
        .value_kind:     by_value
      - .offset:         64
        .size:           8
        .value_kind:     by_value
      - .offset:         72
        .size:           4
        .value_kind:     by_value
      - .actual_access:  write_only
        .address_space:  global
        .offset:         80
        .size:           8
        .value_kind:     global_buffer
    .group_segment_fixed_size: 0
    .kernarg_segment_align: 8
    .kernarg_segment_size: 88
    .language:       OpenCL C
    .language_version:
      - 2
      - 0
    .max_flat_workgroup_size: 256
    .name:           _ZL28rocblas_dot_batched_4_kernelIlLi64ELi4ELb0EffPKPK16rocblas_bfloat16EviT5_lT_lS5_lS6_liPT4_
    .private_segment_fixed_size: 0
    .sgpr_count:     18
    .sgpr_spill_count: 0
    .symbol:         _ZL28rocblas_dot_batched_4_kernelIlLi64ELi4ELb0EffPKPK16rocblas_bfloat16EviT5_lT_lS5_lS6_liPT4_.kd
    .uniform_work_group_size: 1
    .uses_dynamic_stack: false
    .vgpr_count:     14
    .vgpr_spill_count: 0
    .wavefront_size: 32
    .workgroup_processor_mode: 1
  - .args:
      - .offset:         0
        .size:           4
        .value_kind:     by_value
      - .actual_access:  read_only
        .address_space:  global
        .offset:         8
        .size:           8
        .value_kind:     global_buffer
      - .offset:         16
        .size:           8
        .value_kind:     by_value
      - .offset:         24
        .size:           8
        .value_kind:     by_value
      - .actual_access:  read_only
        .address_space:  global
        .offset:         32
        .size:           8
        .value_kind:     global_buffer
      - .offset:         40
        .size:           8
        .value_kind:     by_value
      - .offset:         48
        .size:           8
        .value_kind:     by_value
      - .offset:         56
        .size:           4
        .value_kind:     by_value
      - .actual_access:  read_only
        .address_space:  global
        .offset:         64
        .size:           8
        .value_kind:     global_buffer
      - .actual_access:  write_only
        .address_space:  global
        .offset:         72
        .size:           8
        .value_kind:     global_buffer
    .group_segment_fixed_size: 128
    .kernarg_segment_align: 8
    .kernarg_segment_size: 80
    .language:       OpenCL C
    .language_version:
      - 2
      - 0
    .max_flat_workgroup_size: 1024
    .name:           _ZL26rocblas_dot_kernel_inc1by2ILb1ELi1024ELi32ELb0EfPKPK16rocblas_bfloat16fEviT4_llS5_lliPT5_PT3_
    .private_segment_fixed_size: 0
    .sgpr_count:     21
    .sgpr_spill_count: 0
    .symbol:         _ZL26rocblas_dot_kernel_inc1by2ILb1ELi1024ELi32ELb0EfPKPK16rocblas_bfloat16fEviT4_llS5_lliPT5_PT3_.kd
    .uniform_work_group_size: 1
    .uses_dynamic_stack: false
    .vgpr_count:     11
    .vgpr_spill_count: 0
    .wavefront_size: 32
    .workgroup_processor_mode: 1
  - .args:
      - .offset:         0
        .size:           4
        .value_kind:     by_value
      - .actual_access:  read_only
        .address_space:  global
        .offset:         8
        .size:           8
        .value_kind:     global_buffer
      - .offset:         16
        .size:           8
        .value_kind:     by_value
      - .offset:         24
        .size:           8
        .value_kind:     by_value
      - .offset:         32
        .size:           8
        .value_kind:     by_value
      - .actual_access:  read_only
        .address_space:  global
        .offset:         40
        .size:           8
        .value_kind:     global_buffer
      - .offset:         48
        .size:           8
        .value_kind:     by_value
      - .offset:         56
        .size:           8
        .value_kind:     by_value
      - .offset:         64
        .size:           8
        .value_kind:     by_value
      - .offset:         72
        .size:           4
        .value_kind:     by_value
      - .actual_access:  read_only
        .address_space:  global
        .offset:         80
        .size:           8
        .value_kind:     global_buffer
      - .actual_access:  write_only
        .address_space:  global
        .offset:         88
        .size:           8
        .value_kind:     global_buffer
      - .offset:         96
        .size:           4
        .value_kind:     hidden_block_count_x
      - .offset:         100
        .size:           4
        .value_kind:     hidden_block_count_y
      - .offset:         104
        .size:           4
        .value_kind:     hidden_block_count_z
      - .offset:         108
        .size:           2
        .value_kind:     hidden_group_size_x
      - .offset:         110
        .size:           2
        .value_kind:     hidden_group_size_y
      - .offset:         112
        .size:           2
        .value_kind:     hidden_group_size_z
      - .offset:         114
        .size:           2
        .value_kind:     hidden_remainder_x
      - .offset:         116
        .size:           2
        .value_kind:     hidden_remainder_y
      - .offset:         118
        .size:           2
        .value_kind:     hidden_remainder_z
      - .offset:         136
        .size:           8
        .value_kind:     hidden_global_offset_x
      - .offset:         144
        .size:           8
        .value_kind:     hidden_global_offset_y
      - .offset:         152
        .size:           8
        .value_kind:     hidden_global_offset_z
      - .offset:         160
        .size:           2
        .value_kind:     hidden_grid_dims
    .group_segment_fixed_size: 128
    .kernarg_segment_align: 8
    .kernarg_segment_size: 352
    .language:       OpenCL C
    .language_version:
      - 2
      - 0
    .max_flat_workgroup_size: 1024
    .name:           _ZL18rocblas_dot_kernelIlLb1ELi1024ELi32ELb0EfPKPK16rocblas_bfloat16fEviT5_lT_lS5_lS6_liPT6_PT4_
    .private_segment_fixed_size: 0
    .sgpr_count:     27
    .sgpr_spill_count: 0
    .symbol:         _ZL18rocblas_dot_kernelIlLb1ELi1024ELi32ELb0EfPKPK16rocblas_bfloat16fEviT5_lT_lS5_lS6_liPT6_PT4_.kd
    .uniform_work_group_size: 1
    .uses_dynamic_stack: false
    .vgpr_count:     10
    .vgpr_spill_count: 0
    .wavefront_size: 32
    .workgroup_processor_mode: 1
  - .args:
      - .offset:         0
        .size:           4
        .value_kind:     by_value
      - .actual_access:  read_only
        .address_space:  global
        .offset:         8
        .size:           8
        .value_kind:     global_buffer
      - .offset:         16
        .size:           8
        .value_kind:     by_value
      - .offset:         24
        .size:           8
        .value_kind:     by_value
      - .offset:         32
        .size:           8
        .value_kind:     by_value
      - .offset:         40
        .size:           4
        .value_kind:     by_value
      - .actual_access:  read_only
        .address_space:  global
        .offset:         48
        .size:           8
        .value_kind:     global_buffer
      - .actual_access:  write_only
        .address_space:  global
        .offset:         56
        .size:           8
        .value_kind:     global_buffer
      - .offset:         64
        .size:           4
        .value_kind:     hidden_block_count_x
      - .offset:         68
        .size:           4
        .value_kind:     hidden_block_count_y
      - .offset:         72
        .size:           4
        .value_kind:     hidden_block_count_z
      - .offset:         76
        .size:           2
        .value_kind:     hidden_group_size_x
      - .offset:         78
        .size:           2
        .value_kind:     hidden_group_size_y
      - .offset:         80
        .size:           2
        .value_kind:     hidden_group_size_z
      - .offset:         82
        .size:           2
        .value_kind:     hidden_remainder_x
      - .offset:         84
        .size:           2
        .value_kind:     hidden_remainder_y
      - .offset:         86
        .size:           2
        .value_kind:     hidden_remainder_z
      - .offset:         104
        .size:           8
        .value_kind:     hidden_global_offset_x
      - .offset:         112
        .size:           8
        .value_kind:     hidden_global_offset_y
      - .offset:         120
        .size:           8
        .value_kind:     hidden_global_offset_z
      - .offset:         128
        .size:           2
        .value_kind:     hidden_grid_dims
    .group_segment_fixed_size: 128
    .kernarg_segment_align: 8
    .kernarg_segment_size: 320
    .language:       OpenCL C
    .language_version:
      - 2
      - 0
    .max_flat_workgroup_size: 1024
    .name:           _ZL24rocblas_dot_kernel_magsqIlLb1ELi1024ELi32ELb0EfPKPK16rocblas_bfloat16fEviT5_lT_liPT6_PT4_
    .private_segment_fixed_size: 0
    .sgpr_count:     19
    .sgpr_spill_count: 0
    .symbol:         _ZL24rocblas_dot_kernel_magsqIlLb1ELi1024ELi32ELb0EfPKPK16rocblas_bfloat16fEviT5_lT_liPT6_PT4_.kd
    .uniform_work_group_size: 1
    .uses_dynamic_stack: false
    .vgpr_count:     10
    .vgpr_spill_count: 0
    .wavefront_size: 32
    .workgroup_processor_mode: 1
  - .args:
      - .offset:         0
        .size:           4
        .value_kind:     by_value
      - .actual_access:  read_only
        .address_space:  global
        .offset:         8
        .size:           8
        .value_kind:     global_buffer
      - .offset:         16
        .size:           8
        .value_kind:     by_value
      - .offset:         24
        .size:           8
        .value_kind:     by_value
      - .actual_access:  read_only
        .address_space:  global
        .offset:         32
        .size:           8
        .value_kind:     global_buffer
      - .offset:         40
        .size:           8
        .value_kind:     by_value
      - .offset:         48
        .size:           8
        .value_kind:     by_value
      - .offset:         56
        .size:           4
        .value_kind:     by_value
      - .actual_access:  write_only
        .address_space:  global
        .offset:         64
        .size:           8
        .value_kind:     global_buffer
      - .actual_access:  write_only
        .address_space:  global
        .offset:         72
        .size:           8
        .value_kind:     global_buffer
      - .offset:         80
        .size:           4
        .value_kind:     hidden_block_count_x
      - .offset:         84
        .size:           4
        .value_kind:     hidden_block_count_y
      - .offset:         88
        .size:           4
        .value_kind:     hidden_block_count_z
      - .offset:         92
        .size:           2
        .value_kind:     hidden_group_size_x
      - .offset:         94
        .size:           2
        .value_kind:     hidden_group_size_y
      - .offset:         96
        .size:           2
        .value_kind:     hidden_group_size_z
      - .offset:         98
        .size:           2
        .value_kind:     hidden_remainder_x
      - .offset:         100
        .size:           2
        .value_kind:     hidden_remainder_y
      - .offset:         102
        .size:           2
        .value_kind:     hidden_remainder_z
      - .offset:         120
        .size:           8
        .value_kind:     hidden_global_offset_x
      - .offset:         128
        .size:           8
        .value_kind:     hidden_global_offset_y
      - .offset:         136
        .size:           8
        .value_kind:     hidden_global_offset_z
      - .offset:         144
        .size:           2
        .value_kind:     hidden_grid_dims
    .group_segment_fixed_size: 128
    .kernarg_segment_align: 8
    .kernarg_segment_size: 336
    .language:       OpenCL C
    .language_version:
      - 2
      - 0
    .max_flat_workgroup_size: 512
    .name:           _ZL23rocblas_dot_kernel_inc1ILb0ELi512ELi4ELb0EfPKPK16rocblas_bfloat16fEviT4_llS5_lliPT5_PT3_
    .private_segment_fixed_size: 0
    .sgpr_count:     26
    .sgpr_spill_count: 0
    .symbol:         _ZL23rocblas_dot_kernel_inc1ILb0ELi512ELi4ELb0EfPKPK16rocblas_bfloat16fEviT4_llS5_lliPT5_PT3_.kd
    .uniform_work_group_size: 1
    .uses_dynamic_stack: false
    .vgpr_count:     10
    .vgpr_spill_count: 0
    .wavefront_size: 32
    .workgroup_processor_mode: 1
  - .args:
      - .offset:         0
        .size:           4
        .value_kind:     by_value
      - .actual_access:  read_only
        .address_space:  global
        .offset:         8
        .size:           8
        .value_kind:     global_buffer
      - .offset:         16
        .size:           8
        .value_kind:     by_value
      - .offset:         24
        .size:           8
        .value_kind:     by_value
      - .offset:         32
        .size:           8
        .value_kind:     by_value
      - .actual_access:  read_only
        .address_space:  global
        .offset:         40
        .size:           8
        .value_kind:     global_buffer
      - .offset:         48
        .size:           8
        .value_kind:     by_value
      - .offset:         56
        .size:           8
        .value_kind:     by_value
      - .offset:         64
        .size:           8
        .value_kind:     by_value
      - .offset:         72
        .size:           4
        .value_kind:     by_value
      - .actual_access:  write_only
        .address_space:  global
        .offset:         80
        .size:           8
        .value_kind:     global_buffer
      - .actual_access:  write_only
        .address_space:  global
        .offset:         88
        .size:           8
        .value_kind:     global_buffer
      - .offset:         96
        .size:           4
        .value_kind:     hidden_block_count_x
      - .offset:         100
        .size:           4
        .value_kind:     hidden_block_count_y
      - .offset:         104
        .size:           4
        .value_kind:     hidden_block_count_z
      - .offset:         108
        .size:           2
        .value_kind:     hidden_group_size_x
      - .offset:         110
        .size:           2
        .value_kind:     hidden_group_size_y
      - .offset:         112
        .size:           2
        .value_kind:     hidden_group_size_z
      - .offset:         114
        .size:           2
        .value_kind:     hidden_remainder_x
      - .offset:         116
        .size:           2
        .value_kind:     hidden_remainder_y
      - .offset:         118
        .size:           2
        .value_kind:     hidden_remainder_z
      - .offset:         136
        .size:           8
        .value_kind:     hidden_global_offset_x
      - .offset:         144
        .size:           8
        .value_kind:     hidden_global_offset_y
      - .offset:         152
        .size:           8
        .value_kind:     hidden_global_offset_z
      - .offset:         160
        .size:           2
        .value_kind:     hidden_grid_dims
    .group_segment_fixed_size: 128
    .kernarg_segment_align: 8
    .kernarg_segment_size: 352
    .language:       OpenCL C
    .language_version:
      - 2
      - 0
    .max_flat_workgroup_size: 512
    .name:           _ZL18rocblas_dot_kernelIlLb0ELi512ELi4ELb0EfPKPK16rocblas_bfloat16fEviT5_lT_lS5_lS6_liPT6_PT4_
    .private_segment_fixed_size: 0
    .sgpr_count:     31
    .sgpr_spill_count: 0
    .symbol:         _ZL18rocblas_dot_kernelIlLb0ELi512ELi4ELb0EfPKPK16rocblas_bfloat16fEviT5_lT_lS5_lS6_liPT6_PT4_.kd
    .uniform_work_group_size: 1
    .uses_dynamic_stack: false
    .vgpr_count:     12
    .vgpr_spill_count: 0
    .wavefront_size: 32
    .workgroup_processor_mode: 1
  - .args:
      - .offset:         0
        .size:           4
        .value_kind:     by_value
      - .actual_access:  read_only
        .address_space:  global
        .offset:         8
        .size:           8
        .value_kind:     global_buffer
      - .offset:         16
        .size:           8
        .value_kind:     by_value
      - .offset:         24
        .size:           8
        .value_kind:     by_value
      - .offset:         32
        .size:           8
        .value_kind:     by_value
      - .offset:         40
        .size:           4
        .value_kind:     by_value
      - .actual_access:  write_only
        .address_space:  global
        .offset:         48
        .size:           8
        .value_kind:     global_buffer
      - .actual_access:  write_only
        .address_space:  global
        .offset:         56
        .size:           8
        .value_kind:     global_buffer
      - .offset:         64
        .size:           4
        .value_kind:     hidden_block_count_x
      - .offset:         68
        .size:           4
        .value_kind:     hidden_block_count_y
      - .offset:         72
        .size:           4
        .value_kind:     hidden_block_count_z
      - .offset:         76
        .size:           2
        .value_kind:     hidden_group_size_x
      - .offset:         78
        .size:           2
        .value_kind:     hidden_group_size_y
      - .offset:         80
        .size:           2
        .value_kind:     hidden_group_size_z
      - .offset:         82
        .size:           2
        .value_kind:     hidden_remainder_x
      - .offset:         84
        .size:           2
        .value_kind:     hidden_remainder_y
      - .offset:         86
        .size:           2
        .value_kind:     hidden_remainder_z
      - .offset:         104
        .size:           8
        .value_kind:     hidden_global_offset_x
      - .offset:         112
        .size:           8
        .value_kind:     hidden_global_offset_y
      - .offset:         120
        .size:           8
        .value_kind:     hidden_global_offset_z
      - .offset:         128
        .size:           2
        .value_kind:     hidden_grid_dims
    .group_segment_fixed_size: 128
    .kernarg_segment_align: 8
    .kernarg_segment_size: 320
    .language:       OpenCL C
    .language_version:
      - 2
      - 0
    .max_flat_workgroup_size: 512
    .name:           _ZL24rocblas_dot_kernel_magsqIlLb0ELi512ELi4ELb0EfPKPK16rocblas_bfloat16fEviT5_lT_liPT6_PT4_
    .private_segment_fixed_size: 0
    .sgpr_count:     22
    .sgpr_spill_count: 0
    .symbol:         _ZL24rocblas_dot_kernel_magsqIlLb0ELi512ELi4ELb0EfPKPK16rocblas_bfloat16fEviT5_lT_liPT6_PT4_.kd
    .uniform_work_group_size: 1
    .uses_dynamic_stack: false
    .vgpr_count:     9
    .vgpr_spill_count: 0
    .wavefront_size: 32
    .workgroup_processor_mode: 1
  - .args:
      - .offset:         0
        .size:           4
        .value_kind:     by_value
      - .actual_access:  read_only
        .address_space:  global
        .offset:         8
        .size:           8
        .value_kind:     global_buffer
      - .offset:         16
        .size:           8
        .value_kind:     by_value
      - .offset:         24
        .size:           4
        .value_kind:     by_value
      - .offset:         32
        .size:           8
        .value_kind:     by_value
      - .actual_access:  read_only
        .address_space:  global
        .offset:         40
        .size:           8
        .value_kind:     global_buffer
      - .offset:         48
        .size:           8
        .value_kind:     by_value
      - .offset:         56
        .size:           4
        .value_kind:     by_value
      - .offset:         64
        .size:           8
        .value_kind:     by_value
      - .offset:         72
        .size:           4
        .value_kind:     by_value
      - .actual_access:  write_only
        .address_space:  global
        .offset:         80
        .size:           8
        .value_kind:     global_buffer
    .group_segment_fixed_size: 0
    .kernarg_segment_align: 8
    .kernarg_segment_size: 88
    .language:       OpenCL C
    .language_version:
      - 2
      - 0
    .max_flat_workgroup_size: 128
    .name:           _ZL28rocblas_dot_batched_4_kernelIiLi32ELi4ELb0EfDF16_PKDF16_EviT5_lT_lS2_lS3_liPT4_
    .private_segment_fixed_size: 0
    .sgpr_count:     22
    .sgpr_spill_count: 0
    .symbol:         _ZL28rocblas_dot_batched_4_kernelIiLi32ELi4ELb0EfDF16_PKDF16_EviT5_lT_lS2_lS3_liPT4_.kd
    .uniform_work_group_size: 1
    .uses_dynamic_stack: false
    .vgpr_count:     14
    .vgpr_spill_count: 0
    .wavefront_size: 32
    .workgroup_processor_mode: 1
  - .args:
      - .offset:         0
        .size:           4
        .value_kind:     by_value
      - .actual_access:  read_only
        .address_space:  global
        .offset:         8
        .size:           8
        .value_kind:     global_buffer
      - .offset:         16
        .size:           8
        .value_kind:     by_value
      - .offset:         24
        .size:           4
        .value_kind:     by_value
      - .offset:         32
        .size:           8
        .value_kind:     by_value
      - .actual_access:  read_only
        .address_space:  global
        .offset:         40
        .size:           8
        .value_kind:     global_buffer
      - .offset:         48
        .size:           8
        .value_kind:     by_value
      - .offset:         56
        .size:           4
        .value_kind:     by_value
      - .offset:         64
        .size:           8
        .value_kind:     by_value
      - .offset:         72
        .size:           4
        .value_kind:     by_value
      - .actual_access:  write_only
        .address_space:  global
        .offset:         80
        .size:           8
        .value_kind:     global_buffer
    .group_segment_fixed_size: 0
    .kernarg_segment_align: 8
    .kernarg_segment_size: 88
    .language:       OpenCL C
    .language_version:
      - 2
      - 0
    .max_flat_workgroup_size: 256
    .name:           _ZL28rocblas_dot_batched_4_kernelIiLi64ELi4ELb0EfDF16_PKDF16_EviT5_lT_lS2_lS3_liPT4_
    .private_segment_fixed_size: 0
    .sgpr_count:     22
    .sgpr_spill_count: 0
    .symbol:         _ZL28rocblas_dot_batched_4_kernelIiLi64ELi4ELb0EfDF16_PKDF16_EviT5_lT_lS2_lS3_liPT4_.kd
    .uniform_work_group_size: 1
    .uses_dynamic_stack: false
    .vgpr_count:     14
    .vgpr_spill_count: 0
    .wavefront_size: 32
    .workgroup_processor_mode: 1
  - .args:
      - .offset:         0
        .size:           4
        .value_kind:     by_value
      - .actual_access:  read_only
        .address_space:  global
        .offset:         8
        .size:           8
        .value_kind:     global_buffer
      - .offset:         16
        .size:           8
        .value_kind:     by_value
      - .offset:         24
        .size:           8
        .value_kind:     by_value
      - .actual_access:  read_only
        .address_space:  global
        .offset:         32
        .size:           8
        .value_kind:     global_buffer
      - .offset:         40
        .size:           8
        .value_kind:     by_value
      - .offset:         48
        .size:           8
        .value_kind:     by_value
      - .offset:         56
        .size:           4
        .value_kind:     by_value
      - .actual_access:  read_only
        .address_space:  global
        .offset:         64
        .size:           8
        .value_kind:     global_buffer
      - .actual_access:  write_only
        .address_space:  global
        .offset:         72
        .size:           8
        .value_kind:     global_buffer
    .group_segment_fixed_size: 128
    .kernarg_segment_align: 8
    .kernarg_segment_size: 80
    .language:       OpenCL C
    .language_version:
      - 2
      - 0
    .max_flat_workgroup_size: 1024
    .name:           _ZL26rocblas_dot_kernel_inc1by2ILb1ELi1024ELi32ELb0EDF16_PKDF16_fEviT4_llS2_lliPT5_PT3_
    .private_segment_fixed_size: 0
    .sgpr_count:     26
    .sgpr_spill_count: 0
    .symbol:         _ZL26rocblas_dot_kernel_inc1by2ILb1ELi1024ELi32ELb0EDF16_PKDF16_fEviT4_llS2_lliPT5_PT3_.kd
    .uniform_work_group_size: 1
    .uses_dynamic_stack: false
    .vgpr_count:     10
    .vgpr_spill_count: 0
    .wavefront_size: 32
    .workgroup_processor_mode: 1
  - .args:
      - .offset:         0
        .size:           4
        .value_kind:     by_value
      - .actual_access:  read_only
        .address_space:  global
        .offset:         8
        .size:           8
        .value_kind:     global_buffer
      - .offset:         16
        .size:           8
        .value_kind:     by_value
      - .offset:         24
        .size:           4
        .value_kind:     by_value
      - .offset:         32
        .size:           8
        .value_kind:     by_value
      - .actual_access:  read_only
        .address_space:  global
        .offset:         40
        .size:           8
        .value_kind:     global_buffer
      - .offset:         48
        .size:           8
        .value_kind:     by_value
      - .offset:         56
        .size:           4
        .value_kind:     by_value
      - .offset:         64
        .size:           8
        .value_kind:     by_value
      - .offset:         72
        .size:           4
        .value_kind:     by_value
      - .actual_access:  read_only
        .address_space:  global
        .offset:         80
        .size:           8
        .value_kind:     global_buffer
      - .actual_access:  write_only
        .address_space:  global
        .offset:         88
        .size:           8
        .value_kind:     global_buffer
      - .offset:         96
        .size:           4
        .value_kind:     hidden_block_count_x
      - .offset:         100
        .size:           4
        .value_kind:     hidden_block_count_y
      - .offset:         104
        .size:           4
        .value_kind:     hidden_block_count_z
      - .offset:         108
        .size:           2
        .value_kind:     hidden_group_size_x
      - .offset:         110
        .size:           2
        .value_kind:     hidden_group_size_y
      - .offset:         112
        .size:           2
        .value_kind:     hidden_group_size_z
      - .offset:         114
        .size:           2
        .value_kind:     hidden_remainder_x
      - .offset:         116
        .size:           2
        .value_kind:     hidden_remainder_y
      - .offset:         118
        .size:           2
        .value_kind:     hidden_remainder_z
      - .offset:         136
        .size:           8
        .value_kind:     hidden_global_offset_x
      - .offset:         144
        .size:           8
        .value_kind:     hidden_global_offset_y
      - .offset:         152
        .size:           8
        .value_kind:     hidden_global_offset_z
      - .offset:         160
        .size:           2
        .value_kind:     hidden_grid_dims
    .group_segment_fixed_size: 128
    .kernarg_segment_align: 8
    .kernarg_segment_size: 352
    .language:       OpenCL C
    .language_version:
      - 2
      - 0
    .max_flat_workgroup_size: 1024
    .name:           _ZL18rocblas_dot_kernelIiLb1ELi1024ELi32ELb0EDF16_PKDF16_fEviT5_lT_lS2_lS3_liPT6_PT4_
    .private_segment_fixed_size: 0
    .sgpr_count:     27
    .sgpr_spill_count: 0
    .symbol:         _ZL18rocblas_dot_kernelIiLb1ELi1024ELi32ELb0EDF16_PKDF16_fEviT5_lT_lS2_lS3_liPT6_PT4_.kd
    .uniform_work_group_size: 1
    .uses_dynamic_stack: false
    .vgpr_count:     10
    .vgpr_spill_count: 0
    .wavefront_size: 32
    .workgroup_processor_mode: 1
  - .args:
      - .offset:         0
        .size:           4
        .value_kind:     by_value
      - .actual_access:  read_only
        .address_space:  global
        .offset:         8
        .size:           8
        .value_kind:     global_buffer
      - .offset:         16
        .size:           8
        .value_kind:     by_value
      - .offset:         24
        .size:           4
        .value_kind:     by_value
      - .offset:         32
        .size:           8
        .value_kind:     by_value
      - .offset:         40
        .size:           4
        .value_kind:     by_value
      - .actual_access:  read_only
        .address_space:  global
        .offset:         48
        .size:           8
        .value_kind:     global_buffer
      - .actual_access:  write_only
        .address_space:  global
        .offset:         56
        .size:           8
        .value_kind:     global_buffer
      - .offset:         64
        .size:           4
        .value_kind:     hidden_block_count_x
      - .offset:         68
        .size:           4
        .value_kind:     hidden_block_count_y
      - .offset:         72
        .size:           4
        .value_kind:     hidden_block_count_z
      - .offset:         76
        .size:           2
        .value_kind:     hidden_group_size_x
      - .offset:         78
        .size:           2
        .value_kind:     hidden_group_size_y
      - .offset:         80
        .size:           2
        .value_kind:     hidden_group_size_z
      - .offset:         82
        .size:           2
        .value_kind:     hidden_remainder_x
      - .offset:         84
        .size:           2
        .value_kind:     hidden_remainder_y
      - .offset:         86
        .size:           2
        .value_kind:     hidden_remainder_z
      - .offset:         104
        .size:           8
        .value_kind:     hidden_global_offset_x
      - .offset:         112
        .size:           8
        .value_kind:     hidden_global_offset_y
      - .offset:         120
        .size:           8
        .value_kind:     hidden_global_offset_z
      - .offset:         128
        .size:           2
        .value_kind:     hidden_grid_dims
    .group_segment_fixed_size: 128
    .kernarg_segment_align: 8
    .kernarg_segment_size: 320
    .language:       OpenCL C
    .language_version:
      - 2
      - 0
    .max_flat_workgroup_size: 1024
    .name:           _ZL24rocblas_dot_kernel_magsqIiLb1ELi1024ELi32ELb0EDF16_PKDF16_fEviT5_lT_liPT6_PT4_
    .private_segment_fixed_size: 0
    .sgpr_count:     19
    .sgpr_spill_count: 0
    .symbol:         _ZL24rocblas_dot_kernel_magsqIiLb1ELi1024ELi32ELb0EDF16_PKDF16_fEviT5_lT_liPT6_PT4_.kd
    .uniform_work_group_size: 1
    .uses_dynamic_stack: false
    .vgpr_count:     10
    .vgpr_spill_count: 0
    .wavefront_size: 32
    .workgroup_processor_mode: 1
  - .args:
      - .offset:         0
        .size:           4
        .value_kind:     by_value
      - .actual_access:  read_only
        .address_space:  global
        .offset:         8
        .size:           8
        .value_kind:     global_buffer
      - .offset:         16
        .size:           8
        .value_kind:     by_value
      - .offset:         24
        .size:           4
        .value_kind:     by_value
      - .offset:         32
        .size:           8
        .value_kind:     by_value
      - .actual_access:  read_only
        .address_space:  global
        .offset:         40
        .size:           8
        .value_kind:     global_buffer
      - .offset:         48
        .size:           8
        .value_kind:     by_value
      - .offset:         56
        .size:           4
        .value_kind:     by_value
      - .offset:         64
        .size:           8
        .value_kind:     by_value
      - .actual_access:  read_only
        .address_space:  global
        .offset:         72
        .size:           8
        .value_kind:     global_buffer
      - .actual_access:  read_only
        .address_space:  global
        .offset:         80
        .size:           8
        .value_kind:     global_buffer
    .group_segment_fixed_size: 0
    .kernarg_segment_align: 8
    .kernarg_segment_size: 88
    .language:       OpenCL C
    .language_version:
      - 2
      - 0
    .max_flat_workgroup_size: 1024
    .name:           _ZL38rocblas_dot_kernel_gfx942_float_doubleIiLi1024EDF16_PKDF16_fEviT2_lT_lS2_lS3_lPT3_PT1_
    .private_segment_fixed_size: 0
    .sgpr_count:     0
    .sgpr_spill_count: 0
    .symbol:         _ZL38rocblas_dot_kernel_gfx942_float_doubleIiLi1024EDF16_PKDF16_fEviT2_lT_lS2_lS3_lPT3_PT1_.kd
    .uniform_work_group_size: 1
    .uses_dynamic_stack: false
    .vgpr_count:     0
    .vgpr_spill_count: 0
    .wavefront_size: 32
    .workgroup_processor_mode: 1
  - .args:
      - .offset:         0
        .size:           4
        .value_kind:     by_value
      - .actual_access:  read_only
        .address_space:  global
        .offset:         8
        .size:           8
        .value_kind:     global_buffer
      - .actual_access:  write_only
        .address_space:  global
        .offset:         16
        .size:           8
        .value_kind:     global_buffer
    .group_segment_fixed_size: 128
    .kernarg_segment_align: 8
    .kernarg_segment_size: 24
    .language:       OpenCL C
    .language_version:
      - 2
      - 0
    .max_flat_workgroup_size: 1024
    .name:           _ZL30rocblas_reduction_kernel_part2ILi1024ELi4E25rocblas_finalize_identityfDF16_EviPT2_PT3_
    .private_segment_fixed_size: 0
    .sgpr_count:     18
    .sgpr_spill_count: 0
    .symbol:         _ZL30rocblas_reduction_kernel_part2ILi1024ELi4E25rocblas_finalize_identityfDF16_EviPT2_PT3_.kd
    .uniform_work_group_size: 1
    .uses_dynamic_stack: false
    .vgpr_count:     10
    .vgpr_spill_count: 0
    .wavefront_size: 32
    .workgroup_processor_mode: 1
  - .args:
      - .offset:         0
        .size:           4
        .value_kind:     by_value
      - .actual_access:  read_only
        .address_space:  global
        .offset:         8
        .size:           8
        .value_kind:     global_buffer
      - .offset:         16
        .size:           8
        .value_kind:     by_value
      - .offset:         24
        .size:           8
        .value_kind:     by_value
      - .actual_access:  read_only
        .address_space:  global
        .offset:         32
        .size:           8
        .value_kind:     global_buffer
      - .offset:         40
        .size:           8
        .value_kind:     by_value
      - .offset:         48
        .size:           8
        .value_kind:     by_value
      - .offset:         56
        .size:           4
        .value_kind:     by_value
      - .actual_access:  write_only
        .address_space:  global
        .offset:         64
        .size:           8
        .value_kind:     global_buffer
      - .actual_access:  write_only
        .address_space:  global
        .offset:         72
        .size:           8
        .value_kind:     global_buffer
      - .offset:         80
        .size:           4
        .value_kind:     hidden_block_count_x
      - .offset:         84
        .size:           4
        .value_kind:     hidden_block_count_y
      - .offset:         88
        .size:           4
        .value_kind:     hidden_block_count_z
      - .offset:         92
        .size:           2
        .value_kind:     hidden_group_size_x
      - .offset:         94
        .size:           2
        .value_kind:     hidden_group_size_y
      - .offset:         96
        .size:           2
        .value_kind:     hidden_group_size_z
      - .offset:         98
        .size:           2
        .value_kind:     hidden_remainder_x
      - .offset:         100
        .size:           2
        .value_kind:     hidden_remainder_y
      - .offset:         102
        .size:           2
        .value_kind:     hidden_remainder_z
      - .offset:         120
        .size:           8
        .value_kind:     hidden_global_offset_x
      - .offset:         128
        .size:           8
        .value_kind:     hidden_global_offset_y
      - .offset:         136
        .size:           8
        .value_kind:     hidden_global_offset_z
      - .offset:         144
        .size:           2
        .value_kind:     hidden_grid_dims
    .group_segment_fixed_size: 128
    .kernarg_segment_align: 8
    .kernarg_segment_size: 336
    .language:       OpenCL C
    .language_version:
      - 2
      - 0
    .max_flat_workgroup_size: 512
    .name:           _ZL23rocblas_dot_kernel_inc1ILb0ELi512ELi8ELb0EDF16_PKDF16_fEviT4_llS2_lliPT5_PT3_
    .private_segment_fixed_size: 0
    .sgpr_count:     26
    .sgpr_spill_count: 0
    .symbol:         _ZL23rocblas_dot_kernel_inc1ILb0ELi512ELi8ELb0EDF16_PKDF16_fEviT4_llS2_lliPT5_PT3_.kd
    .uniform_work_group_size: 1
    .uses_dynamic_stack: false
    .vgpr_count:     9
    .vgpr_spill_count: 0
    .wavefront_size: 32
    .workgroup_processor_mode: 1
  - .args:
      - .offset:         0
        .size:           4
        .value_kind:     by_value
      - .actual_access:  read_only
        .address_space:  global
        .offset:         8
        .size:           8
        .value_kind:     global_buffer
      - .offset:         16
        .size:           8
        .value_kind:     by_value
      - .offset:         24
        .size:           4
        .value_kind:     by_value
      - .offset:         32
        .size:           8
        .value_kind:     by_value
      - .actual_access:  read_only
        .address_space:  global
        .offset:         40
        .size:           8
        .value_kind:     global_buffer
      - .offset:         48
        .size:           8
        .value_kind:     by_value
      - .offset:         56
        .size:           4
        .value_kind:     by_value
      - .offset:         64
        .size:           8
        .value_kind:     by_value
      - .offset:         72
        .size:           4
        .value_kind:     by_value
      - .actual_access:  write_only
        .address_space:  global
        .offset:         80
        .size:           8
        .value_kind:     global_buffer
      - .actual_access:  write_only
        .address_space:  global
        .offset:         88
        .size:           8
        .value_kind:     global_buffer
      - .offset:         96
        .size:           4
        .value_kind:     hidden_block_count_x
      - .offset:         100
        .size:           4
        .value_kind:     hidden_block_count_y
      - .offset:         104
        .size:           4
        .value_kind:     hidden_block_count_z
      - .offset:         108
        .size:           2
        .value_kind:     hidden_group_size_x
      - .offset:         110
        .size:           2
        .value_kind:     hidden_group_size_y
      - .offset:         112
        .size:           2
        .value_kind:     hidden_group_size_z
      - .offset:         114
        .size:           2
        .value_kind:     hidden_remainder_x
      - .offset:         116
        .size:           2
        .value_kind:     hidden_remainder_y
      - .offset:         118
        .size:           2
        .value_kind:     hidden_remainder_z
      - .offset:         136
        .size:           8
        .value_kind:     hidden_global_offset_x
      - .offset:         144
        .size:           8
        .value_kind:     hidden_global_offset_y
      - .offset:         152
        .size:           8
        .value_kind:     hidden_global_offset_z
      - .offset:         160
        .size:           2
        .value_kind:     hidden_grid_dims
    .group_segment_fixed_size: 128
    .kernarg_segment_align: 8
    .kernarg_segment_size: 352
    .language:       OpenCL C
    .language_version:
      - 2
      - 0
    .max_flat_workgroup_size: 512
    .name:           _ZL18rocblas_dot_kernelIiLb0ELi512ELi8ELb0EDF16_PKDF16_fEviT5_lT_lS2_lS3_liPT6_PT4_
    .private_segment_fixed_size: 0
    .sgpr_count:     30
    .sgpr_spill_count: 0
    .symbol:         _ZL18rocblas_dot_kernelIiLb0ELi512ELi8ELb0EDF16_PKDF16_fEviT5_lT_lS2_lS3_liPT6_PT4_.kd
    .uniform_work_group_size: 1
    .uses_dynamic_stack: false
    .vgpr_count:     10
    .vgpr_spill_count: 0
    .wavefront_size: 32
    .workgroup_processor_mode: 1
  - .args:
      - .offset:         0
        .size:           4
        .value_kind:     by_value
      - .actual_access:  read_only
        .address_space:  global
        .offset:         8
        .size:           8
        .value_kind:     global_buffer
      - .offset:         16
        .size:           8
        .value_kind:     by_value
      - .offset:         24
        .size:           4
        .value_kind:     by_value
      - .offset:         32
        .size:           8
        .value_kind:     by_value
      - .offset:         40
        .size:           4
        .value_kind:     by_value
      - .actual_access:  write_only
        .address_space:  global
        .offset:         48
        .size:           8
        .value_kind:     global_buffer
      - .actual_access:  write_only
        .address_space:  global
        .offset:         56
        .size:           8
        .value_kind:     global_buffer
      - .offset:         64
        .size:           4
        .value_kind:     hidden_block_count_x
      - .offset:         68
        .size:           4
        .value_kind:     hidden_block_count_y
      - .offset:         72
        .size:           4
        .value_kind:     hidden_block_count_z
      - .offset:         76
        .size:           2
        .value_kind:     hidden_group_size_x
      - .offset:         78
        .size:           2
        .value_kind:     hidden_group_size_y
      - .offset:         80
        .size:           2
        .value_kind:     hidden_group_size_z
      - .offset:         82
        .size:           2
        .value_kind:     hidden_remainder_x
      - .offset:         84
        .size:           2
        .value_kind:     hidden_remainder_y
      - .offset:         86
        .size:           2
        .value_kind:     hidden_remainder_z
      - .offset:         104
        .size:           8
        .value_kind:     hidden_global_offset_x
      - .offset:         112
        .size:           8
        .value_kind:     hidden_global_offset_y
      - .offset:         120
        .size:           8
        .value_kind:     hidden_global_offset_z
      - .offset:         128
        .size:           2
        .value_kind:     hidden_grid_dims
    .group_segment_fixed_size: 128
    .kernarg_segment_align: 8
    .kernarg_segment_size: 320
    .language:       OpenCL C
    .language_version:
      - 2
      - 0
    .max_flat_workgroup_size: 512
    .name:           _ZL24rocblas_dot_kernel_magsqIiLb0ELi512ELi8ELb0EDF16_PKDF16_fEviT5_lT_liPT6_PT4_
    .private_segment_fixed_size: 0
    .sgpr_count:     24
    .sgpr_spill_count: 0
    .symbol:         _ZL24rocblas_dot_kernel_magsqIiLb0ELi512ELi8ELb0EDF16_PKDF16_fEviT5_lT_liPT6_PT4_.kd
    .uniform_work_group_size: 1
    .uses_dynamic_stack: false
    .vgpr_count:     9
    .vgpr_spill_count: 0
    .wavefront_size: 32
    .workgroup_processor_mode: 1
  - .args:
      - .offset:         0
        .size:           4
        .value_kind:     by_value
      - .actual_access:  read_only
        .address_space:  global
        .offset:         8
        .size:           8
        .value_kind:     global_buffer
      - .offset:         16
        .size:           8
        .value_kind:     by_value
      - .offset:         24
        .size:           4
        .value_kind:     by_value
      - .offset:         32
        .size:           8
        .value_kind:     by_value
      - .actual_access:  read_only
        .address_space:  global
        .offset:         40
        .size:           8
        .value_kind:     global_buffer
      - .offset:         48
        .size:           8
        .value_kind:     by_value
      - .offset:         56
        .size:           4
        .value_kind:     by_value
      - .offset:         64
        .size:           8
        .value_kind:     by_value
      - .offset:         72
        .size:           4
        .value_kind:     by_value
      - .actual_access:  write_only
        .address_space:  global
        .offset:         80
        .size:           8
        .value_kind:     global_buffer
    .group_segment_fixed_size: 0
    .kernarg_segment_align: 8
    .kernarg_segment_size: 88
    .language:       OpenCL C
    .language_version:
      - 2
      - 0
    .max_flat_workgroup_size: 128
    .name:           _ZL28rocblas_dot_batched_4_kernelIiLi32ELi4ELb0EffPKDF16_EviT5_lT_lS2_lS3_liPT4_
    .private_segment_fixed_size: 0
    .sgpr_count:     22
    .sgpr_spill_count: 0
    .symbol:         _ZL28rocblas_dot_batched_4_kernelIiLi32ELi4ELb0EffPKDF16_EviT5_lT_lS2_lS3_liPT4_.kd
    .uniform_work_group_size: 1
    .uses_dynamic_stack: false
    .vgpr_count:     14
    .vgpr_spill_count: 0
    .wavefront_size: 32
    .workgroup_processor_mode: 1
  - .args:
      - .offset:         0
        .size:           4
        .value_kind:     by_value
      - .actual_access:  read_only
        .address_space:  global
        .offset:         8
        .size:           8
        .value_kind:     global_buffer
      - .offset:         16
        .size:           8
        .value_kind:     by_value
      - .offset:         24
        .size:           4
        .value_kind:     by_value
      - .offset:         32
        .size:           8
        .value_kind:     by_value
      - .actual_access:  read_only
        .address_space:  global
        .offset:         40
        .size:           8
        .value_kind:     global_buffer
      - .offset:         48
        .size:           8
        .value_kind:     by_value
      - .offset:         56
        .size:           4
        .value_kind:     by_value
      - .offset:         64
        .size:           8
        .value_kind:     by_value
      - .offset:         72
        .size:           4
        .value_kind:     by_value
      - .actual_access:  write_only
        .address_space:  global
        .offset:         80
        .size:           8
        .value_kind:     global_buffer
    .group_segment_fixed_size: 0
    .kernarg_segment_align: 8
    .kernarg_segment_size: 88
    .language:       OpenCL C
    .language_version:
      - 2
      - 0
    .max_flat_workgroup_size: 256
    .name:           _ZL28rocblas_dot_batched_4_kernelIiLi64ELi4ELb0EffPKDF16_EviT5_lT_lS2_lS3_liPT4_
    .private_segment_fixed_size: 0
    .sgpr_count:     22
    .sgpr_spill_count: 0
    .symbol:         _ZL28rocblas_dot_batched_4_kernelIiLi64ELi4ELb0EffPKDF16_EviT5_lT_lS2_lS3_liPT4_.kd
    .uniform_work_group_size: 1
    .uses_dynamic_stack: false
    .vgpr_count:     14
    .vgpr_spill_count: 0
    .wavefront_size: 32
    .workgroup_processor_mode: 1
  - .args:
      - .offset:         0
        .size:           4
        .value_kind:     by_value
      - .actual_access:  read_only
        .address_space:  global
        .offset:         8
        .size:           8
        .value_kind:     global_buffer
      - .offset:         16
        .size:           8
        .value_kind:     by_value
      - .offset:         24
        .size:           4
        .value_kind:     by_value
      - .offset:         32
        .size:           8
        .value_kind:     by_value
      - .actual_access:  read_only
        .address_space:  global
        .offset:         40
        .size:           8
        .value_kind:     global_buffer
      - .offset:         48
        .size:           8
        .value_kind:     by_value
      - .offset:         56
        .size:           4
        .value_kind:     by_value
      - .offset:         64
        .size:           8
        .value_kind:     by_value
      - .offset:         72
        .size:           4
        .value_kind:     by_value
      - .actual_access:  read_only
        .address_space:  global
        .offset:         80
        .size:           8
        .value_kind:     global_buffer
      - .actual_access:  write_only
        .address_space:  global
        .offset:         88
        .size:           8
        .value_kind:     global_buffer
      - .offset:         96
        .size:           4
        .value_kind:     hidden_block_count_x
      - .offset:         100
        .size:           4
        .value_kind:     hidden_block_count_y
      - .offset:         104
        .size:           4
        .value_kind:     hidden_block_count_z
      - .offset:         108
        .size:           2
        .value_kind:     hidden_group_size_x
      - .offset:         110
        .size:           2
        .value_kind:     hidden_group_size_y
      - .offset:         112
        .size:           2
        .value_kind:     hidden_group_size_z
      - .offset:         114
        .size:           2
        .value_kind:     hidden_remainder_x
      - .offset:         116
        .size:           2
        .value_kind:     hidden_remainder_y
      - .offset:         118
        .size:           2
        .value_kind:     hidden_remainder_z
      - .offset:         136
        .size:           8
        .value_kind:     hidden_global_offset_x
      - .offset:         144
        .size:           8
        .value_kind:     hidden_global_offset_y
      - .offset:         152
        .size:           8
        .value_kind:     hidden_global_offset_z
      - .offset:         160
        .size:           2
        .value_kind:     hidden_grid_dims
    .group_segment_fixed_size: 128
    .kernarg_segment_align: 8
    .kernarg_segment_size: 352
    .language:       OpenCL C
    .language_version:
      - 2
      - 0
    .max_flat_workgroup_size: 1024
    .name:           _ZL18rocblas_dot_kernelIiLb1ELi1024ELi32ELb0EfPKDF16_fEviT5_lT_lS2_lS3_liPT6_PT4_
    .private_segment_fixed_size: 0
    .sgpr_count:     27
    .sgpr_spill_count: 0
    .symbol:         _ZL18rocblas_dot_kernelIiLb1ELi1024ELi32ELb0EfPKDF16_fEviT5_lT_lS2_lS3_liPT6_PT4_.kd
    .uniform_work_group_size: 1
    .uses_dynamic_stack: false
    .vgpr_count:     10
    .vgpr_spill_count: 0
    .wavefront_size: 32
    .workgroup_processor_mode: 1
  - .args:
      - .offset:         0
        .size:           4
        .value_kind:     by_value
      - .actual_access:  read_only
        .address_space:  global
        .offset:         8
        .size:           8
        .value_kind:     global_buffer
      - .offset:         16
        .size:           8
        .value_kind:     by_value
      - .offset:         24
        .size:           4
        .value_kind:     by_value
      - .offset:         32
        .size:           8
        .value_kind:     by_value
      - .offset:         40
        .size:           4
        .value_kind:     by_value
      - .actual_access:  read_only
        .address_space:  global
        .offset:         48
        .size:           8
        .value_kind:     global_buffer
      - .actual_access:  write_only
        .address_space:  global
        .offset:         56
        .size:           8
        .value_kind:     global_buffer
      - .offset:         64
        .size:           4
        .value_kind:     hidden_block_count_x
      - .offset:         68
        .size:           4
        .value_kind:     hidden_block_count_y
      - .offset:         72
        .size:           4
        .value_kind:     hidden_block_count_z
      - .offset:         76
        .size:           2
        .value_kind:     hidden_group_size_x
      - .offset:         78
        .size:           2
        .value_kind:     hidden_group_size_y
      - .offset:         80
        .size:           2
        .value_kind:     hidden_group_size_z
      - .offset:         82
        .size:           2
        .value_kind:     hidden_remainder_x
      - .offset:         84
        .size:           2
        .value_kind:     hidden_remainder_y
      - .offset:         86
        .size:           2
        .value_kind:     hidden_remainder_z
      - .offset:         104
        .size:           8
        .value_kind:     hidden_global_offset_x
      - .offset:         112
        .size:           8
        .value_kind:     hidden_global_offset_y
      - .offset:         120
        .size:           8
        .value_kind:     hidden_global_offset_z
      - .offset:         128
        .size:           2
        .value_kind:     hidden_grid_dims
    .group_segment_fixed_size: 128
    .kernarg_segment_align: 8
    .kernarg_segment_size: 320
    .language:       OpenCL C
    .language_version:
      - 2
      - 0
    .max_flat_workgroup_size: 1024
    .name:           _ZL24rocblas_dot_kernel_magsqIiLb1ELi1024ELi32ELb0EfPKDF16_fEviT5_lT_liPT6_PT4_
    .private_segment_fixed_size: 0
    .sgpr_count:     19
    .sgpr_spill_count: 0
    .symbol:         _ZL24rocblas_dot_kernel_magsqIiLb1ELi1024ELi32ELb0EfPKDF16_fEviT5_lT_liPT6_PT4_.kd
    .uniform_work_group_size: 1
    .uses_dynamic_stack: false
    .vgpr_count:     10
    .vgpr_spill_count: 0
    .wavefront_size: 32
    .workgroup_processor_mode: 1
  - .args:
      - .offset:         0
        .size:           4
        .value_kind:     by_value
      - .actual_access:  read_only
        .address_space:  global
        .offset:         8
        .size:           8
        .value_kind:     global_buffer
      - .offset:         16
        .size:           8
        .value_kind:     by_value
      - .offset:         24
        .size:           4
        .value_kind:     by_value
      - .offset:         32
        .size:           8
        .value_kind:     by_value
      - .actual_access:  read_only
        .address_space:  global
        .offset:         40
        .size:           8
        .value_kind:     global_buffer
      - .offset:         48
        .size:           8
        .value_kind:     by_value
      - .offset:         56
        .size:           4
        .value_kind:     by_value
      - .offset:         64
        .size:           8
        .value_kind:     by_value
      - .actual_access:  read_only
        .address_space:  global
        .offset:         72
        .size:           8
        .value_kind:     global_buffer
      - .actual_access:  read_only
        .address_space:  global
        .offset:         80
        .size:           8
        .value_kind:     global_buffer
    .group_segment_fixed_size: 0
    .kernarg_segment_align: 8
    .kernarg_segment_size: 88
    .language:       OpenCL C
    .language_version:
      - 2
      - 0
    .max_flat_workgroup_size: 1024
    .name:           _ZL38rocblas_dot_kernel_gfx942_float_doubleIiLi1024EfPKDF16_fEviT2_lT_lS2_lS3_lPT3_PT1_
    .private_segment_fixed_size: 0
    .sgpr_count:     0
    .sgpr_spill_count: 0
    .symbol:         _ZL38rocblas_dot_kernel_gfx942_float_doubleIiLi1024EfPKDF16_fEviT2_lT_lS2_lS3_lPT3_PT1_.kd
    .uniform_work_group_size: 1
    .uses_dynamic_stack: false
    .vgpr_count:     0
    .vgpr_spill_count: 0
    .wavefront_size: 32
    .workgroup_processor_mode: 1
  - .args:
      - .offset:         0
        .size:           4
        .value_kind:     by_value
      - .actual_access:  read_only
        .address_space:  global
        .offset:         8
        .size:           8
        .value_kind:     global_buffer
      - .offset:         16
        .size:           8
        .value_kind:     by_value
      - .offset:         24
        .size:           4
        .value_kind:     by_value
      - .offset:         32
        .size:           8
        .value_kind:     by_value
      - .actual_access:  read_only
        .address_space:  global
        .offset:         40
        .size:           8
        .value_kind:     global_buffer
      - .offset:         48
        .size:           8
        .value_kind:     by_value
      - .offset:         56
        .size:           4
        .value_kind:     by_value
      - .offset:         64
        .size:           8
        .value_kind:     by_value
      - .offset:         72
        .size:           4
        .value_kind:     by_value
      - .actual_access:  write_only
        .address_space:  global
        .offset:         80
        .size:           8
        .value_kind:     global_buffer
      - .actual_access:  write_only
        .address_space:  global
        .offset:         88
        .size:           8
        .value_kind:     global_buffer
      - .offset:         96
        .size:           4
        .value_kind:     hidden_block_count_x
      - .offset:         100
        .size:           4
        .value_kind:     hidden_block_count_y
      - .offset:         104
        .size:           4
        .value_kind:     hidden_block_count_z
      - .offset:         108
        .size:           2
        .value_kind:     hidden_group_size_x
      - .offset:         110
        .size:           2
        .value_kind:     hidden_group_size_y
      - .offset:         112
        .size:           2
        .value_kind:     hidden_group_size_z
      - .offset:         114
        .size:           2
        .value_kind:     hidden_remainder_x
      - .offset:         116
        .size:           2
        .value_kind:     hidden_remainder_y
      - .offset:         118
        .size:           2
        .value_kind:     hidden_remainder_z
      - .offset:         136
        .size:           8
        .value_kind:     hidden_global_offset_x
      - .offset:         144
        .size:           8
        .value_kind:     hidden_global_offset_y
      - .offset:         152
        .size:           8
        .value_kind:     hidden_global_offset_z
      - .offset:         160
        .size:           2
        .value_kind:     hidden_grid_dims
    .group_segment_fixed_size: 128
    .kernarg_segment_align: 8
    .kernarg_segment_size: 352
    .language:       OpenCL C
    .language_version:
      - 2
      - 0
    .max_flat_workgroup_size: 512
    .name:           _ZL18rocblas_dot_kernelIiLb0ELi512ELi4ELb0EfPKDF16_fEviT5_lT_lS2_lS3_liPT6_PT4_
    .private_segment_fixed_size: 0
    .sgpr_count:     30
    .sgpr_spill_count: 0
    .symbol:         _ZL18rocblas_dot_kernelIiLb0ELi512ELi4ELb0EfPKDF16_fEviT5_lT_lS2_lS3_liPT6_PT4_.kd
    .uniform_work_group_size: 1
    .uses_dynamic_stack: false
    .vgpr_count:     10
    .vgpr_spill_count: 0
    .wavefront_size: 32
    .workgroup_processor_mode: 1
  - .args:
      - .offset:         0
        .size:           4
        .value_kind:     by_value
      - .actual_access:  read_only
        .address_space:  global
        .offset:         8
        .size:           8
        .value_kind:     global_buffer
      - .offset:         16
        .size:           8
        .value_kind:     by_value
      - .offset:         24
        .size:           4
        .value_kind:     by_value
      - .offset:         32
        .size:           8
        .value_kind:     by_value
      - .offset:         40
        .size:           4
        .value_kind:     by_value
      - .actual_access:  write_only
        .address_space:  global
        .offset:         48
        .size:           8
        .value_kind:     global_buffer
      - .actual_access:  write_only
        .address_space:  global
        .offset:         56
        .size:           8
        .value_kind:     global_buffer
      - .offset:         64
        .size:           4
        .value_kind:     hidden_block_count_x
      - .offset:         68
        .size:           4
        .value_kind:     hidden_block_count_y
      - .offset:         72
        .size:           4
        .value_kind:     hidden_block_count_z
      - .offset:         76
        .size:           2
        .value_kind:     hidden_group_size_x
      - .offset:         78
        .size:           2
        .value_kind:     hidden_group_size_y
      - .offset:         80
        .size:           2
        .value_kind:     hidden_group_size_z
      - .offset:         82
        .size:           2
        .value_kind:     hidden_remainder_x
      - .offset:         84
        .size:           2
        .value_kind:     hidden_remainder_y
      - .offset:         86
        .size:           2
        .value_kind:     hidden_remainder_z
      - .offset:         104
        .size:           8
        .value_kind:     hidden_global_offset_x
      - .offset:         112
        .size:           8
        .value_kind:     hidden_global_offset_y
      - .offset:         120
        .size:           8
        .value_kind:     hidden_global_offset_z
      - .offset:         128
        .size:           2
        .value_kind:     hidden_grid_dims
    .group_segment_fixed_size: 128
    .kernarg_segment_align: 8
    .kernarg_segment_size: 320
    .language:       OpenCL C
    .language_version:
      - 2
      - 0
    .max_flat_workgroup_size: 512
    .name:           _ZL24rocblas_dot_kernel_magsqIiLb0ELi512ELi4ELb0EfPKDF16_fEviT5_lT_liPT6_PT4_
    .private_segment_fixed_size: 0
    .sgpr_count:     24
    .sgpr_spill_count: 0
    .symbol:         _ZL24rocblas_dot_kernel_magsqIiLb0ELi512ELi4ELb0EfPKDF16_fEviT5_lT_liPT6_PT4_.kd
    .uniform_work_group_size: 1
    .uses_dynamic_stack: false
    .vgpr_count:     9
    .vgpr_spill_count: 0
    .wavefront_size: 32
    .workgroup_processor_mode: 1
  - .args:
      - .offset:         0
        .size:           4
        .value_kind:     by_value
      - .actual_access:  read_only
        .address_space:  global
        .offset:         8
        .size:           8
        .value_kind:     global_buffer
      - .actual_access:  write_only
        .address_space:  global
        .offset:         16
        .size:           8
        .value_kind:     global_buffer
    .group_segment_fixed_size: 128
    .kernarg_segment_align: 8
    .kernarg_segment_size: 24
    .language:       OpenCL C
    .language_version:
      - 2
      - 0
    .max_flat_workgroup_size: 512
    .name:           _ZL30rocblas_reduction_kernel_part2ILi512ELi8E25rocblas_finalize_identityfDF16_EviPT2_PT3_
    .private_segment_fixed_size: 0
    .sgpr_count:     18
    .sgpr_spill_count: 0
    .symbol:         _ZL30rocblas_reduction_kernel_part2ILi512ELi8E25rocblas_finalize_identityfDF16_EviPT2_PT3_.kd
    .uniform_work_group_size: 1
    .uses_dynamic_stack: false
    .vgpr_count:     13
    .vgpr_spill_count: 0
    .wavefront_size: 32
    .workgroup_processor_mode: 1
  - .args:
      - .offset:         0
        .size:           4
        .value_kind:     by_value
      - .actual_access:  read_only
        .address_space:  global
        .offset:         8
        .size:           8
        .value_kind:     global_buffer
      - .offset:         16
        .size:           8
        .value_kind:     by_value
      - .offset:         24
        .size:           8
        .value_kind:     by_value
      - .offset:         32
        .size:           8
        .value_kind:     by_value
      - .actual_access:  read_only
        .address_space:  global
        .offset:         40
        .size:           8
        .value_kind:     global_buffer
      - .offset:         48
        .size:           8
        .value_kind:     by_value
      - .offset:         56
        .size:           8
        .value_kind:     by_value
      - .offset:         64
        .size:           8
        .value_kind:     by_value
      - .offset:         72
        .size:           4
        .value_kind:     by_value
      - .actual_access:  write_only
        .address_space:  global
        .offset:         80
        .size:           8
        .value_kind:     global_buffer
    .group_segment_fixed_size: 0
    .kernarg_segment_align: 8
    .kernarg_segment_size: 88
    .language:       OpenCL C
    .language_version:
      - 2
      - 0
    .max_flat_workgroup_size: 128
    .name:           _ZL28rocblas_dot_batched_4_kernelIlLi32ELi4ELb0EfDF16_PKDF16_EviT5_lT_lS2_lS3_liPT4_
    .private_segment_fixed_size: 0
    .sgpr_count:     22
    .sgpr_spill_count: 0
    .symbol:         _ZL28rocblas_dot_batched_4_kernelIlLi32ELi4ELb0EfDF16_PKDF16_EviT5_lT_lS2_lS3_liPT4_.kd
    .uniform_work_group_size: 1
    .uses_dynamic_stack: false
    .vgpr_count:     17
    .vgpr_spill_count: 0
    .wavefront_size: 32
    .workgroup_processor_mode: 1
  - .args:
      - .offset:         0
        .size:           4
        .value_kind:     by_value
      - .actual_access:  read_only
        .address_space:  global
        .offset:         8
        .size:           8
        .value_kind:     global_buffer
      - .offset:         16
        .size:           8
        .value_kind:     by_value
      - .offset:         24
        .size:           8
        .value_kind:     by_value
      - .offset:         32
        .size:           8
        .value_kind:     by_value
      - .actual_access:  read_only
        .address_space:  global
        .offset:         40
        .size:           8
        .value_kind:     global_buffer
      - .offset:         48
        .size:           8
        .value_kind:     by_value
      - .offset:         56
        .size:           8
        .value_kind:     by_value
      - .offset:         64
        .size:           8
        .value_kind:     by_value
      - .offset:         72
        .size:           4
        .value_kind:     by_value
      - .actual_access:  write_only
        .address_space:  global
        .offset:         80
        .size:           8
        .value_kind:     global_buffer
    .group_segment_fixed_size: 0
    .kernarg_segment_align: 8
    .kernarg_segment_size: 88
    .language:       OpenCL C
    .language_version:
      - 2
      - 0
    .max_flat_workgroup_size: 256
    .name:           _ZL28rocblas_dot_batched_4_kernelIlLi64ELi4ELb0EfDF16_PKDF16_EviT5_lT_lS2_lS3_liPT4_
    .private_segment_fixed_size: 0
    .sgpr_count:     22
    .sgpr_spill_count: 0
    .symbol:         _ZL28rocblas_dot_batched_4_kernelIlLi64ELi4ELb0EfDF16_PKDF16_EviT5_lT_lS2_lS3_liPT4_.kd
    .uniform_work_group_size: 1
    .uses_dynamic_stack: false
    .vgpr_count:     17
    .vgpr_spill_count: 0
    .wavefront_size: 32
    .workgroup_processor_mode: 1
  - .args:
      - .offset:         0
        .size:           4
        .value_kind:     by_value
      - .actual_access:  read_only
        .address_space:  global
        .offset:         8
        .size:           8
        .value_kind:     global_buffer
      - .offset:         16
        .size:           8
        .value_kind:     by_value
      - .offset:         24
        .size:           8
        .value_kind:     by_value
      - .offset:         32
        .size:           8
        .value_kind:     by_value
      - .actual_access:  read_only
        .address_space:  global
        .offset:         40
        .size:           8
        .value_kind:     global_buffer
      - .offset:         48
        .size:           8
        .value_kind:     by_value
      - .offset:         56
        .size:           8
        .value_kind:     by_value
      - .offset:         64
        .size:           8
        .value_kind:     by_value
      - .offset:         72
        .size:           4
        .value_kind:     by_value
      - .actual_access:  read_only
        .address_space:  global
        .offset:         80
        .size:           8
        .value_kind:     global_buffer
      - .actual_access:  write_only
        .address_space:  global
        .offset:         88
        .size:           8
        .value_kind:     global_buffer
      - .offset:         96
        .size:           4
        .value_kind:     hidden_block_count_x
      - .offset:         100
        .size:           4
        .value_kind:     hidden_block_count_y
      - .offset:         104
        .size:           4
        .value_kind:     hidden_block_count_z
      - .offset:         108
        .size:           2
        .value_kind:     hidden_group_size_x
      - .offset:         110
        .size:           2
        .value_kind:     hidden_group_size_y
      - .offset:         112
        .size:           2
        .value_kind:     hidden_group_size_z
      - .offset:         114
        .size:           2
        .value_kind:     hidden_remainder_x
      - .offset:         116
        .size:           2
        .value_kind:     hidden_remainder_y
      - .offset:         118
        .size:           2
        .value_kind:     hidden_remainder_z
      - .offset:         136
        .size:           8
        .value_kind:     hidden_global_offset_x
      - .offset:         144
        .size:           8
        .value_kind:     hidden_global_offset_y
      - .offset:         152
        .size:           8
        .value_kind:     hidden_global_offset_z
      - .offset:         160
        .size:           2
        .value_kind:     hidden_grid_dims
    .group_segment_fixed_size: 128
    .kernarg_segment_align: 8
    .kernarg_segment_size: 352
    .language:       OpenCL C
    .language_version:
      - 2
      - 0
    .max_flat_workgroup_size: 1024
    .name:           _ZL18rocblas_dot_kernelIlLb1ELi1024ELi32ELb0EDF16_PKDF16_fEviT5_lT_lS2_lS3_liPT6_PT4_
    .private_segment_fixed_size: 0
    .sgpr_count:     29
    .sgpr_spill_count: 0
    .symbol:         _ZL18rocblas_dot_kernelIlLb1ELi1024ELi32ELb0EDF16_PKDF16_fEviT5_lT_lS2_lS3_liPT6_PT4_.kd
    .uniform_work_group_size: 1
    .uses_dynamic_stack: false
    .vgpr_count:     11
    .vgpr_spill_count: 0
    .wavefront_size: 32
    .workgroup_processor_mode: 1
  - .args:
      - .offset:         0
        .size:           4
        .value_kind:     by_value
      - .actual_access:  read_only
        .address_space:  global
        .offset:         8
        .size:           8
        .value_kind:     global_buffer
      - .offset:         16
        .size:           8
        .value_kind:     by_value
      - .offset:         24
        .size:           8
        .value_kind:     by_value
      - .offset:         32
        .size:           8
        .value_kind:     by_value
      - .offset:         40
        .size:           4
        .value_kind:     by_value
      - .actual_access:  read_only
        .address_space:  global
        .offset:         48
        .size:           8
        .value_kind:     global_buffer
      - .actual_access:  write_only
        .address_space:  global
        .offset:         56
        .size:           8
        .value_kind:     global_buffer
      - .offset:         64
        .size:           4
        .value_kind:     hidden_block_count_x
      - .offset:         68
        .size:           4
        .value_kind:     hidden_block_count_y
      - .offset:         72
        .size:           4
        .value_kind:     hidden_block_count_z
      - .offset:         76
        .size:           2
        .value_kind:     hidden_group_size_x
      - .offset:         78
        .size:           2
        .value_kind:     hidden_group_size_y
      - .offset:         80
        .size:           2
        .value_kind:     hidden_group_size_z
      - .offset:         82
        .size:           2
        .value_kind:     hidden_remainder_x
      - .offset:         84
        .size:           2
        .value_kind:     hidden_remainder_y
      - .offset:         86
        .size:           2
        .value_kind:     hidden_remainder_z
      - .offset:         104
        .size:           8
        .value_kind:     hidden_global_offset_x
      - .offset:         112
        .size:           8
        .value_kind:     hidden_global_offset_y
      - .offset:         120
        .size:           8
        .value_kind:     hidden_global_offset_z
      - .offset:         128
        .size:           2
        .value_kind:     hidden_grid_dims
    .group_segment_fixed_size: 128
    .kernarg_segment_align: 8
    .kernarg_segment_size: 320
    .language:       OpenCL C
    .language_version:
      - 2
      - 0
    .max_flat_workgroup_size: 1024
    .name:           _ZL24rocblas_dot_kernel_magsqIlLb1ELi1024ELi32ELb0EDF16_PKDF16_fEviT5_lT_liPT6_PT4_
    .private_segment_fixed_size: 0
    .sgpr_count:     19
    .sgpr_spill_count: 0
    .symbol:         _ZL24rocblas_dot_kernel_magsqIlLb1ELi1024ELi32ELb0EDF16_PKDF16_fEviT5_lT_liPT6_PT4_.kd
    .uniform_work_group_size: 1
    .uses_dynamic_stack: false
    .vgpr_count:     10
    .vgpr_spill_count: 0
    .wavefront_size: 32
    .workgroup_processor_mode: 1
  - .args:
      - .offset:         0
        .size:           4
        .value_kind:     by_value
      - .actual_access:  read_only
        .address_space:  global
        .offset:         8
        .size:           8
        .value_kind:     global_buffer
      - .offset:         16
        .size:           8
        .value_kind:     by_value
      - .offset:         24
        .size:           8
        .value_kind:     by_value
      - .offset:         32
        .size:           8
        .value_kind:     by_value
      - .actual_access:  read_only
        .address_space:  global
        .offset:         40
        .size:           8
        .value_kind:     global_buffer
      - .offset:         48
        .size:           8
        .value_kind:     by_value
      - .offset:         56
        .size:           8
        .value_kind:     by_value
      - .offset:         64
        .size:           8
        .value_kind:     by_value
      - .actual_access:  read_only
        .address_space:  global
        .offset:         72
        .size:           8
        .value_kind:     global_buffer
      - .actual_access:  read_only
        .address_space:  global
        .offset:         80
        .size:           8
        .value_kind:     global_buffer
    .group_segment_fixed_size: 0
    .kernarg_segment_align: 8
    .kernarg_segment_size: 88
    .language:       OpenCL C
    .language_version:
      - 2
      - 0
    .max_flat_workgroup_size: 1024
    .name:           _ZL38rocblas_dot_kernel_gfx942_float_doubleIlLi1024EDF16_PKDF16_fEviT2_lT_lS2_lS3_lPT3_PT1_
    .private_segment_fixed_size: 0
    .sgpr_count:     0
    .sgpr_spill_count: 0
    .symbol:         _ZL38rocblas_dot_kernel_gfx942_float_doubleIlLi1024EDF16_PKDF16_fEviT2_lT_lS2_lS3_lPT3_PT1_.kd
    .uniform_work_group_size: 1
    .uses_dynamic_stack: false
    .vgpr_count:     0
    .vgpr_spill_count: 0
    .wavefront_size: 32
    .workgroup_processor_mode: 1
  - .args:
      - .offset:         0
        .size:           4
        .value_kind:     by_value
      - .actual_access:  read_only
        .address_space:  global
        .offset:         8
        .size:           8
        .value_kind:     global_buffer
      - .offset:         16
        .size:           8
        .value_kind:     by_value
      - .offset:         24
        .size:           8
        .value_kind:     by_value
      - .offset:         32
        .size:           8
        .value_kind:     by_value
      - .actual_access:  read_only
        .address_space:  global
        .offset:         40
        .size:           8
        .value_kind:     global_buffer
      - .offset:         48
        .size:           8
        .value_kind:     by_value
      - .offset:         56
        .size:           8
        .value_kind:     by_value
      - .offset:         64
        .size:           8
        .value_kind:     by_value
      - .offset:         72
        .size:           4
        .value_kind:     by_value
      - .actual_access:  write_only
        .address_space:  global
        .offset:         80
        .size:           8
        .value_kind:     global_buffer
      - .actual_access:  write_only
        .address_space:  global
        .offset:         88
        .size:           8
        .value_kind:     global_buffer
      - .offset:         96
        .size:           4
        .value_kind:     hidden_block_count_x
      - .offset:         100
        .size:           4
        .value_kind:     hidden_block_count_y
      - .offset:         104
        .size:           4
        .value_kind:     hidden_block_count_z
      - .offset:         108
        .size:           2
        .value_kind:     hidden_group_size_x
      - .offset:         110
        .size:           2
        .value_kind:     hidden_group_size_y
      - .offset:         112
        .size:           2
        .value_kind:     hidden_group_size_z
      - .offset:         114
        .size:           2
        .value_kind:     hidden_remainder_x
      - .offset:         116
        .size:           2
        .value_kind:     hidden_remainder_y
      - .offset:         118
        .size:           2
        .value_kind:     hidden_remainder_z
      - .offset:         136
        .size:           8
        .value_kind:     hidden_global_offset_x
      - .offset:         144
        .size:           8
        .value_kind:     hidden_global_offset_y
      - .offset:         152
        .size:           8
        .value_kind:     hidden_global_offset_z
      - .offset:         160
        .size:           2
        .value_kind:     hidden_grid_dims
    .group_segment_fixed_size: 128
    .kernarg_segment_align: 8
    .kernarg_segment_size: 352
    .language:       OpenCL C
    .language_version:
      - 2
      - 0
    .max_flat_workgroup_size: 512
    .name:           _ZL18rocblas_dot_kernelIlLb0ELi512ELi8ELb0EDF16_PKDF16_fEviT5_lT_lS2_lS3_liPT6_PT4_
    .private_segment_fixed_size: 0
    .sgpr_count:     30
    .sgpr_spill_count: 0
    .symbol:         _ZL18rocblas_dot_kernelIlLb0ELi512ELi8ELb0EDF16_PKDF16_fEviT5_lT_lS2_lS3_liPT6_PT4_.kd
    .uniform_work_group_size: 1
    .uses_dynamic_stack: false
    .vgpr_count:     11
    .vgpr_spill_count: 0
    .wavefront_size: 32
    .workgroup_processor_mode: 1
  - .args:
      - .offset:         0
        .size:           4
        .value_kind:     by_value
      - .actual_access:  read_only
        .address_space:  global
        .offset:         8
        .size:           8
        .value_kind:     global_buffer
      - .offset:         16
        .size:           8
        .value_kind:     by_value
      - .offset:         24
        .size:           8
        .value_kind:     by_value
      - .offset:         32
        .size:           8
        .value_kind:     by_value
      - .offset:         40
        .size:           4
        .value_kind:     by_value
      - .actual_access:  write_only
        .address_space:  global
        .offset:         48
        .size:           8
        .value_kind:     global_buffer
      - .actual_access:  write_only
        .address_space:  global
        .offset:         56
        .size:           8
        .value_kind:     global_buffer
      - .offset:         64
        .size:           4
        .value_kind:     hidden_block_count_x
      - .offset:         68
        .size:           4
        .value_kind:     hidden_block_count_y
      - .offset:         72
        .size:           4
        .value_kind:     hidden_block_count_z
      - .offset:         76
        .size:           2
        .value_kind:     hidden_group_size_x
      - .offset:         78
        .size:           2
        .value_kind:     hidden_group_size_y
      - .offset:         80
        .size:           2
        .value_kind:     hidden_group_size_z
      - .offset:         82
        .size:           2
        .value_kind:     hidden_remainder_x
      - .offset:         84
        .size:           2
        .value_kind:     hidden_remainder_y
      - .offset:         86
        .size:           2
        .value_kind:     hidden_remainder_z
      - .offset:         104
        .size:           8
        .value_kind:     hidden_global_offset_x
      - .offset:         112
        .size:           8
        .value_kind:     hidden_global_offset_y
      - .offset:         120
        .size:           8
        .value_kind:     hidden_global_offset_z
      - .offset:         128
        .size:           2
        .value_kind:     hidden_grid_dims
    .group_segment_fixed_size: 128
    .kernarg_segment_align: 8
    .kernarg_segment_size: 320
    .language:       OpenCL C
    .language_version:
      - 2
      - 0
    .max_flat_workgroup_size: 512
    .name:           _ZL24rocblas_dot_kernel_magsqIlLb0ELi512ELi8ELb0EDF16_PKDF16_fEviT5_lT_liPT6_PT4_
    .private_segment_fixed_size: 0
    .sgpr_count:     24
    .sgpr_spill_count: 0
    .symbol:         _ZL24rocblas_dot_kernel_magsqIlLb0ELi512ELi8ELb0EDF16_PKDF16_fEviT5_lT_liPT6_PT4_.kd
    .uniform_work_group_size: 1
    .uses_dynamic_stack: false
    .vgpr_count:     9
    .vgpr_spill_count: 0
    .wavefront_size: 32
    .workgroup_processor_mode: 1
  - .args:
      - .offset:         0
        .size:           4
        .value_kind:     by_value
      - .actual_access:  read_only
        .address_space:  global
        .offset:         8
        .size:           8
        .value_kind:     global_buffer
      - .offset:         16
        .size:           8
        .value_kind:     by_value
      - .offset:         24
        .size:           4
        .value_kind:     by_value
      - .offset:         32
        .size:           8
        .value_kind:     by_value
      - .actual_access:  read_only
        .address_space:  global
        .offset:         40
        .size:           8
        .value_kind:     global_buffer
      - .offset:         48
        .size:           8
        .value_kind:     by_value
      - .offset:         56
        .size:           4
        .value_kind:     by_value
      - .offset:         64
        .size:           8
        .value_kind:     by_value
      - .offset:         72
        .size:           4
        .value_kind:     by_value
      - .actual_access:  write_only
        .address_space:  global
        .offset:         80
        .size:           8
        .value_kind:     global_buffer
    .group_segment_fixed_size: 0
    .kernarg_segment_align: 8
    .kernarg_segment_size: 88
    .language:       OpenCL C
    .language_version:
      - 2
      - 0
    .max_flat_workgroup_size: 128
    .name:           _ZL28rocblas_dot_batched_4_kernelIiLi32ELi4ELb0EfDF16_PKPKDF16_EviT5_lT_lS4_lS5_liPT4_
    .private_segment_fixed_size: 0
    .sgpr_count:     18
    .sgpr_spill_count: 0
    .symbol:         _ZL28rocblas_dot_batched_4_kernelIiLi32ELi4ELb0EfDF16_PKPKDF16_EviT5_lT_lS4_lS5_liPT4_.kd
    .uniform_work_group_size: 1
    .uses_dynamic_stack: false
    .vgpr_count:     12
    .vgpr_spill_count: 0
    .wavefront_size: 32
    .workgroup_processor_mode: 1
  - .args:
      - .offset:         0
        .size:           4
        .value_kind:     by_value
      - .actual_access:  read_only
        .address_space:  global
        .offset:         8
        .size:           8
        .value_kind:     global_buffer
      - .offset:         16
        .size:           8
        .value_kind:     by_value
      - .offset:         24
        .size:           4
        .value_kind:     by_value
      - .offset:         32
        .size:           8
        .value_kind:     by_value
      - .actual_access:  read_only
        .address_space:  global
        .offset:         40
        .size:           8
        .value_kind:     global_buffer
      - .offset:         48
        .size:           8
        .value_kind:     by_value
      - .offset:         56
        .size:           4
        .value_kind:     by_value
      - .offset:         64
        .size:           8
        .value_kind:     by_value
      - .offset:         72
        .size:           4
        .value_kind:     by_value
      - .actual_access:  write_only
        .address_space:  global
        .offset:         80
        .size:           8
        .value_kind:     global_buffer
    .group_segment_fixed_size: 0
    .kernarg_segment_align: 8
    .kernarg_segment_size: 88
    .language:       OpenCL C
    .language_version:
      - 2
      - 0
    .max_flat_workgroup_size: 256
    .name:           _ZL28rocblas_dot_batched_4_kernelIiLi64ELi4ELb0EfDF16_PKPKDF16_EviT5_lT_lS4_lS5_liPT4_
    .private_segment_fixed_size: 0
    .sgpr_count:     18
    .sgpr_spill_count: 0
    .symbol:         _ZL28rocblas_dot_batched_4_kernelIiLi64ELi4ELb0EfDF16_PKPKDF16_EviT5_lT_lS4_lS5_liPT4_.kd
    .uniform_work_group_size: 1
    .uses_dynamic_stack: false
    .vgpr_count:     12
    .vgpr_spill_count: 0
    .wavefront_size: 32
    .workgroup_processor_mode: 1
  - .args:
      - .offset:         0
        .size:           4
        .value_kind:     by_value
      - .actual_access:  read_only
        .address_space:  global
        .offset:         8
        .size:           8
        .value_kind:     global_buffer
      - .offset:         16
        .size:           8
        .value_kind:     by_value
      - .offset:         24
        .size:           8
        .value_kind:     by_value
      - .actual_access:  read_only
        .address_space:  global
        .offset:         32
        .size:           8
        .value_kind:     global_buffer
      - .offset:         40
        .size:           8
        .value_kind:     by_value
      - .offset:         48
        .size:           8
        .value_kind:     by_value
      - .offset:         56
        .size:           4
        .value_kind:     by_value
      - .actual_access:  read_only
        .address_space:  global
        .offset:         64
        .size:           8
        .value_kind:     global_buffer
      - .actual_access:  write_only
        .address_space:  global
        .offset:         72
        .size:           8
        .value_kind:     global_buffer
    .group_segment_fixed_size: 128
    .kernarg_segment_align: 8
    .kernarg_segment_size: 80
    .language:       OpenCL C
    .language_version:
      - 2
      - 0
    .max_flat_workgroup_size: 1024
    .name:           _ZL26rocblas_dot_kernel_inc1by2ILb1ELi1024ELi32ELb0EDF16_PKPKDF16_fEviT4_llS4_lliPT5_PT3_
    .private_segment_fixed_size: 0
    .sgpr_count:     21
    .sgpr_spill_count: 0
    .symbol:         _ZL26rocblas_dot_kernel_inc1by2ILb1ELi1024ELi32ELb0EDF16_PKPKDF16_fEviT4_llS4_lliPT5_PT3_.kd
    .uniform_work_group_size: 1
    .uses_dynamic_stack: false
    .vgpr_count:     10
    .vgpr_spill_count: 0
    .wavefront_size: 32
    .workgroup_processor_mode: 1
  - .args:
      - .offset:         0
        .size:           4
        .value_kind:     by_value
      - .actual_access:  read_only
        .address_space:  global
        .offset:         8
        .size:           8
        .value_kind:     global_buffer
      - .offset:         16
        .size:           8
        .value_kind:     by_value
      - .offset:         24
        .size:           4
        .value_kind:     by_value
      - .offset:         32
        .size:           8
        .value_kind:     by_value
      - .actual_access:  read_only
        .address_space:  global
        .offset:         40
        .size:           8
        .value_kind:     global_buffer
      - .offset:         48
        .size:           8
        .value_kind:     by_value
      - .offset:         56
        .size:           4
        .value_kind:     by_value
      - .offset:         64
        .size:           8
        .value_kind:     by_value
      - .offset:         72
        .size:           4
        .value_kind:     by_value
      - .actual_access:  read_only
        .address_space:  global
        .offset:         80
        .size:           8
        .value_kind:     global_buffer
      - .actual_access:  write_only
        .address_space:  global
        .offset:         88
        .size:           8
        .value_kind:     global_buffer
      - .offset:         96
        .size:           4
        .value_kind:     hidden_block_count_x
      - .offset:         100
        .size:           4
        .value_kind:     hidden_block_count_y
      - .offset:         104
        .size:           4
        .value_kind:     hidden_block_count_z
      - .offset:         108
        .size:           2
        .value_kind:     hidden_group_size_x
      - .offset:         110
        .size:           2
        .value_kind:     hidden_group_size_y
      - .offset:         112
        .size:           2
        .value_kind:     hidden_group_size_z
      - .offset:         114
        .size:           2
        .value_kind:     hidden_remainder_x
      - .offset:         116
        .size:           2
        .value_kind:     hidden_remainder_y
      - .offset:         118
        .size:           2
        .value_kind:     hidden_remainder_z
      - .offset:         136
        .size:           8
        .value_kind:     hidden_global_offset_x
      - .offset:         144
        .size:           8
        .value_kind:     hidden_global_offset_y
      - .offset:         152
        .size:           8
        .value_kind:     hidden_global_offset_z
      - .offset:         160
        .size:           2
        .value_kind:     hidden_grid_dims
    .group_segment_fixed_size: 128
    .kernarg_segment_align: 8
    .kernarg_segment_size: 352
    .language:       OpenCL C
    .language_version:
      - 2
      - 0
    .max_flat_workgroup_size: 1024
    .name:           _ZL18rocblas_dot_kernelIiLb1ELi1024ELi32ELb0EDF16_PKPKDF16_fEviT5_lT_lS4_lS5_liPT6_PT4_
    .private_segment_fixed_size: 0
    .sgpr_count:     23
    .sgpr_spill_count: 0
    .symbol:         _ZL18rocblas_dot_kernelIiLb1ELi1024ELi32ELb0EDF16_PKPKDF16_fEviT5_lT_lS4_lS5_liPT6_PT4_.kd
    .uniform_work_group_size: 1
    .uses_dynamic_stack: false
    .vgpr_count:     10
    .vgpr_spill_count: 0
    .wavefront_size: 32
    .workgroup_processor_mode: 1
  - .args:
      - .offset:         0
        .size:           4
        .value_kind:     by_value
      - .actual_access:  read_only
        .address_space:  global
        .offset:         8
        .size:           8
        .value_kind:     global_buffer
      - .offset:         16
        .size:           8
        .value_kind:     by_value
      - .offset:         24
        .size:           4
        .value_kind:     by_value
      - .offset:         32
        .size:           8
        .value_kind:     by_value
      - .offset:         40
        .size:           4
        .value_kind:     by_value
      - .actual_access:  read_only
        .address_space:  global
        .offset:         48
        .size:           8
        .value_kind:     global_buffer
      - .actual_access:  write_only
        .address_space:  global
        .offset:         56
        .size:           8
        .value_kind:     global_buffer
      - .offset:         64
        .size:           4
        .value_kind:     hidden_block_count_x
      - .offset:         68
        .size:           4
        .value_kind:     hidden_block_count_y
      - .offset:         72
        .size:           4
        .value_kind:     hidden_block_count_z
      - .offset:         76
        .size:           2
        .value_kind:     hidden_group_size_x
      - .offset:         78
        .size:           2
        .value_kind:     hidden_group_size_y
      - .offset:         80
        .size:           2
        .value_kind:     hidden_group_size_z
      - .offset:         82
        .size:           2
        .value_kind:     hidden_remainder_x
      - .offset:         84
        .size:           2
        .value_kind:     hidden_remainder_y
      - .offset:         86
        .size:           2
        .value_kind:     hidden_remainder_z
      - .offset:         104
        .size:           8
        .value_kind:     hidden_global_offset_x
      - .offset:         112
        .size:           8
        .value_kind:     hidden_global_offset_y
      - .offset:         120
        .size:           8
        .value_kind:     hidden_global_offset_z
      - .offset:         128
        .size:           2
        .value_kind:     hidden_grid_dims
    .group_segment_fixed_size: 128
    .kernarg_segment_align: 8
    .kernarg_segment_size: 320
    .language:       OpenCL C
    .language_version:
      - 2
      - 0
    .max_flat_workgroup_size: 1024
    .name:           _ZL24rocblas_dot_kernel_magsqIiLb1ELi1024ELi32ELb0EDF16_PKPKDF16_fEviT5_lT_liPT6_PT4_
    .private_segment_fixed_size: 0
    .sgpr_count:     19
    .sgpr_spill_count: 0
    .symbol:         _ZL24rocblas_dot_kernel_magsqIiLb1ELi1024ELi32ELb0EDF16_PKPKDF16_fEviT5_lT_liPT6_PT4_.kd
    .uniform_work_group_size: 1
    .uses_dynamic_stack: false
    .vgpr_count:     10
    .vgpr_spill_count: 0
    .wavefront_size: 32
    .workgroup_processor_mode: 1
  - .args:
      - .offset:         0
        .size:           4
        .value_kind:     by_value
      - .actual_access:  read_only
        .address_space:  global
        .offset:         8
        .size:           8
        .value_kind:     global_buffer
      - .offset:         16
        .size:           8
        .value_kind:     by_value
      - .offset:         24
        .size:           4
        .value_kind:     by_value
      - .offset:         32
        .size:           8
        .value_kind:     by_value
      - .actual_access:  read_only
        .address_space:  global
        .offset:         40
        .size:           8
        .value_kind:     global_buffer
      - .offset:         48
        .size:           8
        .value_kind:     by_value
      - .offset:         56
        .size:           4
        .value_kind:     by_value
      - .offset:         64
        .size:           8
        .value_kind:     by_value
      - .actual_access:  read_only
        .address_space:  global
        .offset:         72
        .size:           8
        .value_kind:     global_buffer
      - .actual_access:  read_only
        .address_space:  global
        .offset:         80
        .size:           8
        .value_kind:     global_buffer
    .group_segment_fixed_size: 0
    .kernarg_segment_align: 8
    .kernarg_segment_size: 88
    .language:       OpenCL C
    .language_version:
      - 2
      - 0
    .max_flat_workgroup_size: 1024
    .name:           _ZL38rocblas_dot_kernel_gfx942_float_doubleIiLi1024EDF16_PKPKDF16_fEviT2_lT_lS4_lS5_lPT3_PT1_
    .private_segment_fixed_size: 0
    .sgpr_count:     0
    .sgpr_spill_count: 0
    .symbol:         _ZL38rocblas_dot_kernel_gfx942_float_doubleIiLi1024EDF16_PKPKDF16_fEviT2_lT_lS4_lS5_lPT3_PT1_.kd
    .uniform_work_group_size: 1
    .uses_dynamic_stack: false
    .vgpr_count:     0
    .vgpr_spill_count: 0
    .wavefront_size: 32
    .workgroup_processor_mode: 1
  - .args:
      - .offset:         0
        .size:           4
        .value_kind:     by_value
      - .actual_access:  read_only
        .address_space:  global
        .offset:         8
        .size:           8
        .value_kind:     global_buffer
      - .offset:         16
        .size:           8
        .value_kind:     by_value
      - .offset:         24
        .size:           8
        .value_kind:     by_value
      - .actual_access:  read_only
        .address_space:  global
        .offset:         32
        .size:           8
        .value_kind:     global_buffer
      - .offset:         40
        .size:           8
        .value_kind:     by_value
      - .offset:         48
        .size:           8
        .value_kind:     by_value
      - .offset:         56
        .size:           4
        .value_kind:     by_value
      - .actual_access:  write_only
        .address_space:  global
        .offset:         64
        .size:           8
        .value_kind:     global_buffer
      - .actual_access:  write_only
        .address_space:  global
        .offset:         72
        .size:           8
        .value_kind:     global_buffer
      - .offset:         80
        .size:           4
        .value_kind:     hidden_block_count_x
      - .offset:         84
        .size:           4
        .value_kind:     hidden_block_count_y
      - .offset:         88
        .size:           4
        .value_kind:     hidden_block_count_z
      - .offset:         92
        .size:           2
        .value_kind:     hidden_group_size_x
      - .offset:         94
        .size:           2
        .value_kind:     hidden_group_size_y
      - .offset:         96
        .size:           2
        .value_kind:     hidden_group_size_z
      - .offset:         98
        .size:           2
        .value_kind:     hidden_remainder_x
      - .offset:         100
        .size:           2
        .value_kind:     hidden_remainder_y
      - .offset:         102
        .size:           2
        .value_kind:     hidden_remainder_z
      - .offset:         120
        .size:           8
        .value_kind:     hidden_global_offset_x
      - .offset:         128
        .size:           8
        .value_kind:     hidden_global_offset_y
      - .offset:         136
        .size:           8
        .value_kind:     hidden_global_offset_z
      - .offset:         144
        .size:           2
        .value_kind:     hidden_grid_dims
    .group_segment_fixed_size: 128
    .kernarg_segment_align: 8
    .kernarg_segment_size: 336
    .language:       OpenCL C
    .language_version:
      - 2
      - 0
    .max_flat_workgroup_size: 512
    .name:           _ZL23rocblas_dot_kernel_inc1ILb0ELi512ELi8ELb0EDF16_PKPKDF16_fEviT4_llS4_lliPT5_PT3_
    .private_segment_fixed_size: 0
    .sgpr_count:     26
    .sgpr_spill_count: 0
    .symbol:         _ZL23rocblas_dot_kernel_inc1ILb0ELi512ELi8ELb0EDF16_PKPKDF16_fEviT4_llS4_lliPT5_PT3_.kd
    .uniform_work_group_size: 1
    .uses_dynamic_stack: false
    .vgpr_count:     10
    .vgpr_spill_count: 0
    .wavefront_size: 32
    .workgroup_processor_mode: 1
  - .args:
      - .offset:         0
        .size:           4
        .value_kind:     by_value
      - .actual_access:  read_only
        .address_space:  global
        .offset:         8
        .size:           8
        .value_kind:     global_buffer
      - .offset:         16
        .size:           8
        .value_kind:     by_value
      - .offset:         24
        .size:           4
        .value_kind:     by_value
      - .offset:         32
        .size:           8
        .value_kind:     by_value
      - .actual_access:  read_only
        .address_space:  global
        .offset:         40
        .size:           8
        .value_kind:     global_buffer
      - .offset:         48
        .size:           8
        .value_kind:     by_value
      - .offset:         56
        .size:           4
        .value_kind:     by_value
      - .offset:         64
        .size:           8
        .value_kind:     by_value
      - .offset:         72
        .size:           4
        .value_kind:     by_value
      - .actual_access:  write_only
        .address_space:  global
        .offset:         80
        .size:           8
        .value_kind:     global_buffer
      - .actual_access:  write_only
        .address_space:  global
        .offset:         88
        .size:           8
        .value_kind:     global_buffer
      - .offset:         96
        .size:           4
        .value_kind:     hidden_block_count_x
      - .offset:         100
        .size:           4
        .value_kind:     hidden_block_count_y
      - .offset:         104
        .size:           4
        .value_kind:     hidden_block_count_z
      - .offset:         108
        .size:           2
        .value_kind:     hidden_group_size_x
      - .offset:         110
        .size:           2
        .value_kind:     hidden_group_size_y
      - .offset:         112
        .size:           2
        .value_kind:     hidden_group_size_z
      - .offset:         114
        .size:           2
        .value_kind:     hidden_remainder_x
      - .offset:         116
        .size:           2
        .value_kind:     hidden_remainder_y
      - .offset:         118
        .size:           2
        .value_kind:     hidden_remainder_z
      - .offset:         136
        .size:           8
        .value_kind:     hidden_global_offset_x
      - .offset:         144
        .size:           8
        .value_kind:     hidden_global_offset_y
      - .offset:         152
        .size:           8
        .value_kind:     hidden_global_offset_z
      - .offset:         160
        .size:           2
        .value_kind:     hidden_grid_dims
    .group_segment_fixed_size: 128
    .kernarg_segment_align: 8
    .kernarg_segment_size: 352
    .language:       OpenCL C
    .language_version:
      - 2
      - 0
    .max_flat_workgroup_size: 512
    .name:           _ZL18rocblas_dot_kernelIiLb0ELi512ELi8ELb0EDF16_PKPKDF16_fEviT5_lT_lS4_lS5_liPT6_PT4_
    .private_segment_fixed_size: 0
    .sgpr_count:     27
    .sgpr_spill_count: 0
    .symbol:         _ZL18rocblas_dot_kernelIiLb0ELi512ELi8ELb0EDF16_PKPKDF16_fEviT5_lT_lS4_lS5_liPT6_PT4_.kd
    .uniform_work_group_size: 1
    .uses_dynamic_stack: false
    .vgpr_count:     9
    .vgpr_spill_count: 0
    .wavefront_size: 32
    .workgroup_processor_mode: 1
  - .args:
      - .offset:         0
        .size:           4
        .value_kind:     by_value
      - .actual_access:  read_only
        .address_space:  global
        .offset:         8
        .size:           8
        .value_kind:     global_buffer
      - .offset:         16
        .size:           8
        .value_kind:     by_value
      - .offset:         24
        .size:           4
        .value_kind:     by_value
      - .offset:         32
        .size:           8
        .value_kind:     by_value
      - .offset:         40
        .size:           4
        .value_kind:     by_value
      - .actual_access:  write_only
        .address_space:  global
        .offset:         48
        .size:           8
        .value_kind:     global_buffer
      - .actual_access:  write_only
        .address_space:  global
        .offset:         56
        .size:           8
        .value_kind:     global_buffer
      - .offset:         64
        .size:           4
        .value_kind:     hidden_block_count_x
      - .offset:         68
        .size:           4
        .value_kind:     hidden_block_count_y
      - .offset:         72
        .size:           4
        .value_kind:     hidden_block_count_z
      - .offset:         76
        .size:           2
        .value_kind:     hidden_group_size_x
      - .offset:         78
        .size:           2
        .value_kind:     hidden_group_size_y
      - .offset:         80
        .size:           2
        .value_kind:     hidden_group_size_z
      - .offset:         82
        .size:           2
        .value_kind:     hidden_remainder_x
      - .offset:         84
        .size:           2
        .value_kind:     hidden_remainder_y
      - .offset:         86
        .size:           2
        .value_kind:     hidden_remainder_z
      - .offset:         104
        .size:           8
        .value_kind:     hidden_global_offset_x
      - .offset:         112
        .size:           8
        .value_kind:     hidden_global_offset_y
      - .offset:         120
        .size:           8
        .value_kind:     hidden_global_offset_z
      - .offset:         128
        .size:           2
        .value_kind:     hidden_grid_dims
    .group_segment_fixed_size: 128
    .kernarg_segment_align: 8
    .kernarg_segment_size: 320
    .language:       OpenCL C
    .language_version:
      - 2
      - 0
    .max_flat_workgroup_size: 512
    .name:           _ZL24rocblas_dot_kernel_magsqIiLb0ELi512ELi8ELb0EDF16_PKPKDF16_fEviT5_lT_liPT6_PT4_
    .private_segment_fixed_size: 0
    .sgpr_count:     22
    .sgpr_spill_count: 0
    .symbol:         _ZL24rocblas_dot_kernel_magsqIiLb0ELi512ELi8ELb0EDF16_PKPKDF16_fEviT5_lT_liPT6_PT4_.kd
    .uniform_work_group_size: 1
    .uses_dynamic_stack: false
    .vgpr_count:     9
    .vgpr_spill_count: 0
    .wavefront_size: 32
    .workgroup_processor_mode: 1
  - .args:
      - .offset:         0
        .size:           4
        .value_kind:     by_value
      - .actual_access:  read_only
        .address_space:  global
        .offset:         8
        .size:           8
        .value_kind:     global_buffer
      - .offset:         16
        .size:           8
        .value_kind:     by_value
      - .offset:         24
        .size:           4
        .value_kind:     by_value
      - .offset:         32
        .size:           8
        .value_kind:     by_value
      - .actual_access:  read_only
        .address_space:  global
        .offset:         40
        .size:           8
        .value_kind:     global_buffer
      - .offset:         48
        .size:           8
        .value_kind:     by_value
      - .offset:         56
        .size:           4
        .value_kind:     by_value
      - .offset:         64
        .size:           8
        .value_kind:     by_value
      - .offset:         72
        .size:           4
        .value_kind:     by_value
      - .actual_access:  write_only
        .address_space:  global
        .offset:         80
        .size:           8
        .value_kind:     global_buffer
    .group_segment_fixed_size: 0
    .kernarg_segment_align: 8
    .kernarg_segment_size: 88
    .language:       OpenCL C
    .language_version:
      - 2
      - 0
    .max_flat_workgroup_size: 128
    .name:           _ZL28rocblas_dot_batched_4_kernelIiLi32ELi4ELb0EffPKPKDF16_EviT5_lT_lS4_lS5_liPT4_
    .private_segment_fixed_size: 0
    .sgpr_count:     18
    .sgpr_spill_count: 0
    .symbol:         _ZL28rocblas_dot_batched_4_kernelIiLi32ELi4ELb0EffPKPKDF16_EviT5_lT_lS4_lS5_liPT4_.kd
    .uniform_work_group_size: 1
    .uses_dynamic_stack: false
    .vgpr_count:     12
    .vgpr_spill_count: 0
    .wavefront_size: 32
    .workgroup_processor_mode: 1
  - .args:
      - .offset:         0
        .size:           4
        .value_kind:     by_value
      - .actual_access:  read_only
        .address_space:  global
        .offset:         8
        .size:           8
        .value_kind:     global_buffer
      - .offset:         16
        .size:           8
        .value_kind:     by_value
      - .offset:         24
        .size:           4
        .value_kind:     by_value
      - .offset:         32
        .size:           8
        .value_kind:     by_value
      - .actual_access:  read_only
        .address_space:  global
        .offset:         40
        .size:           8
        .value_kind:     global_buffer
      - .offset:         48
        .size:           8
        .value_kind:     by_value
      - .offset:         56
        .size:           4
        .value_kind:     by_value
      - .offset:         64
        .size:           8
        .value_kind:     by_value
      - .offset:         72
        .size:           4
        .value_kind:     by_value
      - .actual_access:  write_only
        .address_space:  global
        .offset:         80
        .size:           8
        .value_kind:     global_buffer
    .group_segment_fixed_size: 0
    .kernarg_segment_align: 8
    .kernarg_segment_size: 88
    .language:       OpenCL C
    .language_version:
      - 2
      - 0
    .max_flat_workgroup_size: 256
    .name:           _ZL28rocblas_dot_batched_4_kernelIiLi64ELi4ELb0EffPKPKDF16_EviT5_lT_lS4_lS5_liPT4_
    .private_segment_fixed_size: 0
    .sgpr_count:     18
    .sgpr_spill_count: 0
    .symbol:         _ZL28rocblas_dot_batched_4_kernelIiLi64ELi4ELb0EffPKPKDF16_EviT5_lT_lS4_lS5_liPT4_.kd
    .uniform_work_group_size: 1
    .uses_dynamic_stack: false
    .vgpr_count:     12
    .vgpr_spill_count: 0
    .wavefront_size: 32
    .workgroup_processor_mode: 1
  - .args:
      - .offset:         0
        .size:           4
        .value_kind:     by_value
      - .actual_access:  read_only
        .address_space:  global
        .offset:         8
        .size:           8
        .value_kind:     global_buffer
      - .offset:         16
        .size:           8
        .value_kind:     by_value
      - .offset:         24
        .size:           4
        .value_kind:     by_value
      - .offset:         32
        .size:           8
        .value_kind:     by_value
      - .actual_access:  read_only
        .address_space:  global
        .offset:         40
        .size:           8
        .value_kind:     global_buffer
      - .offset:         48
        .size:           8
        .value_kind:     by_value
      - .offset:         56
        .size:           4
        .value_kind:     by_value
      - .offset:         64
        .size:           8
        .value_kind:     by_value
      - .offset:         72
        .size:           4
        .value_kind:     by_value
      - .actual_access:  read_only
        .address_space:  global
        .offset:         80
        .size:           8
        .value_kind:     global_buffer
      - .actual_access:  write_only
        .address_space:  global
        .offset:         88
        .size:           8
        .value_kind:     global_buffer
      - .offset:         96
        .size:           4
        .value_kind:     hidden_block_count_x
      - .offset:         100
        .size:           4
        .value_kind:     hidden_block_count_y
      - .offset:         104
        .size:           4
        .value_kind:     hidden_block_count_z
      - .offset:         108
        .size:           2
        .value_kind:     hidden_group_size_x
      - .offset:         110
        .size:           2
        .value_kind:     hidden_group_size_y
      - .offset:         112
        .size:           2
        .value_kind:     hidden_group_size_z
      - .offset:         114
        .size:           2
        .value_kind:     hidden_remainder_x
      - .offset:         116
        .size:           2
        .value_kind:     hidden_remainder_y
      - .offset:         118
        .size:           2
        .value_kind:     hidden_remainder_z
      - .offset:         136
        .size:           8
        .value_kind:     hidden_global_offset_x
      - .offset:         144
        .size:           8
        .value_kind:     hidden_global_offset_y
      - .offset:         152
        .size:           8
        .value_kind:     hidden_global_offset_z
      - .offset:         160
        .size:           2
        .value_kind:     hidden_grid_dims
    .group_segment_fixed_size: 128
    .kernarg_segment_align: 8
    .kernarg_segment_size: 352
    .language:       OpenCL C
    .language_version:
      - 2
      - 0
    .max_flat_workgroup_size: 1024
    .name:           _ZL18rocblas_dot_kernelIiLb1ELi1024ELi32ELb0EfPKPKDF16_fEviT5_lT_lS4_lS5_liPT6_PT4_
    .private_segment_fixed_size: 0
    .sgpr_count:     23
    .sgpr_spill_count: 0
    .symbol:         _ZL18rocblas_dot_kernelIiLb1ELi1024ELi32ELb0EfPKPKDF16_fEviT5_lT_lS4_lS5_liPT6_PT4_.kd
    .uniform_work_group_size: 1
    .uses_dynamic_stack: false
    .vgpr_count:     10
    .vgpr_spill_count: 0
    .wavefront_size: 32
    .workgroup_processor_mode: 1
  - .args:
      - .offset:         0
        .size:           4
        .value_kind:     by_value
      - .actual_access:  read_only
        .address_space:  global
        .offset:         8
        .size:           8
        .value_kind:     global_buffer
      - .offset:         16
        .size:           8
        .value_kind:     by_value
      - .offset:         24
        .size:           4
        .value_kind:     by_value
      - .offset:         32
        .size:           8
        .value_kind:     by_value
      - .offset:         40
        .size:           4
        .value_kind:     by_value
      - .actual_access:  read_only
        .address_space:  global
        .offset:         48
        .size:           8
        .value_kind:     global_buffer
      - .actual_access:  write_only
        .address_space:  global
        .offset:         56
        .size:           8
        .value_kind:     global_buffer
      - .offset:         64
        .size:           4
        .value_kind:     hidden_block_count_x
      - .offset:         68
        .size:           4
        .value_kind:     hidden_block_count_y
      - .offset:         72
        .size:           4
        .value_kind:     hidden_block_count_z
      - .offset:         76
        .size:           2
        .value_kind:     hidden_group_size_x
      - .offset:         78
        .size:           2
        .value_kind:     hidden_group_size_y
      - .offset:         80
        .size:           2
        .value_kind:     hidden_group_size_z
      - .offset:         82
        .size:           2
        .value_kind:     hidden_remainder_x
      - .offset:         84
        .size:           2
        .value_kind:     hidden_remainder_y
      - .offset:         86
        .size:           2
        .value_kind:     hidden_remainder_z
      - .offset:         104
        .size:           8
        .value_kind:     hidden_global_offset_x
      - .offset:         112
        .size:           8
        .value_kind:     hidden_global_offset_y
      - .offset:         120
        .size:           8
        .value_kind:     hidden_global_offset_z
      - .offset:         128
        .size:           2
        .value_kind:     hidden_grid_dims
    .group_segment_fixed_size: 128
    .kernarg_segment_align: 8
    .kernarg_segment_size: 320
    .language:       OpenCL C
    .language_version:
      - 2
      - 0
    .max_flat_workgroup_size: 1024
    .name:           _ZL24rocblas_dot_kernel_magsqIiLb1ELi1024ELi32ELb0EfPKPKDF16_fEviT5_lT_liPT6_PT4_
    .private_segment_fixed_size: 0
    .sgpr_count:     19
    .sgpr_spill_count: 0
    .symbol:         _ZL24rocblas_dot_kernel_magsqIiLb1ELi1024ELi32ELb0EfPKPKDF16_fEviT5_lT_liPT6_PT4_.kd
    .uniform_work_group_size: 1
    .uses_dynamic_stack: false
    .vgpr_count:     10
    .vgpr_spill_count: 0
    .wavefront_size: 32
    .workgroup_processor_mode: 1
  - .args:
      - .offset:         0
        .size:           4
        .value_kind:     by_value
      - .actual_access:  read_only
        .address_space:  global
        .offset:         8
        .size:           8
        .value_kind:     global_buffer
      - .offset:         16
        .size:           8
        .value_kind:     by_value
      - .offset:         24
        .size:           4
        .value_kind:     by_value
      - .offset:         32
        .size:           8
        .value_kind:     by_value
      - .actual_access:  read_only
        .address_space:  global
        .offset:         40
        .size:           8
        .value_kind:     global_buffer
      - .offset:         48
        .size:           8
        .value_kind:     by_value
      - .offset:         56
        .size:           4
        .value_kind:     by_value
      - .offset:         64
        .size:           8
        .value_kind:     by_value
      - .actual_access:  read_only
        .address_space:  global
        .offset:         72
        .size:           8
        .value_kind:     global_buffer
      - .actual_access:  read_only
        .address_space:  global
        .offset:         80
        .size:           8
        .value_kind:     global_buffer
    .group_segment_fixed_size: 0
    .kernarg_segment_align: 8
    .kernarg_segment_size: 88
    .language:       OpenCL C
    .language_version:
      - 2
      - 0
    .max_flat_workgroup_size: 1024
    .name:           _ZL38rocblas_dot_kernel_gfx942_float_doubleIiLi1024EfPKPKDF16_fEviT2_lT_lS4_lS5_lPT3_PT1_
    .private_segment_fixed_size: 0
    .sgpr_count:     0
    .sgpr_spill_count: 0
    .symbol:         _ZL38rocblas_dot_kernel_gfx942_float_doubleIiLi1024EfPKPKDF16_fEviT2_lT_lS4_lS5_lPT3_PT1_.kd
    .uniform_work_group_size: 1
    .uses_dynamic_stack: false
    .vgpr_count:     0
    .vgpr_spill_count: 0
    .wavefront_size: 32
    .workgroup_processor_mode: 1
  - .args:
      - .offset:         0
        .size:           4
        .value_kind:     by_value
      - .actual_access:  read_only
        .address_space:  global
        .offset:         8
        .size:           8
        .value_kind:     global_buffer
      - .offset:         16
        .size:           8
        .value_kind:     by_value
      - .offset:         24
        .size:           4
        .value_kind:     by_value
      - .offset:         32
        .size:           8
        .value_kind:     by_value
      - .actual_access:  read_only
        .address_space:  global
        .offset:         40
        .size:           8
        .value_kind:     global_buffer
      - .offset:         48
        .size:           8
        .value_kind:     by_value
      - .offset:         56
        .size:           4
        .value_kind:     by_value
      - .offset:         64
        .size:           8
        .value_kind:     by_value
      - .offset:         72
        .size:           4
        .value_kind:     by_value
      - .actual_access:  write_only
        .address_space:  global
        .offset:         80
        .size:           8
        .value_kind:     global_buffer
      - .actual_access:  write_only
        .address_space:  global
        .offset:         88
        .size:           8
        .value_kind:     global_buffer
      - .offset:         96
        .size:           4
        .value_kind:     hidden_block_count_x
      - .offset:         100
        .size:           4
        .value_kind:     hidden_block_count_y
      - .offset:         104
        .size:           4
        .value_kind:     hidden_block_count_z
      - .offset:         108
        .size:           2
        .value_kind:     hidden_group_size_x
      - .offset:         110
        .size:           2
        .value_kind:     hidden_group_size_y
      - .offset:         112
        .size:           2
        .value_kind:     hidden_group_size_z
      - .offset:         114
        .size:           2
        .value_kind:     hidden_remainder_x
      - .offset:         116
        .size:           2
        .value_kind:     hidden_remainder_y
      - .offset:         118
        .size:           2
        .value_kind:     hidden_remainder_z
      - .offset:         136
        .size:           8
        .value_kind:     hidden_global_offset_x
      - .offset:         144
        .size:           8
        .value_kind:     hidden_global_offset_y
      - .offset:         152
        .size:           8
        .value_kind:     hidden_global_offset_z
      - .offset:         160
        .size:           2
        .value_kind:     hidden_grid_dims
    .group_segment_fixed_size: 128
    .kernarg_segment_align: 8
    .kernarg_segment_size: 352
    .language:       OpenCL C
    .language_version:
      - 2
      - 0
    .max_flat_workgroup_size: 512
    .name:           _ZL18rocblas_dot_kernelIiLb0ELi512ELi4ELb0EfPKPKDF16_fEviT5_lT_lS4_lS5_liPT6_PT4_
    .private_segment_fixed_size: 0
    .sgpr_count:     27
    .sgpr_spill_count: 0
    .symbol:         _ZL18rocblas_dot_kernelIiLb0ELi512ELi4ELb0EfPKPKDF16_fEviT5_lT_lS4_lS5_liPT6_PT4_.kd
    .uniform_work_group_size: 1
    .uses_dynamic_stack: false
    .vgpr_count:     9
    .vgpr_spill_count: 0
    .wavefront_size: 32
    .workgroup_processor_mode: 1
  - .args:
      - .offset:         0
        .size:           4
        .value_kind:     by_value
      - .actual_access:  read_only
        .address_space:  global
        .offset:         8
        .size:           8
        .value_kind:     global_buffer
      - .offset:         16
        .size:           8
        .value_kind:     by_value
      - .offset:         24
        .size:           4
        .value_kind:     by_value
      - .offset:         32
        .size:           8
        .value_kind:     by_value
      - .offset:         40
        .size:           4
        .value_kind:     by_value
      - .actual_access:  write_only
        .address_space:  global
        .offset:         48
        .size:           8
        .value_kind:     global_buffer
      - .actual_access:  write_only
        .address_space:  global
        .offset:         56
        .size:           8
        .value_kind:     global_buffer
      - .offset:         64
        .size:           4
        .value_kind:     hidden_block_count_x
      - .offset:         68
        .size:           4
        .value_kind:     hidden_block_count_y
      - .offset:         72
        .size:           4
        .value_kind:     hidden_block_count_z
      - .offset:         76
        .size:           2
        .value_kind:     hidden_group_size_x
      - .offset:         78
        .size:           2
        .value_kind:     hidden_group_size_y
      - .offset:         80
        .size:           2
        .value_kind:     hidden_group_size_z
      - .offset:         82
        .size:           2
        .value_kind:     hidden_remainder_x
      - .offset:         84
        .size:           2
        .value_kind:     hidden_remainder_y
      - .offset:         86
        .size:           2
        .value_kind:     hidden_remainder_z
      - .offset:         104
        .size:           8
        .value_kind:     hidden_global_offset_x
      - .offset:         112
        .size:           8
        .value_kind:     hidden_global_offset_y
      - .offset:         120
        .size:           8
        .value_kind:     hidden_global_offset_z
      - .offset:         128
        .size:           2
        .value_kind:     hidden_grid_dims
    .group_segment_fixed_size: 128
    .kernarg_segment_align: 8
    .kernarg_segment_size: 320
    .language:       OpenCL C
    .language_version:
      - 2
      - 0
    .max_flat_workgroup_size: 512
    .name:           _ZL24rocblas_dot_kernel_magsqIiLb0ELi512ELi4ELb0EfPKPKDF16_fEviT5_lT_liPT6_PT4_
    .private_segment_fixed_size: 0
    .sgpr_count:     22
    .sgpr_spill_count: 0
    .symbol:         _ZL24rocblas_dot_kernel_magsqIiLb0ELi512ELi4ELb0EfPKPKDF16_fEviT5_lT_liPT6_PT4_.kd
    .uniform_work_group_size: 1
    .uses_dynamic_stack: false
    .vgpr_count:     9
    .vgpr_spill_count: 0
    .wavefront_size: 32
    .workgroup_processor_mode: 1
  - .args:
      - .offset:         0
        .size:           4
        .value_kind:     by_value
      - .actual_access:  read_only
        .address_space:  global
        .offset:         8
        .size:           8
        .value_kind:     global_buffer
      - .offset:         16
        .size:           8
        .value_kind:     by_value
      - .offset:         24
        .size:           8
        .value_kind:     by_value
      - .offset:         32
        .size:           8
        .value_kind:     by_value
      - .actual_access:  read_only
        .address_space:  global
        .offset:         40
        .size:           8
        .value_kind:     global_buffer
      - .offset:         48
        .size:           8
        .value_kind:     by_value
      - .offset:         56
        .size:           8
        .value_kind:     by_value
      - .offset:         64
        .size:           8
        .value_kind:     by_value
      - .offset:         72
        .size:           4
        .value_kind:     by_value
      - .actual_access:  write_only
        .address_space:  global
        .offset:         80
        .size:           8
        .value_kind:     global_buffer
    .group_segment_fixed_size: 0
    .kernarg_segment_align: 8
    .kernarg_segment_size: 88
    .language:       OpenCL C
    .language_version:
      - 2
      - 0
    .max_flat_workgroup_size: 128
    .name:           _ZL28rocblas_dot_batched_4_kernelIlLi32ELi4ELb0EfDF16_PKPKDF16_EviT5_lT_lS4_lS5_liPT4_
    .private_segment_fixed_size: 0
    .sgpr_count:     18
    .sgpr_spill_count: 0
    .symbol:         _ZL28rocblas_dot_batched_4_kernelIlLi32ELi4ELb0EfDF16_PKPKDF16_EviT5_lT_lS4_lS5_liPT4_.kd
    .uniform_work_group_size: 1
    .uses_dynamic_stack: false
    .vgpr_count:     14
    .vgpr_spill_count: 0
    .wavefront_size: 32
    .workgroup_processor_mode: 1
  - .args:
      - .offset:         0
        .size:           4
        .value_kind:     by_value
      - .actual_access:  read_only
        .address_space:  global
        .offset:         8
        .size:           8
        .value_kind:     global_buffer
      - .offset:         16
        .size:           8
        .value_kind:     by_value
      - .offset:         24
        .size:           8
        .value_kind:     by_value
      - .offset:         32
        .size:           8
        .value_kind:     by_value
      - .actual_access:  read_only
        .address_space:  global
        .offset:         40
        .size:           8
        .value_kind:     global_buffer
      - .offset:         48
        .size:           8
        .value_kind:     by_value
      - .offset:         56
        .size:           8
        .value_kind:     by_value
      - .offset:         64
        .size:           8
        .value_kind:     by_value
      - .offset:         72
        .size:           4
        .value_kind:     by_value
      - .actual_access:  write_only
        .address_space:  global
        .offset:         80
        .size:           8
        .value_kind:     global_buffer
    .group_segment_fixed_size: 0
    .kernarg_segment_align: 8
    .kernarg_segment_size: 88
    .language:       OpenCL C
    .language_version:
      - 2
      - 0
    .max_flat_workgroup_size: 256
    .name:           _ZL28rocblas_dot_batched_4_kernelIlLi64ELi4ELb0EfDF16_PKPKDF16_EviT5_lT_lS4_lS5_liPT4_
    .private_segment_fixed_size: 0
    .sgpr_count:     18
    .sgpr_spill_count: 0
    .symbol:         _ZL28rocblas_dot_batched_4_kernelIlLi64ELi4ELb0EfDF16_PKPKDF16_EviT5_lT_lS4_lS5_liPT4_.kd
    .uniform_work_group_size: 1
    .uses_dynamic_stack: false
    .vgpr_count:     14
    .vgpr_spill_count: 0
    .wavefront_size: 32
    .workgroup_processor_mode: 1
  - .args:
      - .offset:         0
        .size:           4
        .value_kind:     by_value
      - .actual_access:  read_only
        .address_space:  global
        .offset:         8
        .size:           8
        .value_kind:     global_buffer
      - .offset:         16
        .size:           8
        .value_kind:     by_value
      - .offset:         24
        .size:           8
        .value_kind:     by_value
      - .offset:         32
        .size:           8
        .value_kind:     by_value
      - .actual_access:  read_only
        .address_space:  global
        .offset:         40
        .size:           8
        .value_kind:     global_buffer
      - .offset:         48
        .size:           8
        .value_kind:     by_value
      - .offset:         56
        .size:           8
        .value_kind:     by_value
      - .offset:         64
        .size:           8
        .value_kind:     by_value
      - .offset:         72
        .size:           4
        .value_kind:     by_value
      - .actual_access:  read_only
        .address_space:  global
        .offset:         80
        .size:           8
        .value_kind:     global_buffer
      - .actual_access:  write_only
        .address_space:  global
        .offset:         88
        .size:           8
        .value_kind:     global_buffer
      - .offset:         96
        .size:           4
        .value_kind:     hidden_block_count_x
      - .offset:         100
        .size:           4
        .value_kind:     hidden_block_count_y
      - .offset:         104
        .size:           4
        .value_kind:     hidden_block_count_z
      - .offset:         108
        .size:           2
        .value_kind:     hidden_group_size_x
      - .offset:         110
        .size:           2
        .value_kind:     hidden_group_size_y
      - .offset:         112
        .size:           2
        .value_kind:     hidden_group_size_z
      - .offset:         114
        .size:           2
        .value_kind:     hidden_remainder_x
      - .offset:         116
        .size:           2
        .value_kind:     hidden_remainder_y
      - .offset:         118
        .size:           2
        .value_kind:     hidden_remainder_z
      - .offset:         136
        .size:           8
        .value_kind:     hidden_global_offset_x
      - .offset:         144
        .size:           8
        .value_kind:     hidden_global_offset_y
      - .offset:         152
        .size:           8
        .value_kind:     hidden_global_offset_z
      - .offset:         160
        .size:           2
        .value_kind:     hidden_grid_dims
    .group_segment_fixed_size: 128
    .kernarg_segment_align: 8
    .kernarg_segment_size: 352
    .language:       OpenCL C
    .language_version:
      - 2
      - 0
    .max_flat_workgroup_size: 1024
    .name:           _ZL18rocblas_dot_kernelIlLb1ELi1024ELi32ELb0EDF16_PKPKDF16_fEviT5_lT_lS4_lS5_liPT6_PT4_
    .private_segment_fixed_size: 0
    .sgpr_count:     27
    .sgpr_spill_count: 0
    .symbol:         _ZL18rocblas_dot_kernelIlLb1ELi1024ELi32ELb0EDF16_PKPKDF16_fEviT5_lT_lS4_lS5_liPT6_PT4_.kd
    .uniform_work_group_size: 1
    .uses_dynamic_stack: false
    .vgpr_count:     10
    .vgpr_spill_count: 0
    .wavefront_size: 32
    .workgroup_processor_mode: 1
  - .args:
      - .offset:         0
        .size:           4
        .value_kind:     by_value
      - .actual_access:  read_only
        .address_space:  global
        .offset:         8
        .size:           8
        .value_kind:     global_buffer
      - .offset:         16
        .size:           8
        .value_kind:     by_value
      - .offset:         24
        .size:           8
        .value_kind:     by_value
      - .offset:         32
        .size:           8
        .value_kind:     by_value
      - .offset:         40
        .size:           4
        .value_kind:     by_value
      - .actual_access:  read_only
        .address_space:  global
        .offset:         48
        .size:           8
        .value_kind:     global_buffer
      - .actual_access:  write_only
        .address_space:  global
        .offset:         56
        .size:           8
        .value_kind:     global_buffer
      - .offset:         64
        .size:           4
        .value_kind:     hidden_block_count_x
      - .offset:         68
        .size:           4
        .value_kind:     hidden_block_count_y
      - .offset:         72
        .size:           4
        .value_kind:     hidden_block_count_z
      - .offset:         76
        .size:           2
        .value_kind:     hidden_group_size_x
      - .offset:         78
        .size:           2
        .value_kind:     hidden_group_size_y
      - .offset:         80
        .size:           2
        .value_kind:     hidden_group_size_z
      - .offset:         82
        .size:           2
        .value_kind:     hidden_remainder_x
      - .offset:         84
        .size:           2
        .value_kind:     hidden_remainder_y
      - .offset:         86
        .size:           2
        .value_kind:     hidden_remainder_z
      - .offset:         104
        .size:           8
        .value_kind:     hidden_global_offset_x
      - .offset:         112
        .size:           8
        .value_kind:     hidden_global_offset_y
      - .offset:         120
        .size:           8
        .value_kind:     hidden_global_offset_z
      - .offset:         128
        .size:           2
        .value_kind:     hidden_grid_dims
    .group_segment_fixed_size: 128
    .kernarg_segment_align: 8
    .kernarg_segment_size: 320
    .language:       OpenCL C
    .language_version:
      - 2
      - 0
    .max_flat_workgroup_size: 1024
    .name:           _ZL24rocblas_dot_kernel_magsqIlLb1ELi1024ELi32ELb0EDF16_PKPKDF16_fEviT5_lT_liPT6_PT4_
    .private_segment_fixed_size: 0
    .sgpr_count:     19
    .sgpr_spill_count: 0
    .symbol:         _ZL24rocblas_dot_kernel_magsqIlLb1ELi1024ELi32ELb0EDF16_PKPKDF16_fEviT5_lT_liPT6_PT4_.kd
    .uniform_work_group_size: 1
    .uses_dynamic_stack: false
    .vgpr_count:     10
    .vgpr_spill_count: 0
    .wavefront_size: 32
    .workgroup_processor_mode: 1
  - .args:
      - .offset:         0
        .size:           4
        .value_kind:     by_value
      - .actual_access:  read_only
        .address_space:  global
        .offset:         8
        .size:           8
        .value_kind:     global_buffer
      - .offset:         16
        .size:           8
        .value_kind:     by_value
      - .offset:         24
        .size:           8
        .value_kind:     by_value
      - .offset:         32
        .size:           8
        .value_kind:     by_value
      - .actual_access:  read_only
        .address_space:  global
        .offset:         40
        .size:           8
        .value_kind:     global_buffer
      - .offset:         48
        .size:           8
        .value_kind:     by_value
      - .offset:         56
        .size:           8
        .value_kind:     by_value
      - .offset:         64
        .size:           8
        .value_kind:     by_value
      - .actual_access:  read_only
        .address_space:  global
        .offset:         72
        .size:           8
        .value_kind:     global_buffer
      - .actual_access:  read_only
        .address_space:  global
        .offset:         80
        .size:           8
        .value_kind:     global_buffer
    .group_segment_fixed_size: 0
    .kernarg_segment_align: 8
    .kernarg_segment_size: 88
    .language:       OpenCL C
    .language_version:
      - 2
      - 0
    .max_flat_workgroup_size: 1024
    .name:           _ZL38rocblas_dot_kernel_gfx942_float_doubleIlLi1024EDF16_PKPKDF16_fEviT2_lT_lS4_lS5_lPT3_PT1_
    .private_segment_fixed_size: 0
    .sgpr_count:     0
    .sgpr_spill_count: 0
    .symbol:         _ZL38rocblas_dot_kernel_gfx942_float_doubleIlLi1024EDF16_PKPKDF16_fEviT2_lT_lS4_lS5_lPT3_PT1_.kd
    .uniform_work_group_size: 1
    .uses_dynamic_stack: false
    .vgpr_count:     0
    .vgpr_spill_count: 0
    .wavefront_size: 32
    .workgroup_processor_mode: 1
  - .args:
      - .offset:         0
        .size:           4
        .value_kind:     by_value
      - .actual_access:  read_only
        .address_space:  global
        .offset:         8
        .size:           8
        .value_kind:     global_buffer
      - .offset:         16
        .size:           8
        .value_kind:     by_value
      - .offset:         24
        .size:           8
        .value_kind:     by_value
      - .offset:         32
        .size:           8
        .value_kind:     by_value
      - .actual_access:  read_only
        .address_space:  global
        .offset:         40
        .size:           8
        .value_kind:     global_buffer
      - .offset:         48
        .size:           8
        .value_kind:     by_value
      - .offset:         56
        .size:           8
        .value_kind:     by_value
      - .offset:         64
        .size:           8
        .value_kind:     by_value
      - .offset:         72
        .size:           4
        .value_kind:     by_value
      - .actual_access:  write_only
        .address_space:  global
        .offset:         80
        .size:           8
        .value_kind:     global_buffer
      - .actual_access:  write_only
        .address_space:  global
        .offset:         88
        .size:           8
        .value_kind:     global_buffer
      - .offset:         96
        .size:           4
        .value_kind:     hidden_block_count_x
      - .offset:         100
        .size:           4
        .value_kind:     hidden_block_count_y
      - .offset:         104
        .size:           4
        .value_kind:     hidden_block_count_z
      - .offset:         108
        .size:           2
        .value_kind:     hidden_group_size_x
      - .offset:         110
        .size:           2
        .value_kind:     hidden_group_size_y
      - .offset:         112
        .size:           2
        .value_kind:     hidden_group_size_z
      - .offset:         114
        .size:           2
        .value_kind:     hidden_remainder_x
      - .offset:         116
        .size:           2
        .value_kind:     hidden_remainder_y
      - .offset:         118
        .size:           2
        .value_kind:     hidden_remainder_z
      - .offset:         136
        .size:           8
        .value_kind:     hidden_global_offset_x
      - .offset:         144
        .size:           8
        .value_kind:     hidden_global_offset_y
      - .offset:         152
        .size:           8
        .value_kind:     hidden_global_offset_z
      - .offset:         160
        .size:           2
        .value_kind:     hidden_grid_dims
    .group_segment_fixed_size: 128
    .kernarg_segment_align: 8
    .kernarg_segment_size: 352
    .language:       OpenCL C
    .language_version:
      - 2
      - 0
    .max_flat_workgroup_size: 512
    .name:           _ZL18rocblas_dot_kernelIlLb0ELi512ELi8ELb0EDF16_PKPKDF16_fEviT5_lT_lS4_lS5_liPT6_PT4_
    .private_segment_fixed_size: 0
    .sgpr_count:     31
    .sgpr_spill_count: 0
    .symbol:         _ZL18rocblas_dot_kernelIlLb0ELi512ELi8ELb0EDF16_PKPKDF16_fEviT5_lT_lS4_lS5_liPT6_PT4_.kd
    .uniform_work_group_size: 1
    .uses_dynamic_stack: false
    .vgpr_count:     12
    .vgpr_spill_count: 0
    .wavefront_size: 32
    .workgroup_processor_mode: 1
  - .args:
      - .offset:         0
        .size:           4
        .value_kind:     by_value
      - .actual_access:  read_only
        .address_space:  global
        .offset:         8
        .size:           8
        .value_kind:     global_buffer
      - .offset:         16
        .size:           8
        .value_kind:     by_value
      - .offset:         24
        .size:           8
        .value_kind:     by_value
      - .offset:         32
        .size:           8
        .value_kind:     by_value
      - .offset:         40
        .size:           4
        .value_kind:     by_value
      - .actual_access:  write_only
        .address_space:  global
        .offset:         48
        .size:           8
        .value_kind:     global_buffer
      - .actual_access:  write_only
        .address_space:  global
        .offset:         56
        .size:           8
        .value_kind:     global_buffer
      - .offset:         64
        .size:           4
        .value_kind:     hidden_block_count_x
      - .offset:         68
        .size:           4
        .value_kind:     hidden_block_count_y
      - .offset:         72
        .size:           4
        .value_kind:     hidden_block_count_z
      - .offset:         76
        .size:           2
        .value_kind:     hidden_group_size_x
      - .offset:         78
        .size:           2
        .value_kind:     hidden_group_size_y
      - .offset:         80
        .size:           2
        .value_kind:     hidden_group_size_z
      - .offset:         82
        .size:           2
        .value_kind:     hidden_remainder_x
      - .offset:         84
        .size:           2
        .value_kind:     hidden_remainder_y
      - .offset:         86
        .size:           2
        .value_kind:     hidden_remainder_z
      - .offset:         104
        .size:           8
        .value_kind:     hidden_global_offset_x
      - .offset:         112
        .size:           8
        .value_kind:     hidden_global_offset_y
      - .offset:         120
        .size:           8
        .value_kind:     hidden_global_offset_z
      - .offset:         128
        .size:           2
        .value_kind:     hidden_grid_dims
    .group_segment_fixed_size: 128
    .kernarg_segment_align: 8
    .kernarg_segment_size: 320
    .language:       OpenCL C
    .language_version:
      - 2
      - 0
    .max_flat_workgroup_size: 512
    .name:           _ZL24rocblas_dot_kernel_magsqIlLb0ELi512ELi8ELb0EDF16_PKPKDF16_fEviT5_lT_liPT6_PT4_
    .private_segment_fixed_size: 0
    .sgpr_count:     22
    .sgpr_spill_count: 0
    .symbol:         _ZL24rocblas_dot_kernel_magsqIlLb0ELi512ELi8ELb0EDF16_PKPKDF16_fEviT5_lT_liPT6_PT4_.kd
    .uniform_work_group_size: 1
    .uses_dynamic_stack: false
    .vgpr_count:     9
    .vgpr_spill_count: 0
    .wavefront_size: 32
    .workgroup_processor_mode: 1
  - .args:
      - .offset:         0
        .size:           4
        .value_kind:     by_value
      - .actual_access:  read_only
        .address_space:  global
        .offset:         8
        .size:           8
        .value_kind:     global_buffer
      - .offset:         16
        .size:           8
        .value_kind:     by_value
      - .offset:         24
        .size:           4
        .value_kind:     by_value
      - .offset:         32
        .size:           8
        .value_kind:     by_value
      - .actual_access:  read_only
        .address_space:  global
        .offset:         40
        .size:           8
        .value_kind:     global_buffer
      - .offset:         48
        .size:           8
        .value_kind:     by_value
      - .offset:         56
        .size:           4
        .value_kind:     by_value
      - .offset:         64
        .size:           8
        .value_kind:     by_value
      - .offset:         72
        .size:           4
        .value_kind:     by_value
      - .actual_access:  write_only
        .address_space:  global
        .offset:         80
        .size:           8
        .value_kind:     global_buffer
    .group_segment_fixed_size: 0
    .kernarg_segment_align: 8
    .kernarg_segment_size: 88
    .language:       OpenCL C
    .language_version:
      - 2
      - 0
    .max_flat_workgroup_size: 128
    .name:           _ZL28rocblas_dot_batched_4_kernelIiLi32ELi4ELb0EddPKfEviT5_lT_lS2_lS3_liPT4_
    .private_segment_fixed_size: 0
    .sgpr_count:     22
    .sgpr_spill_count: 0
    .symbol:         _ZL28rocblas_dot_batched_4_kernelIiLi32ELi4ELb0EddPKfEviT5_lT_lS2_lS3_liPT4_.kd
    .uniform_work_group_size: 1
    .uses_dynamic_stack: false
    .vgpr_count:     15
    .vgpr_spill_count: 0
    .wavefront_size: 32
    .workgroup_processor_mode: 1
  - .args:
      - .offset:         0
        .size:           4
        .value_kind:     by_value
      - .actual_access:  read_only
        .address_space:  global
        .offset:         8
        .size:           8
        .value_kind:     global_buffer
      - .offset:         16
        .size:           8
        .value_kind:     by_value
      - .offset:         24
        .size:           4
        .value_kind:     by_value
      - .offset:         32
        .size:           8
        .value_kind:     by_value
      - .actual_access:  read_only
        .address_space:  global
        .offset:         40
        .size:           8
        .value_kind:     global_buffer
      - .offset:         48
        .size:           8
        .value_kind:     by_value
      - .offset:         56
        .size:           4
        .value_kind:     by_value
      - .offset:         64
        .size:           8
        .value_kind:     by_value
      - .offset:         72
        .size:           4
        .value_kind:     by_value
      - .actual_access:  write_only
        .address_space:  global
        .offset:         80
        .size:           8
        .value_kind:     global_buffer
    .group_segment_fixed_size: 0
    .kernarg_segment_align: 8
    .kernarg_segment_size: 88
    .language:       OpenCL C
    .language_version:
      - 2
      - 0
    .max_flat_workgroup_size: 256
    .name:           _ZL28rocblas_dot_batched_4_kernelIiLi64ELi4ELb0EddPKfEviT5_lT_lS2_lS3_liPT4_
    .private_segment_fixed_size: 0
    .sgpr_count:     22
    .sgpr_spill_count: 0
    .symbol:         _ZL28rocblas_dot_batched_4_kernelIiLi64ELi4ELb0EddPKfEviT5_lT_lS2_lS3_liPT4_.kd
    .uniform_work_group_size: 1
    .uses_dynamic_stack: false
    .vgpr_count:     15
    .vgpr_spill_count: 0
    .wavefront_size: 32
    .workgroup_processor_mode: 1
  - .args:
      - .offset:         0
        .size:           4
        .value_kind:     by_value
      - .actual_access:  read_only
        .address_space:  global
        .offset:         8
        .size:           8
        .value_kind:     global_buffer
      - .offset:         16
        .size:           8
        .value_kind:     by_value
      - .offset:         24
        .size:           8
        .value_kind:     by_value
      - .actual_access:  read_only
        .address_space:  global
        .offset:         32
        .size:           8
        .value_kind:     global_buffer
      - .offset:         40
        .size:           8
        .value_kind:     by_value
      - .offset:         48
        .size:           8
        .value_kind:     by_value
      - .offset:         56
        .size:           4
        .value_kind:     by_value
      - .actual_access:  read_only
        .address_space:  global
        .offset:         64
        .size:           8
        .value_kind:     global_buffer
      - .actual_access:  write_only
        .address_space:  global
        .offset:         72
        .size:           8
        .value_kind:     global_buffer
    .group_segment_fixed_size: 256
    .kernarg_segment_align: 8
    .kernarg_segment_size: 80
    .language:       OpenCL C
    .language_version:
      - 2
      - 0
    .max_flat_workgroup_size: 1024
    .name:           _ZL26rocblas_dot_kernel_inc1by2ILb1ELi1024ELi32ELb0EdPKfdEviT4_llS2_lliPT5_PT3_
    .private_segment_fixed_size: 0
    .sgpr_count:     21
    .sgpr_spill_count: 0
    .symbol:         _ZL26rocblas_dot_kernel_inc1by2ILb1ELi1024ELi32ELb0EdPKfdEviT4_llS2_lliPT5_PT3_.kd
    .uniform_work_group_size: 1
    .uses_dynamic_stack: false
    .vgpr_count:     12
    .vgpr_spill_count: 0
    .wavefront_size: 32
    .workgroup_processor_mode: 1
  - .args:
      - .offset:         0
        .size:           4
        .value_kind:     by_value
      - .actual_access:  read_only
        .address_space:  global
        .offset:         8
        .size:           8
        .value_kind:     global_buffer
      - .offset:         16
        .size:           8
        .value_kind:     by_value
      - .offset:         24
        .size:           4
        .value_kind:     by_value
      - .offset:         32
        .size:           8
        .value_kind:     by_value
      - .actual_access:  read_only
        .address_space:  global
        .offset:         40
        .size:           8
        .value_kind:     global_buffer
      - .offset:         48
        .size:           8
        .value_kind:     by_value
      - .offset:         56
        .size:           4
        .value_kind:     by_value
      - .offset:         64
        .size:           8
        .value_kind:     by_value
      - .offset:         72
        .size:           4
        .value_kind:     by_value
      - .actual_access:  read_only
        .address_space:  global
        .offset:         80
        .size:           8
        .value_kind:     global_buffer
      - .actual_access:  write_only
        .address_space:  global
        .offset:         88
        .size:           8
        .value_kind:     global_buffer
      - .offset:         96
        .size:           4
        .value_kind:     hidden_block_count_x
      - .offset:         100
        .size:           4
        .value_kind:     hidden_block_count_y
      - .offset:         104
        .size:           4
        .value_kind:     hidden_block_count_z
      - .offset:         108
        .size:           2
        .value_kind:     hidden_group_size_x
      - .offset:         110
        .size:           2
        .value_kind:     hidden_group_size_y
      - .offset:         112
        .size:           2
        .value_kind:     hidden_group_size_z
      - .offset:         114
        .size:           2
        .value_kind:     hidden_remainder_x
      - .offset:         116
        .size:           2
        .value_kind:     hidden_remainder_y
      - .offset:         118
        .size:           2
        .value_kind:     hidden_remainder_z
      - .offset:         136
        .size:           8
        .value_kind:     hidden_global_offset_x
      - .offset:         144
        .size:           8
        .value_kind:     hidden_global_offset_y
      - .offset:         152
        .size:           8
        .value_kind:     hidden_global_offset_z
      - .offset:         160
        .size:           2
        .value_kind:     hidden_grid_dims
    .group_segment_fixed_size: 256
    .kernarg_segment_align: 8
    .kernarg_segment_size: 352
    .language:       OpenCL C
    .language_version:
      - 2
      - 0
    .max_flat_workgroup_size: 1024
    .name:           _ZL18rocblas_dot_kernelIiLb1ELi1024ELi32ELb0EdPKfdEviT5_lT_lS2_lS3_liPT6_PT4_
    .private_segment_fixed_size: 0
    .sgpr_count:     27
    .sgpr_spill_count: 0
    .symbol:         _ZL18rocblas_dot_kernelIiLb1ELi1024ELi32ELb0EdPKfdEviT5_lT_lS2_lS3_liPT6_PT4_.kd
    .uniform_work_group_size: 1
    .uses_dynamic_stack: false
    .vgpr_count:     12
    .vgpr_spill_count: 0
    .wavefront_size: 32
    .workgroup_processor_mode: 1
  - .args:
      - .offset:         0
        .size:           4
        .value_kind:     by_value
      - .actual_access:  read_only
        .address_space:  global
        .offset:         8
        .size:           8
        .value_kind:     global_buffer
      - .offset:         16
        .size:           8
        .value_kind:     by_value
      - .offset:         24
        .size:           4
        .value_kind:     by_value
      - .offset:         32
        .size:           8
        .value_kind:     by_value
      - .offset:         40
        .size:           4
        .value_kind:     by_value
      - .actual_access:  read_only
        .address_space:  global
        .offset:         48
        .size:           8
        .value_kind:     global_buffer
      - .actual_access:  write_only
        .address_space:  global
        .offset:         56
        .size:           8
        .value_kind:     global_buffer
      - .offset:         64
        .size:           4
        .value_kind:     hidden_block_count_x
      - .offset:         68
        .size:           4
        .value_kind:     hidden_block_count_y
      - .offset:         72
        .size:           4
        .value_kind:     hidden_block_count_z
      - .offset:         76
        .size:           2
        .value_kind:     hidden_group_size_x
      - .offset:         78
        .size:           2
        .value_kind:     hidden_group_size_y
      - .offset:         80
        .size:           2
        .value_kind:     hidden_group_size_z
      - .offset:         82
        .size:           2
        .value_kind:     hidden_remainder_x
      - .offset:         84
        .size:           2
        .value_kind:     hidden_remainder_y
      - .offset:         86
        .size:           2
        .value_kind:     hidden_remainder_z
      - .offset:         104
        .size:           8
        .value_kind:     hidden_global_offset_x
      - .offset:         112
        .size:           8
        .value_kind:     hidden_global_offset_y
      - .offset:         120
        .size:           8
        .value_kind:     hidden_global_offset_z
      - .offset:         128
        .size:           2
        .value_kind:     hidden_grid_dims
    .group_segment_fixed_size: 256
    .kernarg_segment_align: 8
    .kernarg_segment_size: 320
    .language:       OpenCL C
    .language_version:
      - 2
      - 0
    .max_flat_workgroup_size: 1024
    .name:           _ZL24rocblas_dot_kernel_magsqIiLb1ELi1024ELi32ELb0EdPKfdEviT5_lT_liPT6_PT4_
    .private_segment_fixed_size: 0
    .sgpr_count:     19
    .sgpr_spill_count: 0
    .symbol:         _ZL24rocblas_dot_kernel_magsqIiLb1ELi1024ELi32ELb0EdPKfdEviT5_lT_liPT6_PT4_.kd
    .uniform_work_group_size: 1
    .uses_dynamic_stack: false
    .vgpr_count:     12
    .vgpr_spill_count: 0
    .wavefront_size: 32
    .workgroup_processor_mode: 1
  - .args:
      - .offset:         0
        .size:           4
        .value_kind:     by_value
      - .actual_access:  read_only
        .address_space:  global
        .offset:         8
        .size:           8
        .value_kind:     global_buffer
      - .offset:         16
        .size:           8
        .value_kind:     by_value
      - .offset:         24
        .size:           4
        .value_kind:     by_value
      - .offset:         32
        .size:           8
        .value_kind:     by_value
      - .actual_access:  read_only
        .address_space:  global
        .offset:         40
        .size:           8
        .value_kind:     global_buffer
      - .offset:         48
        .size:           8
        .value_kind:     by_value
      - .offset:         56
        .size:           4
        .value_kind:     by_value
      - .offset:         64
        .size:           8
        .value_kind:     by_value
      - .actual_access:  read_only
        .address_space:  global
        .offset:         72
        .size:           8
        .value_kind:     global_buffer
      - .actual_access:  read_only
        .address_space:  global
        .offset:         80
        .size:           8
        .value_kind:     global_buffer
    .group_segment_fixed_size: 0
    .kernarg_segment_align: 8
    .kernarg_segment_size: 88
    .language:       OpenCL C
    .language_version:
      - 2
      - 0
    .max_flat_workgroup_size: 1024
    .name:           _ZL38rocblas_dot_kernel_gfx942_float_doubleIiLi1024EdPKfdEviT2_lT_lS2_lS3_lPT3_PT1_
    .private_segment_fixed_size: 0
    .sgpr_count:     0
    .sgpr_spill_count: 0
    .symbol:         _ZL38rocblas_dot_kernel_gfx942_float_doubleIiLi1024EdPKfdEviT2_lT_lS2_lS3_lPT3_PT1_.kd
    .uniform_work_group_size: 1
    .uses_dynamic_stack: false
    .vgpr_count:     0
    .vgpr_spill_count: 0
    .wavefront_size: 32
    .workgroup_processor_mode: 1
  - .args:
      - .offset:         0
        .size:           4
        .value_kind:     by_value
      - .actual_access:  read_only
        .address_space:  global
        .offset:         8
        .size:           8
        .value_kind:     global_buffer
      - .offset:         16
        .size:           8
        .value_kind:     by_value
      - .offset:         24
        .size:           8
        .value_kind:     by_value
      - .actual_access:  read_only
        .address_space:  global
        .offset:         32
        .size:           8
        .value_kind:     global_buffer
      - .offset:         40
        .size:           8
        .value_kind:     by_value
      - .offset:         48
        .size:           8
        .value_kind:     by_value
      - .offset:         56
        .size:           4
        .value_kind:     by_value
      - .actual_access:  write_only
        .address_space:  global
        .offset:         64
        .size:           8
        .value_kind:     global_buffer
      - .actual_access:  write_only
        .address_space:  global
        .offset:         72
        .size:           8
        .value_kind:     global_buffer
      - .offset:         80
        .size:           4
        .value_kind:     hidden_block_count_x
      - .offset:         84
        .size:           4
        .value_kind:     hidden_block_count_y
      - .offset:         88
        .size:           4
        .value_kind:     hidden_block_count_z
      - .offset:         92
        .size:           2
        .value_kind:     hidden_group_size_x
      - .offset:         94
        .size:           2
        .value_kind:     hidden_group_size_y
      - .offset:         96
        .size:           2
        .value_kind:     hidden_group_size_z
      - .offset:         98
        .size:           2
        .value_kind:     hidden_remainder_x
      - .offset:         100
        .size:           2
        .value_kind:     hidden_remainder_y
      - .offset:         102
        .size:           2
        .value_kind:     hidden_remainder_z
      - .offset:         120
        .size:           8
        .value_kind:     hidden_global_offset_x
      - .offset:         128
        .size:           8
        .value_kind:     hidden_global_offset_y
      - .offset:         136
        .size:           8
        .value_kind:     hidden_global_offset_z
      - .offset:         144
        .size:           2
        .value_kind:     hidden_grid_dims
    .group_segment_fixed_size: 256
    .kernarg_segment_align: 8
    .kernarg_segment_size: 336
    .language:       OpenCL C
    .language_version:
      - 2
      - 0
    .max_flat_workgroup_size: 512
    .name:           _ZL23rocblas_dot_kernel_inc1ILb0ELi512ELi2ELb0EdPKfdEviT4_llS2_lliPT5_PT3_
    .private_segment_fixed_size: 0
    .sgpr_count:     24
    .sgpr_spill_count: 0
    .symbol:         _ZL23rocblas_dot_kernel_inc1ILb0ELi512ELi2ELb0EdPKfdEviT4_llS2_lliPT5_PT3_.kd
    .uniform_work_group_size: 1
    .uses_dynamic_stack: false
    .vgpr_count:     11
    .vgpr_spill_count: 0
    .wavefront_size: 32
    .workgroup_processor_mode: 1
  - .args:
      - .offset:         0
        .size:           4
        .value_kind:     by_value
      - .actual_access:  read_only
        .address_space:  global
        .offset:         8
        .size:           8
        .value_kind:     global_buffer
      - .offset:         16
        .size:           8
        .value_kind:     by_value
      - .offset:         24
        .size:           4
        .value_kind:     by_value
      - .offset:         32
        .size:           8
        .value_kind:     by_value
      - .actual_access:  read_only
        .address_space:  global
        .offset:         40
        .size:           8
        .value_kind:     global_buffer
      - .offset:         48
        .size:           8
        .value_kind:     by_value
      - .offset:         56
        .size:           4
        .value_kind:     by_value
      - .offset:         64
        .size:           8
        .value_kind:     by_value
      - .offset:         72
        .size:           4
        .value_kind:     by_value
      - .actual_access:  write_only
        .address_space:  global
        .offset:         80
        .size:           8
        .value_kind:     global_buffer
      - .actual_access:  write_only
        .address_space:  global
        .offset:         88
        .size:           8
        .value_kind:     global_buffer
      - .offset:         96
        .size:           4
        .value_kind:     hidden_block_count_x
      - .offset:         100
        .size:           4
        .value_kind:     hidden_block_count_y
      - .offset:         104
        .size:           4
        .value_kind:     hidden_block_count_z
      - .offset:         108
        .size:           2
        .value_kind:     hidden_group_size_x
      - .offset:         110
        .size:           2
        .value_kind:     hidden_group_size_y
      - .offset:         112
        .size:           2
        .value_kind:     hidden_group_size_z
      - .offset:         114
        .size:           2
        .value_kind:     hidden_remainder_x
      - .offset:         116
        .size:           2
        .value_kind:     hidden_remainder_y
      - .offset:         118
        .size:           2
        .value_kind:     hidden_remainder_z
      - .offset:         136
        .size:           8
        .value_kind:     hidden_global_offset_x
      - .offset:         144
        .size:           8
        .value_kind:     hidden_global_offset_y
      - .offset:         152
        .size:           8
        .value_kind:     hidden_global_offset_z
      - .offset:         160
        .size:           2
        .value_kind:     hidden_grid_dims
    .group_segment_fixed_size: 256
    .kernarg_segment_align: 8
    .kernarg_segment_size: 352
    .language:       OpenCL C
    .language_version:
      - 2
      - 0
    .max_flat_workgroup_size: 512
    .name:           _ZL18rocblas_dot_kernelIiLb0ELi512ELi2ELb0EdPKfdEviT5_lT_lS2_lS3_liPT6_PT4_
    .private_segment_fixed_size: 0
    .sgpr_count:     26
    .sgpr_spill_count: 0
    .symbol:         _ZL18rocblas_dot_kernelIiLb0ELi512ELi2ELb0EdPKfdEviT5_lT_lS2_lS3_liPT6_PT4_.kd
    .uniform_work_group_size: 1
    .uses_dynamic_stack: false
    .vgpr_count:     11
    .vgpr_spill_count: 0
    .wavefront_size: 32
    .workgroup_processor_mode: 1
  - .args:
      - .offset:         0
        .size:           4
        .value_kind:     by_value
      - .actual_access:  read_only
        .address_space:  global
        .offset:         8
        .size:           8
        .value_kind:     global_buffer
      - .offset:         16
        .size:           8
        .value_kind:     by_value
      - .offset:         24
        .size:           4
        .value_kind:     by_value
      - .offset:         32
        .size:           8
        .value_kind:     by_value
      - .offset:         40
        .size:           4
        .value_kind:     by_value
      - .actual_access:  write_only
        .address_space:  global
        .offset:         48
        .size:           8
        .value_kind:     global_buffer
      - .actual_access:  write_only
        .address_space:  global
        .offset:         56
        .size:           8
        .value_kind:     global_buffer
      - .offset:         64
        .size:           4
        .value_kind:     hidden_block_count_x
      - .offset:         68
        .size:           4
        .value_kind:     hidden_block_count_y
      - .offset:         72
        .size:           4
        .value_kind:     hidden_block_count_z
      - .offset:         76
        .size:           2
        .value_kind:     hidden_group_size_x
      - .offset:         78
        .size:           2
        .value_kind:     hidden_group_size_y
      - .offset:         80
        .size:           2
        .value_kind:     hidden_group_size_z
      - .offset:         82
        .size:           2
        .value_kind:     hidden_remainder_x
      - .offset:         84
        .size:           2
        .value_kind:     hidden_remainder_y
      - .offset:         86
        .size:           2
        .value_kind:     hidden_remainder_z
      - .offset:         104
        .size:           8
        .value_kind:     hidden_global_offset_x
      - .offset:         112
        .size:           8
        .value_kind:     hidden_global_offset_y
      - .offset:         120
        .size:           8
        .value_kind:     hidden_global_offset_z
      - .offset:         128
        .size:           2
        .value_kind:     hidden_grid_dims
    .group_segment_fixed_size: 256
    .kernarg_segment_align: 8
    .kernarg_segment_size: 320
    .language:       OpenCL C
    .language_version:
      - 2
      - 0
    .max_flat_workgroup_size: 512
    .name:           _ZL24rocblas_dot_kernel_magsqIiLb0ELi512ELi2ELb0EdPKfdEviT5_lT_liPT6_PT4_
    .private_segment_fixed_size: 0
    .sgpr_count:     18
    .sgpr_spill_count: 0
    .symbol:         _ZL24rocblas_dot_kernel_magsqIiLb0ELi512ELi2ELb0EdPKfdEviT5_lT_liPT6_PT4_.kd
    .uniform_work_group_size: 1
    .uses_dynamic_stack: false
    .vgpr_count:     11
    .vgpr_spill_count: 0
    .wavefront_size: 32
    .workgroup_processor_mode: 1
  - .args:
      - .offset:         0
        .size:           4
        .value_kind:     by_value
      - .actual_access:  read_only
        .address_space:  global
        .offset:         8
        .size:           8
        .value_kind:     global_buffer
      - .actual_access:  write_only
        .address_space:  global
        .offset:         16
        .size:           8
        .value_kind:     global_buffer
    .group_segment_fixed_size: 256
    .kernarg_segment_align: 8
    .kernarg_segment_size: 24
    .language:       OpenCL C
    .language_version:
      - 2
      - 0
    .max_flat_workgroup_size: 512
    .name:           _ZL30rocblas_reduction_kernel_part2ILi512ELi2E25rocblas_finalize_identityddEviPT2_PT3_
    .private_segment_fixed_size: 0
    .sgpr_count:     18
    .sgpr_spill_count: 0
    .symbol:         _ZL30rocblas_reduction_kernel_part2ILi512ELi2E25rocblas_finalize_identityddEviPT2_PT3_.kd
    .uniform_work_group_size: 1
    .uses_dynamic_stack: false
    .vgpr_count:     11
    .vgpr_spill_count: 0
    .wavefront_size: 32
    .workgroup_processor_mode: 1
  - .args:
      - .offset:         0
        .size:           4
        .value_kind:     by_value
      - .actual_access:  read_only
        .address_space:  global
        .offset:         8
        .size:           8
        .value_kind:     global_buffer
      - .offset:         16
        .size:           8
        .value_kind:     by_value
      - .offset:         24
        .size:           8
        .value_kind:     by_value
      - .offset:         32
        .size:           8
        .value_kind:     by_value
      - .actual_access:  read_only
        .address_space:  global
        .offset:         40
        .size:           8
        .value_kind:     global_buffer
      - .offset:         48
        .size:           8
        .value_kind:     by_value
      - .offset:         56
        .size:           8
        .value_kind:     by_value
      - .offset:         64
        .size:           8
        .value_kind:     by_value
      - .offset:         72
        .size:           4
        .value_kind:     by_value
      - .actual_access:  write_only
        .address_space:  global
        .offset:         80
        .size:           8
        .value_kind:     global_buffer
    .group_segment_fixed_size: 0
    .kernarg_segment_align: 8
    .kernarg_segment_size: 88
    .language:       OpenCL C
    .language_version:
      - 2
      - 0
    .max_flat_workgroup_size: 128
    .name:           _ZL28rocblas_dot_batched_4_kernelIlLi32ELi4ELb0EddPKfEviT5_lT_lS2_lS3_liPT4_
    .private_segment_fixed_size: 0
    .sgpr_count:     22
    .sgpr_spill_count: 0
    .symbol:         _ZL28rocblas_dot_batched_4_kernelIlLi32ELi4ELb0EddPKfEviT5_lT_lS2_lS3_liPT4_.kd
    .uniform_work_group_size: 1
    .uses_dynamic_stack: false
    .vgpr_count:     18
    .vgpr_spill_count: 0
    .wavefront_size: 32
    .workgroup_processor_mode: 1
  - .args:
      - .offset:         0
        .size:           4
        .value_kind:     by_value
      - .actual_access:  read_only
        .address_space:  global
        .offset:         8
        .size:           8
        .value_kind:     global_buffer
      - .offset:         16
        .size:           8
        .value_kind:     by_value
      - .offset:         24
        .size:           8
        .value_kind:     by_value
      - .offset:         32
        .size:           8
        .value_kind:     by_value
      - .actual_access:  read_only
        .address_space:  global
        .offset:         40
        .size:           8
        .value_kind:     global_buffer
      - .offset:         48
        .size:           8
        .value_kind:     by_value
      - .offset:         56
        .size:           8
        .value_kind:     by_value
      - .offset:         64
        .size:           8
        .value_kind:     by_value
      - .offset:         72
        .size:           4
        .value_kind:     by_value
      - .actual_access:  write_only
        .address_space:  global
        .offset:         80
        .size:           8
        .value_kind:     global_buffer
    .group_segment_fixed_size: 0
    .kernarg_segment_align: 8
    .kernarg_segment_size: 88
    .language:       OpenCL C
    .language_version:
      - 2
      - 0
    .max_flat_workgroup_size: 256
    .name:           _ZL28rocblas_dot_batched_4_kernelIlLi64ELi4ELb0EddPKfEviT5_lT_lS2_lS3_liPT4_
    .private_segment_fixed_size: 0
    .sgpr_count:     22
    .sgpr_spill_count: 0
    .symbol:         _ZL28rocblas_dot_batched_4_kernelIlLi64ELi4ELb0EddPKfEviT5_lT_lS2_lS3_liPT4_.kd
    .uniform_work_group_size: 1
    .uses_dynamic_stack: false
    .vgpr_count:     18
    .vgpr_spill_count: 0
    .wavefront_size: 32
    .workgroup_processor_mode: 1
  - .args:
      - .offset:         0
        .size:           4
        .value_kind:     by_value
      - .actual_access:  read_only
        .address_space:  global
        .offset:         8
        .size:           8
        .value_kind:     global_buffer
      - .offset:         16
        .size:           8
        .value_kind:     by_value
      - .offset:         24
        .size:           8
        .value_kind:     by_value
      - .offset:         32
        .size:           8
        .value_kind:     by_value
      - .actual_access:  read_only
        .address_space:  global
        .offset:         40
        .size:           8
        .value_kind:     global_buffer
      - .offset:         48
        .size:           8
        .value_kind:     by_value
      - .offset:         56
        .size:           8
        .value_kind:     by_value
      - .offset:         64
        .size:           8
        .value_kind:     by_value
      - .offset:         72
        .size:           4
        .value_kind:     by_value
      - .actual_access:  read_only
        .address_space:  global
        .offset:         80
        .size:           8
        .value_kind:     global_buffer
      - .actual_access:  write_only
        .address_space:  global
        .offset:         88
        .size:           8
        .value_kind:     global_buffer
      - .offset:         96
        .size:           4
        .value_kind:     hidden_block_count_x
      - .offset:         100
        .size:           4
        .value_kind:     hidden_block_count_y
      - .offset:         104
        .size:           4
        .value_kind:     hidden_block_count_z
      - .offset:         108
        .size:           2
        .value_kind:     hidden_group_size_x
      - .offset:         110
        .size:           2
        .value_kind:     hidden_group_size_y
      - .offset:         112
        .size:           2
        .value_kind:     hidden_group_size_z
      - .offset:         114
        .size:           2
        .value_kind:     hidden_remainder_x
      - .offset:         116
        .size:           2
        .value_kind:     hidden_remainder_y
      - .offset:         118
        .size:           2
        .value_kind:     hidden_remainder_z
      - .offset:         136
        .size:           8
        .value_kind:     hidden_global_offset_x
      - .offset:         144
        .size:           8
        .value_kind:     hidden_global_offset_y
      - .offset:         152
        .size:           8
        .value_kind:     hidden_global_offset_z
      - .offset:         160
        .size:           2
        .value_kind:     hidden_grid_dims
    .group_segment_fixed_size: 256
    .kernarg_segment_align: 8
    .kernarg_segment_size: 352
    .language:       OpenCL C
    .language_version:
      - 2
      - 0
    .max_flat_workgroup_size: 1024
    .name:           _ZL18rocblas_dot_kernelIlLb1ELi1024ELi32ELb0EdPKfdEviT5_lT_lS2_lS3_liPT6_PT4_
    .private_segment_fixed_size: 0
    .sgpr_count:     30
    .sgpr_spill_count: 0
    .symbol:         _ZL18rocblas_dot_kernelIlLb1ELi1024ELi32ELb0EdPKfdEviT5_lT_lS2_lS3_liPT6_PT4_.kd
    .uniform_work_group_size: 1
    .uses_dynamic_stack: false
    .vgpr_count:     12
    .vgpr_spill_count: 0
    .wavefront_size: 32
    .workgroup_processor_mode: 1
  - .args:
      - .offset:         0
        .size:           4
        .value_kind:     by_value
      - .actual_access:  read_only
        .address_space:  global
        .offset:         8
        .size:           8
        .value_kind:     global_buffer
      - .offset:         16
        .size:           8
        .value_kind:     by_value
      - .offset:         24
        .size:           8
        .value_kind:     by_value
      - .offset:         32
        .size:           8
        .value_kind:     by_value
      - .offset:         40
        .size:           4
        .value_kind:     by_value
      - .actual_access:  read_only
        .address_space:  global
        .offset:         48
        .size:           8
        .value_kind:     global_buffer
      - .actual_access:  write_only
        .address_space:  global
        .offset:         56
        .size:           8
        .value_kind:     global_buffer
      - .offset:         64
        .size:           4
        .value_kind:     hidden_block_count_x
      - .offset:         68
        .size:           4
        .value_kind:     hidden_block_count_y
      - .offset:         72
        .size:           4
        .value_kind:     hidden_block_count_z
      - .offset:         76
        .size:           2
        .value_kind:     hidden_group_size_x
      - .offset:         78
        .size:           2
        .value_kind:     hidden_group_size_y
      - .offset:         80
        .size:           2
        .value_kind:     hidden_group_size_z
      - .offset:         82
        .size:           2
        .value_kind:     hidden_remainder_x
      - .offset:         84
        .size:           2
        .value_kind:     hidden_remainder_y
      - .offset:         86
        .size:           2
        .value_kind:     hidden_remainder_z
      - .offset:         104
        .size:           8
        .value_kind:     hidden_global_offset_x
      - .offset:         112
        .size:           8
        .value_kind:     hidden_global_offset_y
      - .offset:         120
        .size:           8
        .value_kind:     hidden_global_offset_z
      - .offset:         128
        .size:           2
        .value_kind:     hidden_grid_dims
    .group_segment_fixed_size: 256
    .kernarg_segment_align: 8
    .kernarg_segment_size: 320
    .language:       OpenCL C
    .language_version:
      - 2
      - 0
    .max_flat_workgroup_size: 1024
    .name:           _ZL24rocblas_dot_kernel_magsqIlLb1ELi1024ELi32ELb0EdPKfdEviT5_lT_liPT6_PT4_
    .private_segment_fixed_size: 0
    .sgpr_count:     19
    .sgpr_spill_count: 0
    .symbol:         _ZL24rocblas_dot_kernel_magsqIlLb1ELi1024ELi32ELb0EdPKfdEviT5_lT_liPT6_PT4_.kd
    .uniform_work_group_size: 1
    .uses_dynamic_stack: false
    .vgpr_count:     12
    .vgpr_spill_count: 0
    .wavefront_size: 32
    .workgroup_processor_mode: 1
  - .args:
      - .offset:         0
        .size:           4
        .value_kind:     by_value
      - .actual_access:  read_only
        .address_space:  global
        .offset:         8
        .size:           8
        .value_kind:     global_buffer
      - .offset:         16
        .size:           8
        .value_kind:     by_value
      - .offset:         24
        .size:           8
        .value_kind:     by_value
      - .offset:         32
        .size:           8
        .value_kind:     by_value
      - .actual_access:  read_only
        .address_space:  global
        .offset:         40
        .size:           8
        .value_kind:     global_buffer
      - .offset:         48
        .size:           8
        .value_kind:     by_value
      - .offset:         56
        .size:           8
        .value_kind:     by_value
      - .offset:         64
        .size:           8
        .value_kind:     by_value
      - .actual_access:  read_only
        .address_space:  global
        .offset:         72
        .size:           8
        .value_kind:     global_buffer
      - .actual_access:  read_only
        .address_space:  global
        .offset:         80
        .size:           8
        .value_kind:     global_buffer
    .group_segment_fixed_size: 0
    .kernarg_segment_align: 8
    .kernarg_segment_size: 88
    .language:       OpenCL C
    .language_version:
      - 2
      - 0
    .max_flat_workgroup_size: 1024
    .name:           _ZL38rocblas_dot_kernel_gfx942_float_doubleIlLi1024EdPKfdEviT2_lT_lS2_lS3_lPT3_PT1_
    .private_segment_fixed_size: 0
    .sgpr_count:     0
    .sgpr_spill_count: 0
    .symbol:         _ZL38rocblas_dot_kernel_gfx942_float_doubleIlLi1024EdPKfdEviT2_lT_lS2_lS3_lPT3_PT1_.kd
    .uniform_work_group_size: 1
    .uses_dynamic_stack: false
    .vgpr_count:     0
    .vgpr_spill_count: 0
    .wavefront_size: 32
    .workgroup_processor_mode: 1
  - .args:
      - .offset:         0
        .size:           4
        .value_kind:     by_value
      - .actual_access:  read_only
        .address_space:  global
        .offset:         8
        .size:           8
        .value_kind:     global_buffer
      - .offset:         16
        .size:           8
        .value_kind:     by_value
      - .offset:         24
        .size:           8
        .value_kind:     by_value
      - .offset:         32
        .size:           8
        .value_kind:     by_value
      - .actual_access:  read_only
        .address_space:  global
        .offset:         40
        .size:           8
        .value_kind:     global_buffer
      - .offset:         48
        .size:           8
        .value_kind:     by_value
      - .offset:         56
        .size:           8
        .value_kind:     by_value
      - .offset:         64
        .size:           8
        .value_kind:     by_value
      - .offset:         72
        .size:           4
        .value_kind:     by_value
      - .actual_access:  write_only
        .address_space:  global
        .offset:         80
        .size:           8
        .value_kind:     global_buffer
      - .actual_access:  write_only
        .address_space:  global
        .offset:         88
        .size:           8
        .value_kind:     global_buffer
      - .offset:         96
        .size:           4
        .value_kind:     hidden_block_count_x
      - .offset:         100
        .size:           4
        .value_kind:     hidden_block_count_y
      - .offset:         104
        .size:           4
        .value_kind:     hidden_block_count_z
      - .offset:         108
        .size:           2
        .value_kind:     hidden_group_size_x
      - .offset:         110
        .size:           2
        .value_kind:     hidden_group_size_y
      - .offset:         112
        .size:           2
        .value_kind:     hidden_group_size_z
      - .offset:         114
        .size:           2
        .value_kind:     hidden_remainder_x
      - .offset:         116
        .size:           2
        .value_kind:     hidden_remainder_y
      - .offset:         118
        .size:           2
        .value_kind:     hidden_remainder_z
      - .offset:         136
        .size:           8
        .value_kind:     hidden_global_offset_x
      - .offset:         144
        .size:           8
        .value_kind:     hidden_global_offset_y
      - .offset:         152
        .size:           8
        .value_kind:     hidden_global_offset_z
      - .offset:         160
        .size:           2
        .value_kind:     hidden_grid_dims
    .group_segment_fixed_size: 256
    .kernarg_segment_align: 8
    .kernarg_segment_size: 352
    .language:       OpenCL C
    .language_version:
      - 2
      - 0
    .max_flat_workgroup_size: 512
    .name:           _ZL18rocblas_dot_kernelIlLb0ELi512ELi2ELb0EdPKfdEviT5_lT_lS2_lS3_liPT6_PT4_
    .private_segment_fixed_size: 0
    .sgpr_count:     28
    .sgpr_spill_count: 0
    .symbol:         _ZL18rocblas_dot_kernelIlLb0ELi512ELi2ELb0EdPKfdEviT5_lT_lS2_lS3_liPT6_PT4_.kd
    .uniform_work_group_size: 1
    .uses_dynamic_stack: false
    .vgpr_count:     12
    .vgpr_spill_count: 0
    .wavefront_size: 32
    .workgroup_processor_mode: 1
  - .args:
      - .offset:         0
        .size:           4
        .value_kind:     by_value
      - .actual_access:  read_only
        .address_space:  global
        .offset:         8
        .size:           8
        .value_kind:     global_buffer
      - .offset:         16
        .size:           8
        .value_kind:     by_value
      - .offset:         24
        .size:           8
        .value_kind:     by_value
      - .offset:         32
        .size:           8
        .value_kind:     by_value
      - .offset:         40
        .size:           4
        .value_kind:     by_value
      - .actual_access:  write_only
        .address_space:  global
        .offset:         48
        .size:           8
        .value_kind:     global_buffer
      - .actual_access:  write_only
        .address_space:  global
        .offset:         56
        .size:           8
        .value_kind:     global_buffer
      - .offset:         64
        .size:           4
        .value_kind:     hidden_block_count_x
      - .offset:         68
        .size:           4
        .value_kind:     hidden_block_count_y
      - .offset:         72
        .size:           4
        .value_kind:     hidden_block_count_z
      - .offset:         76
        .size:           2
        .value_kind:     hidden_group_size_x
      - .offset:         78
        .size:           2
        .value_kind:     hidden_group_size_y
      - .offset:         80
        .size:           2
        .value_kind:     hidden_group_size_z
      - .offset:         82
        .size:           2
        .value_kind:     hidden_remainder_x
      - .offset:         84
        .size:           2
        .value_kind:     hidden_remainder_y
      - .offset:         86
        .size:           2
        .value_kind:     hidden_remainder_z
      - .offset:         104
        .size:           8
        .value_kind:     hidden_global_offset_x
      - .offset:         112
        .size:           8
        .value_kind:     hidden_global_offset_y
      - .offset:         120
        .size:           8
        .value_kind:     hidden_global_offset_z
      - .offset:         128
        .size:           2
        .value_kind:     hidden_grid_dims
    .group_segment_fixed_size: 256
    .kernarg_segment_align: 8
    .kernarg_segment_size: 320
    .language:       OpenCL C
    .language_version:
      - 2
      - 0
    .max_flat_workgroup_size: 512
    .name:           _ZL24rocblas_dot_kernel_magsqIlLb0ELi512ELi2ELb0EdPKfdEviT5_lT_liPT6_PT4_
    .private_segment_fixed_size: 0
    .sgpr_count:     20
    .sgpr_spill_count: 0
    .symbol:         _ZL24rocblas_dot_kernel_magsqIlLb0ELi512ELi2ELb0EdPKfdEviT5_lT_liPT6_PT4_.kd
    .uniform_work_group_size: 1
    .uses_dynamic_stack: false
    .vgpr_count:     11
    .vgpr_spill_count: 0
    .wavefront_size: 32
    .workgroup_processor_mode: 1
  - .args:
      - .offset:         0
        .size:           4
        .value_kind:     by_value
      - .actual_access:  read_only
        .address_space:  global
        .offset:         8
        .size:           8
        .value_kind:     global_buffer
      - .offset:         16
        .size:           8
        .value_kind:     by_value
      - .offset:         24
        .size:           4
        .value_kind:     by_value
      - .offset:         32
        .size:           8
        .value_kind:     by_value
      - .actual_access:  read_only
        .address_space:  global
        .offset:         40
        .size:           8
        .value_kind:     global_buffer
      - .offset:         48
        .size:           8
        .value_kind:     by_value
      - .offset:         56
        .size:           4
        .value_kind:     by_value
      - .offset:         64
        .size:           8
        .value_kind:     by_value
      - .offset:         72
        .size:           4
        .value_kind:     by_value
      - .actual_access:  write_only
        .address_space:  global
        .offset:         80
        .size:           8
        .value_kind:     global_buffer
    .group_segment_fixed_size: 0
    .kernarg_segment_align: 8
    .kernarg_segment_size: 88
    .language:       OpenCL C
    .language_version:
      - 2
      - 0
    .max_flat_workgroup_size: 128
    .name:           _ZL28rocblas_dot_batched_4_kernelIiLi32ELi4ELb0EddPKPKfEviT5_lT_lS4_lS5_liPT4_
    .private_segment_fixed_size: 0
    .sgpr_count:     18
    .sgpr_spill_count: 0
    .symbol:         _ZL28rocblas_dot_batched_4_kernelIiLi32ELi4ELb0EddPKPKfEviT5_lT_lS4_lS5_liPT4_.kd
    .uniform_work_group_size: 1
    .uses_dynamic_stack: false
    .vgpr_count:     14
    .vgpr_spill_count: 0
    .wavefront_size: 32
    .workgroup_processor_mode: 1
  - .args:
      - .offset:         0
        .size:           4
        .value_kind:     by_value
      - .actual_access:  read_only
        .address_space:  global
        .offset:         8
        .size:           8
        .value_kind:     global_buffer
      - .offset:         16
        .size:           8
        .value_kind:     by_value
      - .offset:         24
        .size:           4
        .value_kind:     by_value
      - .offset:         32
        .size:           8
        .value_kind:     by_value
      - .actual_access:  read_only
        .address_space:  global
        .offset:         40
        .size:           8
        .value_kind:     global_buffer
      - .offset:         48
        .size:           8
        .value_kind:     by_value
      - .offset:         56
        .size:           4
        .value_kind:     by_value
      - .offset:         64
        .size:           8
        .value_kind:     by_value
      - .offset:         72
        .size:           4
        .value_kind:     by_value
      - .actual_access:  write_only
        .address_space:  global
        .offset:         80
        .size:           8
        .value_kind:     global_buffer
    .group_segment_fixed_size: 0
    .kernarg_segment_align: 8
    .kernarg_segment_size: 88
    .language:       OpenCL C
    .language_version:
      - 2
      - 0
    .max_flat_workgroup_size: 256
    .name:           _ZL28rocblas_dot_batched_4_kernelIiLi64ELi4ELb0EddPKPKfEviT5_lT_lS4_lS5_liPT4_
    .private_segment_fixed_size: 0
    .sgpr_count:     18
    .sgpr_spill_count: 0
    .symbol:         _ZL28rocblas_dot_batched_4_kernelIiLi64ELi4ELb0EddPKPKfEviT5_lT_lS4_lS5_liPT4_.kd
    .uniform_work_group_size: 1
    .uses_dynamic_stack: false
    .vgpr_count:     14
    .vgpr_spill_count: 0
    .wavefront_size: 32
    .workgroup_processor_mode: 1
  - .args:
      - .offset:         0
        .size:           4
        .value_kind:     by_value
      - .actual_access:  read_only
        .address_space:  global
        .offset:         8
        .size:           8
        .value_kind:     global_buffer
      - .offset:         16
        .size:           8
        .value_kind:     by_value
      - .offset:         24
        .size:           8
        .value_kind:     by_value
      - .actual_access:  read_only
        .address_space:  global
        .offset:         32
        .size:           8
        .value_kind:     global_buffer
      - .offset:         40
        .size:           8
        .value_kind:     by_value
      - .offset:         48
        .size:           8
        .value_kind:     by_value
      - .offset:         56
        .size:           4
        .value_kind:     by_value
      - .actual_access:  read_only
        .address_space:  global
        .offset:         64
        .size:           8
        .value_kind:     global_buffer
      - .actual_access:  write_only
        .address_space:  global
        .offset:         72
        .size:           8
        .value_kind:     global_buffer
    .group_segment_fixed_size: 256
    .kernarg_segment_align: 8
    .kernarg_segment_size: 80
    .language:       OpenCL C
    .language_version:
      - 2
      - 0
    .max_flat_workgroup_size: 1024
    .name:           _ZL26rocblas_dot_kernel_inc1by2ILb1ELi1024ELi32ELb0EdPKPKfdEviT4_llS4_lliPT5_PT3_
    .private_segment_fixed_size: 0
    .sgpr_count:     18
    .sgpr_spill_count: 0
    .symbol:         _ZL26rocblas_dot_kernel_inc1by2ILb1ELi1024ELi32ELb0EdPKPKfdEviT4_llS4_lliPT5_PT3_.kd
    .uniform_work_group_size: 1
    .uses_dynamic_stack: false
    .vgpr_count:     12
    .vgpr_spill_count: 0
    .wavefront_size: 32
    .workgroup_processor_mode: 1
  - .args:
      - .offset:         0
        .size:           4
        .value_kind:     by_value
      - .actual_access:  read_only
        .address_space:  global
        .offset:         8
        .size:           8
        .value_kind:     global_buffer
      - .offset:         16
        .size:           8
        .value_kind:     by_value
      - .offset:         24
        .size:           4
        .value_kind:     by_value
      - .offset:         32
        .size:           8
        .value_kind:     by_value
      - .actual_access:  read_only
        .address_space:  global
        .offset:         40
        .size:           8
        .value_kind:     global_buffer
      - .offset:         48
        .size:           8
        .value_kind:     by_value
      - .offset:         56
        .size:           4
        .value_kind:     by_value
      - .offset:         64
        .size:           8
        .value_kind:     by_value
      - .offset:         72
        .size:           4
        .value_kind:     by_value
      - .actual_access:  read_only
        .address_space:  global
        .offset:         80
        .size:           8
        .value_kind:     global_buffer
      - .actual_access:  write_only
        .address_space:  global
        .offset:         88
        .size:           8
        .value_kind:     global_buffer
      - .offset:         96
        .size:           4
        .value_kind:     hidden_block_count_x
      - .offset:         100
        .size:           4
        .value_kind:     hidden_block_count_y
      - .offset:         104
        .size:           4
        .value_kind:     hidden_block_count_z
      - .offset:         108
        .size:           2
        .value_kind:     hidden_group_size_x
      - .offset:         110
        .size:           2
        .value_kind:     hidden_group_size_y
      - .offset:         112
        .size:           2
        .value_kind:     hidden_group_size_z
      - .offset:         114
        .size:           2
        .value_kind:     hidden_remainder_x
      - .offset:         116
        .size:           2
        .value_kind:     hidden_remainder_y
      - .offset:         118
        .size:           2
        .value_kind:     hidden_remainder_z
      - .offset:         136
        .size:           8
        .value_kind:     hidden_global_offset_x
      - .offset:         144
        .size:           8
        .value_kind:     hidden_global_offset_y
      - .offset:         152
        .size:           8
        .value_kind:     hidden_global_offset_z
      - .offset:         160
        .size:           2
        .value_kind:     hidden_grid_dims
    .group_segment_fixed_size: 256
    .kernarg_segment_align: 8
    .kernarg_segment_size: 352
    .language:       OpenCL C
    .language_version:
      - 2
      - 0
    .max_flat_workgroup_size: 1024
    .name:           _ZL18rocblas_dot_kernelIiLb1ELi1024ELi32ELb0EdPKPKfdEviT5_lT_lS4_lS5_liPT6_PT4_
    .private_segment_fixed_size: 0
    .sgpr_count:     23
    .sgpr_spill_count: 0
    .symbol:         _ZL18rocblas_dot_kernelIiLb1ELi1024ELi32ELb0EdPKPKfdEviT5_lT_lS4_lS5_liPT6_PT4_.kd
    .uniform_work_group_size: 1
    .uses_dynamic_stack: false
    .vgpr_count:     12
    .vgpr_spill_count: 0
    .wavefront_size: 32
    .workgroup_processor_mode: 1
  - .args:
      - .offset:         0
        .size:           4
        .value_kind:     by_value
      - .actual_access:  read_only
        .address_space:  global
        .offset:         8
        .size:           8
        .value_kind:     global_buffer
      - .offset:         16
        .size:           8
        .value_kind:     by_value
      - .offset:         24
        .size:           4
        .value_kind:     by_value
      - .offset:         32
        .size:           8
        .value_kind:     by_value
      - .offset:         40
        .size:           4
        .value_kind:     by_value
      - .actual_access:  read_only
        .address_space:  global
        .offset:         48
        .size:           8
        .value_kind:     global_buffer
      - .actual_access:  write_only
        .address_space:  global
        .offset:         56
        .size:           8
        .value_kind:     global_buffer
      - .offset:         64
        .size:           4
        .value_kind:     hidden_block_count_x
      - .offset:         68
        .size:           4
        .value_kind:     hidden_block_count_y
      - .offset:         72
        .size:           4
        .value_kind:     hidden_block_count_z
      - .offset:         76
        .size:           2
        .value_kind:     hidden_group_size_x
      - .offset:         78
        .size:           2
        .value_kind:     hidden_group_size_y
      - .offset:         80
        .size:           2
        .value_kind:     hidden_group_size_z
      - .offset:         82
        .size:           2
        .value_kind:     hidden_remainder_x
      - .offset:         84
        .size:           2
        .value_kind:     hidden_remainder_y
      - .offset:         86
        .size:           2
        .value_kind:     hidden_remainder_z
      - .offset:         104
        .size:           8
        .value_kind:     hidden_global_offset_x
      - .offset:         112
        .size:           8
        .value_kind:     hidden_global_offset_y
      - .offset:         120
        .size:           8
        .value_kind:     hidden_global_offset_z
      - .offset:         128
        .size:           2
        .value_kind:     hidden_grid_dims
    .group_segment_fixed_size: 256
    .kernarg_segment_align: 8
    .kernarg_segment_size: 320
    .language:       OpenCL C
    .language_version:
      - 2
      - 0
    .max_flat_workgroup_size: 1024
    .name:           _ZL24rocblas_dot_kernel_magsqIiLb1ELi1024ELi32ELb0EdPKPKfdEviT5_lT_liPT6_PT4_
    .private_segment_fixed_size: 0
    .sgpr_count:     19
    .sgpr_spill_count: 0
    .symbol:         _ZL24rocblas_dot_kernel_magsqIiLb1ELi1024ELi32ELb0EdPKPKfdEviT5_lT_liPT6_PT4_.kd
    .uniform_work_group_size: 1
    .uses_dynamic_stack: false
    .vgpr_count:     12
    .vgpr_spill_count: 0
    .wavefront_size: 32
    .workgroup_processor_mode: 1
  - .args:
      - .offset:         0
        .size:           4
        .value_kind:     by_value
      - .actual_access:  read_only
        .address_space:  global
        .offset:         8
        .size:           8
        .value_kind:     global_buffer
      - .offset:         16
        .size:           8
        .value_kind:     by_value
      - .offset:         24
        .size:           4
        .value_kind:     by_value
      - .offset:         32
        .size:           8
        .value_kind:     by_value
      - .actual_access:  read_only
        .address_space:  global
        .offset:         40
        .size:           8
        .value_kind:     global_buffer
      - .offset:         48
        .size:           8
        .value_kind:     by_value
      - .offset:         56
        .size:           4
        .value_kind:     by_value
      - .offset:         64
        .size:           8
        .value_kind:     by_value
      - .actual_access:  read_only
        .address_space:  global
        .offset:         72
        .size:           8
        .value_kind:     global_buffer
      - .actual_access:  read_only
        .address_space:  global
        .offset:         80
        .size:           8
        .value_kind:     global_buffer
    .group_segment_fixed_size: 0
    .kernarg_segment_align: 8
    .kernarg_segment_size: 88
    .language:       OpenCL C
    .language_version:
      - 2
      - 0
    .max_flat_workgroup_size: 1024
    .name:           _ZL38rocblas_dot_kernel_gfx942_float_doubleIiLi1024EdPKPKfdEviT2_lT_lS4_lS5_lPT3_PT1_
    .private_segment_fixed_size: 0
    .sgpr_count:     0
    .sgpr_spill_count: 0
    .symbol:         _ZL38rocblas_dot_kernel_gfx942_float_doubleIiLi1024EdPKPKfdEviT2_lT_lS4_lS5_lPT3_PT1_.kd
    .uniform_work_group_size: 1
    .uses_dynamic_stack: false
    .vgpr_count:     0
    .vgpr_spill_count: 0
    .wavefront_size: 32
    .workgroup_processor_mode: 1
  - .args:
      - .offset:         0
        .size:           4
        .value_kind:     by_value
      - .actual_access:  read_only
        .address_space:  global
        .offset:         8
        .size:           8
        .value_kind:     global_buffer
      - .offset:         16
        .size:           8
        .value_kind:     by_value
      - .offset:         24
        .size:           8
        .value_kind:     by_value
      - .actual_access:  read_only
        .address_space:  global
        .offset:         32
        .size:           8
        .value_kind:     global_buffer
      - .offset:         40
        .size:           8
        .value_kind:     by_value
      - .offset:         48
        .size:           8
        .value_kind:     by_value
      - .offset:         56
        .size:           4
        .value_kind:     by_value
      - .actual_access:  write_only
        .address_space:  global
        .offset:         64
        .size:           8
        .value_kind:     global_buffer
      - .actual_access:  write_only
        .address_space:  global
        .offset:         72
        .size:           8
        .value_kind:     global_buffer
      - .offset:         80
        .size:           4
        .value_kind:     hidden_block_count_x
      - .offset:         84
        .size:           4
        .value_kind:     hidden_block_count_y
      - .offset:         88
        .size:           4
        .value_kind:     hidden_block_count_z
      - .offset:         92
        .size:           2
        .value_kind:     hidden_group_size_x
      - .offset:         94
        .size:           2
        .value_kind:     hidden_group_size_y
      - .offset:         96
        .size:           2
        .value_kind:     hidden_group_size_z
      - .offset:         98
        .size:           2
        .value_kind:     hidden_remainder_x
      - .offset:         100
        .size:           2
        .value_kind:     hidden_remainder_y
      - .offset:         102
        .size:           2
        .value_kind:     hidden_remainder_z
      - .offset:         120
        .size:           8
        .value_kind:     hidden_global_offset_x
      - .offset:         128
        .size:           8
        .value_kind:     hidden_global_offset_y
      - .offset:         136
        .size:           8
        .value_kind:     hidden_global_offset_z
      - .offset:         144
        .size:           2
        .value_kind:     hidden_grid_dims
    .group_segment_fixed_size: 256
    .kernarg_segment_align: 8
    .kernarg_segment_size: 336
    .language:       OpenCL C
    .language_version:
      - 2
      - 0
    .max_flat_workgroup_size: 512
    .name:           _ZL23rocblas_dot_kernel_inc1ILb0ELi512ELi2ELb0EdPKPKfdEviT4_llS4_lliPT5_PT3_
    .private_segment_fixed_size: 0
    .sgpr_count:     22
    .sgpr_spill_count: 0
    .symbol:         _ZL23rocblas_dot_kernel_inc1ILb0ELi512ELi2ELb0EdPKPKfdEviT4_llS4_lliPT5_PT3_.kd
    .uniform_work_group_size: 1
    .uses_dynamic_stack: false
    .vgpr_count:     11
    .vgpr_spill_count: 0
    .wavefront_size: 32
    .workgroup_processor_mode: 1
  - .args:
      - .offset:         0
        .size:           4
        .value_kind:     by_value
      - .actual_access:  read_only
        .address_space:  global
        .offset:         8
        .size:           8
        .value_kind:     global_buffer
      - .offset:         16
        .size:           8
        .value_kind:     by_value
      - .offset:         24
        .size:           4
        .value_kind:     by_value
      - .offset:         32
        .size:           8
        .value_kind:     by_value
      - .actual_access:  read_only
        .address_space:  global
        .offset:         40
        .size:           8
        .value_kind:     global_buffer
      - .offset:         48
        .size:           8
        .value_kind:     by_value
      - .offset:         56
        .size:           4
        .value_kind:     by_value
      - .offset:         64
        .size:           8
        .value_kind:     by_value
      - .offset:         72
        .size:           4
        .value_kind:     by_value
      - .actual_access:  write_only
        .address_space:  global
        .offset:         80
        .size:           8
        .value_kind:     global_buffer
      - .actual_access:  write_only
        .address_space:  global
        .offset:         88
        .size:           8
        .value_kind:     global_buffer
      - .offset:         96
        .size:           4
        .value_kind:     hidden_block_count_x
      - .offset:         100
        .size:           4
        .value_kind:     hidden_block_count_y
      - .offset:         104
        .size:           4
        .value_kind:     hidden_block_count_z
      - .offset:         108
        .size:           2
        .value_kind:     hidden_group_size_x
      - .offset:         110
        .size:           2
        .value_kind:     hidden_group_size_y
      - .offset:         112
        .size:           2
        .value_kind:     hidden_group_size_z
      - .offset:         114
        .size:           2
        .value_kind:     hidden_remainder_x
      - .offset:         116
        .size:           2
        .value_kind:     hidden_remainder_y
      - .offset:         118
        .size:           2
        .value_kind:     hidden_remainder_z
      - .offset:         136
        .size:           8
        .value_kind:     hidden_global_offset_x
      - .offset:         144
        .size:           8
        .value_kind:     hidden_global_offset_y
      - .offset:         152
        .size:           8
        .value_kind:     hidden_global_offset_z
      - .offset:         160
        .size:           2
        .value_kind:     hidden_grid_dims
    .group_segment_fixed_size: 256
    .kernarg_segment_align: 8
    .kernarg_segment_size: 352
    .language:       OpenCL C
    .language_version:
      - 2
      - 0
    .max_flat_workgroup_size: 512
    .name:           _ZL18rocblas_dot_kernelIiLb0ELi512ELi2ELb0EdPKPKfdEviT5_lT_lS4_lS5_liPT6_PT4_
    .private_segment_fixed_size: 0
    .sgpr_count:     26
    .sgpr_spill_count: 0
    .symbol:         _ZL18rocblas_dot_kernelIiLb0ELi512ELi2ELb0EdPKPKfdEviT5_lT_lS4_lS5_liPT6_PT4_.kd
    .uniform_work_group_size: 1
    .uses_dynamic_stack: false
    .vgpr_count:     11
    .vgpr_spill_count: 0
    .wavefront_size: 32
    .workgroup_processor_mode: 1
  - .args:
      - .offset:         0
        .size:           4
        .value_kind:     by_value
      - .actual_access:  read_only
        .address_space:  global
        .offset:         8
        .size:           8
        .value_kind:     global_buffer
      - .offset:         16
        .size:           8
        .value_kind:     by_value
      - .offset:         24
        .size:           4
        .value_kind:     by_value
      - .offset:         32
        .size:           8
        .value_kind:     by_value
      - .offset:         40
        .size:           4
        .value_kind:     by_value
      - .actual_access:  write_only
        .address_space:  global
        .offset:         48
        .size:           8
        .value_kind:     global_buffer
      - .actual_access:  write_only
        .address_space:  global
        .offset:         56
        .size:           8
        .value_kind:     global_buffer
      - .offset:         64
        .size:           4
        .value_kind:     hidden_block_count_x
      - .offset:         68
        .size:           4
        .value_kind:     hidden_block_count_y
      - .offset:         72
        .size:           4
        .value_kind:     hidden_block_count_z
      - .offset:         76
        .size:           2
        .value_kind:     hidden_group_size_x
      - .offset:         78
        .size:           2
        .value_kind:     hidden_group_size_y
      - .offset:         80
        .size:           2
        .value_kind:     hidden_group_size_z
      - .offset:         82
        .size:           2
        .value_kind:     hidden_remainder_x
      - .offset:         84
        .size:           2
        .value_kind:     hidden_remainder_y
      - .offset:         86
        .size:           2
        .value_kind:     hidden_remainder_z
      - .offset:         104
        .size:           8
        .value_kind:     hidden_global_offset_x
      - .offset:         112
        .size:           8
        .value_kind:     hidden_global_offset_y
      - .offset:         120
        .size:           8
        .value_kind:     hidden_global_offset_z
      - .offset:         128
        .size:           2
        .value_kind:     hidden_grid_dims
    .group_segment_fixed_size: 256
    .kernarg_segment_align: 8
    .kernarg_segment_size: 320
    .language:       OpenCL C
    .language_version:
      - 2
      - 0
    .max_flat_workgroup_size: 512
    .name:           _ZL24rocblas_dot_kernel_magsqIiLb0ELi512ELi2ELb0EdPKPKfdEviT5_lT_liPT6_PT4_
    .private_segment_fixed_size: 0
    .sgpr_count:     18
    .sgpr_spill_count: 0
    .symbol:         _ZL24rocblas_dot_kernel_magsqIiLb0ELi512ELi2ELb0EdPKPKfdEviT5_lT_liPT6_PT4_.kd
    .uniform_work_group_size: 1
    .uses_dynamic_stack: false
    .vgpr_count:     11
    .vgpr_spill_count: 0
    .wavefront_size: 32
    .workgroup_processor_mode: 1
  - .args:
      - .offset:         0
        .size:           4
        .value_kind:     by_value
      - .actual_access:  read_only
        .address_space:  global
        .offset:         8
        .size:           8
        .value_kind:     global_buffer
      - .offset:         16
        .size:           8
        .value_kind:     by_value
      - .offset:         24
        .size:           8
        .value_kind:     by_value
      - .offset:         32
        .size:           8
        .value_kind:     by_value
      - .actual_access:  read_only
        .address_space:  global
        .offset:         40
        .size:           8
        .value_kind:     global_buffer
      - .offset:         48
        .size:           8
        .value_kind:     by_value
      - .offset:         56
        .size:           8
        .value_kind:     by_value
      - .offset:         64
        .size:           8
        .value_kind:     by_value
      - .offset:         72
        .size:           4
        .value_kind:     by_value
      - .actual_access:  write_only
        .address_space:  global
        .offset:         80
        .size:           8
        .value_kind:     global_buffer
    .group_segment_fixed_size: 0
    .kernarg_segment_align: 8
    .kernarg_segment_size: 88
    .language:       OpenCL C
    .language_version:
      - 2
      - 0
    .max_flat_workgroup_size: 128
    .name:           _ZL28rocblas_dot_batched_4_kernelIlLi32ELi4ELb0EddPKPKfEviT5_lT_lS4_lS5_liPT4_
    .private_segment_fixed_size: 0
    .sgpr_count:     18
    .sgpr_spill_count: 0
    .symbol:         _ZL28rocblas_dot_batched_4_kernelIlLi32ELi4ELb0EddPKPKfEviT5_lT_lS4_lS5_liPT4_.kd
    .uniform_work_group_size: 1
    .uses_dynamic_stack: false
    .vgpr_count:     15
    .vgpr_spill_count: 0
    .wavefront_size: 32
    .workgroup_processor_mode: 1
  - .args:
      - .offset:         0
        .size:           4
        .value_kind:     by_value
      - .actual_access:  read_only
        .address_space:  global
        .offset:         8
        .size:           8
        .value_kind:     global_buffer
      - .offset:         16
        .size:           8
        .value_kind:     by_value
      - .offset:         24
        .size:           8
        .value_kind:     by_value
      - .offset:         32
        .size:           8
        .value_kind:     by_value
      - .actual_access:  read_only
        .address_space:  global
        .offset:         40
        .size:           8
        .value_kind:     global_buffer
      - .offset:         48
        .size:           8
        .value_kind:     by_value
      - .offset:         56
        .size:           8
        .value_kind:     by_value
      - .offset:         64
        .size:           8
        .value_kind:     by_value
      - .offset:         72
        .size:           4
        .value_kind:     by_value
      - .actual_access:  write_only
        .address_space:  global
        .offset:         80
        .size:           8
        .value_kind:     global_buffer
    .group_segment_fixed_size: 0
    .kernarg_segment_align: 8
    .kernarg_segment_size: 88
    .language:       OpenCL C
    .language_version:
      - 2
      - 0
    .max_flat_workgroup_size: 256
    .name:           _ZL28rocblas_dot_batched_4_kernelIlLi64ELi4ELb0EddPKPKfEviT5_lT_lS4_lS5_liPT4_
    .private_segment_fixed_size: 0
    .sgpr_count:     18
    .sgpr_spill_count: 0
    .symbol:         _ZL28rocblas_dot_batched_4_kernelIlLi64ELi4ELb0EddPKPKfEviT5_lT_lS4_lS5_liPT4_.kd
    .uniform_work_group_size: 1
    .uses_dynamic_stack: false
    .vgpr_count:     15
    .vgpr_spill_count: 0
    .wavefront_size: 32
    .workgroup_processor_mode: 1
  - .args:
      - .offset:         0
        .size:           4
        .value_kind:     by_value
      - .actual_access:  read_only
        .address_space:  global
        .offset:         8
        .size:           8
        .value_kind:     global_buffer
      - .offset:         16
        .size:           8
        .value_kind:     by_value
      - .offset:         24
        .size:           8
        .value_kind:     by_value
      - .offset:         32
        .size:           8
        .value_kind:     by_value
      - .actual_access:  read_only
        .address_space:  global
        .offset:         40
        .size:           8
        .value_kind:     global_buffer
      - .offset:         48
        .size:           8
        .value_kind:     by_value
      - .offset:         56
        .size:           8
        .value_kind:     by_value
      - .offset:         64
        .size:           8
        .value_kind:     by_value
      - .offset:         72
        .size:           4
        .value_kind:     by_value
      - .actual_access:  read_only
        .address_space:  global
        .offset:         80
        .size:           8
        .value_kind:     global_buffer
      - .actual_access:  write_only
        .address_space:  global
        .offset:         88
        .size:           8
        .value_kind:     global_buffer
      - .offset:         96
        .size:           4
        .value_kind:     hidden_block_count_x
      - .offset:         100
        .size:           4
        .value_kind:     hidden_block_count_y
      - .offset:         104
        .size:           4
        .value_kind:     hidden_block_count_z
      - .offset:         108
        .size:           2
        .value_kind:     hidden_group_size_x
      - .offset:         110
        .size:           2
        .value_kind:     hidden_group_size_y
      - .offset:         112
        .size:           2
        .value_kind:     hidden_group_size_z
      - .offset:         114
        .size:           2
        .value_kind:     hidden_remainder_x
      - .offset:         116
        .size:           2
        .value_kind:     hidden_remainder_y
      - .offset:         118
        .size:           2
        .value_kind:     hidden_remainder_z
      - .offset:         136
        .size:           8
        .value_kind:     hidden_global_offset_x
      - .offset:         144
        .size:           8
        .value_kind:     hidden_global_offset_y
      - .offset:         152
        .size:           8
        .value_kind:     hidden_global_offset_z
      - .offset:         160
        .size:           2
        .value_kind:     hidden_grid_dims
    .group_segment_fixed_size: 256
    .kernarg_segment_align: 8
    .kernarg_segment_size: 352
    .language:       OpenCL C
    .language_version:
      - 2
      - 0
    .max_flat_workgroup_size: 1024
    .name:           _ZL18rocblas_dot_kernelIlLb1ELi1024ELi32ELb0EdPKPKfdEviT5_lT_lS4_lS5_liPT6_PT4_
    .private_segment_fixed_size: 0
    .sgpr_count:     27
    .sgpr_spill_count: 0
    .symbol:         _ZL18rocblas_dot_kernelIlLb1ELi1024ELi32ELb0EdPKPKfdEviT5_lT_lS4_lS5_liPT6_PT4_.kd
    .uniform_work_group_size: 1
    .uses_dynamic_stack: false
    .vgpr_count:     12
    .vgpr_spill_count: 0
    .wavefront_size: 32
    .workgroup_processor_mode: 1
  - .args:
      - .offset:         0
        .size:           4
        .value_kind:     by_value
      - .actual_access:  read_only
        .address_space:  global
        .offset:         8
        .size:           8
        .value_kind:     global_buffer
      - .offset:         16
        .size:           8
        .value_kind:     by_value
      - .offset:         24
        .size:           8
        .value_kind:     by_value
      - .offset:         32
        .size:           8
        .value_kind:     by_value
      - .offset:         40
        .size:           4
        .value_kind:     by_value
      - .actual_access:  read_only
        .address_space:  global
        .offset:         48
        .size:           8
        .value_kind:     global_buffer
      - .actual_access:  write_only
        .address_space:  global
        .offset:         56
        .size:           8
        .value_kind:     global_buffer
      - .offset:         64
        .size:           4
        .value_kind:     hidden_block_count_x
      - .offset:         68
        .size:           4
        .value_kind:     hidden_block_count_y
      - .offset:         72
        .size:           4
        .value_kind:     hidden_block_count_z
      - .offset:         76
        .size:           2
        .value_kind:     hidden_group_size_x
      - .offset:         78
        .size:           2
        .value_kind:     hidden_group_size_y
      - .offset:         80
        .size:           2
        .value_kind:     hidden_group_size_z
      - .offset:         82
        .size:           2
        .value_kind:     hidden_remainder_x
      - .offset:         84
        .size:           2
        .value_kind:     hidden_remainder_y
      - .offset:         86
        .size:           2
        .value_kind:     hidden_remainder_z
      - .offset:         104
        .size:           8
        .value_kind:     hidden_global_offset_x
      - .offset:         112
        .size:           8
        .value_kind:     hidden_global_offset_y
      - .offset:         120
        .size:           8
        .value_kind:     hidden_global_offset_z
      - .offset:         128
        .size:           2
        .value_kind:     hidden_grid_dims
    .group_segment_fixed_size: 256
    .kernarg_segment_align: 8
    .kernarg_segment_size: 320
    .language:       OpenCL C
    .language_version:
      - 2
      - 0
    .max_flat_workgroup_size: 1024
    .name:           _ZL24rocblas_dot_kernel_magsqIlLb1ELi1024ELi32ELb0EdPKPKfdEviT5_lT_liPT6_PT4_
    .private_segment_fixed_size: 0
    .sgpr_count:     19
    .sgpr_spill_count: 0
    .symbol:         _ZL24rocblas_dot_kernel_magsqIlLb1ELi1024ELi32ELb0EdPKPKfdEviT5_lT_liPT6_PT4_.kd
    .uniform_work_group_size: 1
    .uses_dynamic_stack: false
    .vgpr_count:     12
    .vgpr_spill_count: 0
    .wavefront_size: 32
    .workgroup_processor_mode: 1
  - .args:
      - .offset:         0
        .size:           4
        .value_kind:     by_value
      - .actual_access:  read_only
        .address_space:  global
        .offset:         8
        .size:           8
        .value_kind:     global_buffer
      - .offset:         16
        .size:           8
        .value_kind:     by_value
      - .offset:         24
        .size:           8
        .value_kind:     by_value
      - .offset:         32
        .size:           8
        .value_kind:     by_value
      - .actual_access:  read_only
        .address_space:  global
        .offset:         40
        .size:           8
        .value_kind:     global_buffer
      - .offset:         48
        .size:           8
        .value_kind:     by_value
      - .offset:         56
        .size:           8
        .value_kind:     by_value
      - .offset:         64
        .size:           8
        .value_kind:     by_value
      - .actual_access:  read_only
        .address_space:  global
        .offset:         72
        .size:           8
        .value_kind:     global_buffer
      - .actual_access:  read_only
        .address_space:  global
        .offset:         80
        .size:           8
        .value_kind:     global_buffer
    .group_segment_fixed_size: 0
    .kernarg_segment_align: 8
    .kernarg_segment_size: 88
    .language:       OpenCL C
    .language_version:
      - 2
      - 0
    .max_flat_workgroup_size: 1024
    .name:           _ZL38rocblas_dot_kernel_gfx942_float_doubleIlLi1024EdPKPKfdEviT2_lT_lS4_lS5_lPT3_PT1_
    .private_segment_fixed_size: 0
    .sgpr_count:     0
    .sgpr_spill_count: 0
    .symbol:         _ZL38rocblas_dot_kernel_gfx942_float_doubleIlLi1024EdPKPKfdEviT2_lT_lS4_lS5_lPT3_PT1_.kd
    .uniform_work_group_size: 1
    .uses_dynamic_stack: false
    .vgpr_count:     0
    .vgpr_spill_count: 0
    .wavefront_size: 32
    .workgroup_processor_mode: 1
  - .args:
      - .offset:         0
        .size:           4
        .value_kind:     by_value
      - .actual_access:  read_only
        .address_space:  global
        .offset:         8
        .size:           8
        .value_kind:     global_buffer
      - .offset:         16
        .size:           8
        .value_kind:     by_value
      - .offset:         24
        .size:           8
        .value_kind:     by_value
      - .offset:         32
        .size:           8
        .value_kind:     by_value
      - .actual_access:  read_only
        .address_space:  global
        .offset:         40
        .size:           8
        .value_kind:     global_buffer
      - .offset:         48
        .size:           8
        .value_kind:     by_value
      - .offset:         56
        .size:           8
        .value_kind:     by_value
      - .offset:         64
        .size:           8
        .value_kind:     by_value
      - .offset:         72
        .size:           4
        .value_kind:     by_value
      - .actual_access:  write_only
        .address_space:  global
        .offset:         80
        .size:           8
        .value_kind:     global_buffer
      - .actual_access:  write_only
        .address_space:  global
        .offset:         88
        .size:           8
        .value_kind:     global_buffer
      - .offset:         96
        .size:           4
        .value_kind:     hidden_block_count_x
      - .offset:         100
        .size:           4
        .value_kind:     hidden_block_count_y
      - .offset:         104
        .size:           4
        .value_kind:     hidden_block_count_z
      - .offset:         108
        .size:           2
        .value_kind:     hidden_group_size_x
      - .offset:         110
        .size:           2
        .value_kind:     hidden_group_size_y
      - .offset:         112
        .size:           2
        .value_kind:     hidden_group_size_z
      - .offset:         114
        .size:           2
        .value_kind:     hidden_remainder_x
      - .offset:         116
        .size:           2
        .value_kind:     hidden_remainder_y
      - .offset:         118
        .size:           2
        .value_kind:     hidden_remainder_z
      - .offset:         136
        .size:           8
        .value_kind:     hidden_global_offset_x
      - .offset:         144
        .size:           8
        .value_kind:     hidden_global_offset_y
      - .offset:         152
        .size:           8
        .value_kind:     hidden_global_offset_z
      - .offset:         160
        .size:           2
        .value_kind:     hidden_grid_dims
    .group_segment_fixed_size: 256
    .kernarg_segment_align: 8
    .kernarg_segment_size: 352
    .language:       OpenCL C
    .language_version:
      - 2
      - 0
    .max_flat_workgroup_size: 512
    .name:           _ZL18rocblas_dot_kernelIlLb0ELi512ELi2ELb0EdPKPKfdEviT5_lT_lS4_lS5_liPT6_PT4_
    .private_segment_fixed_size: 0
    .sgpr_count:     24
    .sgpr_spill_count: 0
    .symbol:         _ZL18rocblas_dot_kernelIlLb0ELi512ELi2ELb0EdPKPKfdEviT5_lT_lS4_lS5_liPT6_PT4_.kd
    .uniform_work_group_size: 1
    .uses_dynamic_stack: false
    .vgpr_count:     12
    .vgpr_spill_count: 0
    .wavefront_size: 32
    .workgroup_processor_mode: 1
  - .args:
      - .offset:         0
        .size:           4
        .value_kind:     by_value
      - .actual_access:  read_only
        .address_space:  global
        .offset:         8
        .size:           8
        .value_kind:     global_buffer
      - .offset:         16
        .size:           8
        .value_kind:     by_value
      - .offset:         24
        .size:           8
        .value_kind:     by_value
      - .offset:         32
        .size:           8
        .value_kind:     by_value
      - .offset:         40
        .size:           4
        .value_kind:     by_value
      - .actual_access:  write_only
        .address_space:  global
        .offset:         48
        .size:           8
        .value_kind:     global_buffer
      - .actual_access:  write_only
        .address_space:  global
        .offset:         56
        .size:           8
        .value_kind:     global_buffer
      - .offset:         64
        .size:           4
        .value_kind:     hidden_block_count_x
      - .offset:         68
        .size:           4
        .value_kind:     hidden_block_count_y
      - .offset:         72
        .size:           4
        .value_kind:     hidden_block_count_z
      - .offset:         76
        .size:           2
        .value_kind:     hidden_group_size_x
      - .offset:         78
        .size:           2
        .value_kind:     hidden_group_size_y
      - .offset:         80
        .size:           2
        .value_kind:     hidden_group_size_z
      - .offset:         82
        .size:           2
        .value_kind:     hidden_remainder_x
      - .offset:         84
        .size:           2
        .value_kind:     hidden_remainder_y
      - .offset:         86
        .size:           2
        .value_kind:     hidden_remainder_z
      - .offset:         104
        .size:           8
        .value_kind:     hidden_global_offset_x
      - .offset:         112
        .size:           8
        .value_kind:     hidden_global_offset_y
      - .offset:         120
        .size:           8
        .value_kind:     hidden_global_offset_z
      - .offset:         128
        .size:           2
        .value_kind:     hidden_grid_dims
    .group_segment_fixed_size: 256
    .kernarg_segment_align: 8
    .kernarg_segment_size: 320
    .language:       OpenCL C
    .language_version:
      - 2
      - 0
    .max_flat_workgroup_size: 512
    .name:           _ZL24rocblas_dot_kernel_magsqIlLb0ELi512ELi2ELb0EdPKPKfdEviT5_lT_liPT6_PT4_
    .private_segment_fixed_size: 0
    .sgpr_count:     20
    .sgpr_spill_count: 0
    .symbol:         _ZL24rocblas_dot_kernel_magsqIlLb0ELi512ELi2ELb0EdPKPKfdEviT5_lT_liPT6_PT4_.kd
    .uniform_work_group_size: 1
    .uses_dynamic_stack: false
    .vgpr_count:     11
    .vgpr_spill_count: 0
    .wavefront_size: 32
    .workgroup_processor_mode: 1
  - .args:
      - .offset:         0
        .size:           4
        .value_kind:     by_value
      - .actual_access:  read_only
        .address_space:  global
        .offset:         8
        .size:           8
        .value_kind:     global_buffer
      - .offset:         16
        .size:           8
        .value_kind:     by_value
      - .offset:         24
        .size:           4
        .value_kind:     by_value
      - .offset:         32
        .size:           8
        .value_kind:     by_value
      - .actual_access:  read_only
        .address_space:  global
        .offset:         40
        .size:           8
        .value_kind:     global_buffer
      - .offset:         48
        .size:           8
        .value_kind:     by_value
      - .offset:         56
        .size:           4
        .value_kind:     by_value
      - .offset:         64
        .size:           8
        .value_kind:     by_value
      - .offset:         72
        .size:           4
        .value_kind:     by_value
      - .actual_access:  write_only
        .address_space:  global
        .offset:         80
        .size:           8
        .value_kind:     global_buffer
    .group_segment_fixed_size: 0
    .kernarg_segment_align: 8
    .kernarg_segment_size: 88
    .language:       OpenCL C
    .language_version:
      - 2
      - 0
    .max_flat_workgroup_size: 128
    .name:           _ZL28rocblas_dot_batched_4_kernelIiLi32ELi4ELb1EfDF16_PKDF16_EviT5_lT_lS2_lS3_liPT4_
    .private_segment_fixed_size: 0
    .sgpr_count:     22
    .sgpr_spill_count: 0
    .symbol:         _ZL28rocblas_dot_batched_4_kernelIiLi32ELi4ELb1EfDF16_PKDF16_EviT5_lT_lS2_lS3_liPT4_.kd
    .uniform_work_group_size: 1
    .uses_dynamic_stack: false
    .vgpr_count:     14
    .vgpr_spill_count: 0
    .wavefront_size: 32
    .workgroup_processor_mode: 1
  - .args:
      - .offset:         0
        .size:           4
        .value_kind:     by_value
      - .actual_access:  read_only
        .address_space:  global
        .offset:         8
        .size:           8
        .value_kind:     global_buffer
      - .offset:         16
        .size:           8
        .value_kind:     by_value
      - .offset:         24
        .size:           4
        .value_kind:     by_value
      - .offset:         32
        .size:           8
        .value_kind:     by_value
      - .actual_access:  read_only
        .address_space:  global
        .offset:         40
        .size:           8
        .value_kind:     global_buffer
      - .offset:         48
        .size:           8
        .value_kind:     by_value
      - .offset:         56
        .size:           4
        .value_kind:     by_value
      - .offset:         64
        .size:           8
        .value_kind:     by_value
      - .offset:         72
        .size:           4
        .value_kind:     by_value
      - .actual_access:  write_only
        .address_space:  global
        .offset:         80
        .size:           8
        .value_kind:     global_buffer
    .group_segment_fixed_size: 0
    .kernarg_segment_align: 8
    .kernarg_segment_size: 88
    .language:       OpenCL C
    .language_version:
      - 2
      - 0
    .max_flat_workgroup_size: 256
    .name:           _ZL28rocblas_dot_batched_4_kernelIiLi64ELi4ELb1EfDF16_PKDF16_EviT5_lT_lS2_lS3_liPT4_
    .private_segment_fixed_size: 0
    .sgpr_count:     22
    .sgpr_spill_count: 0
    .symbol:         _ZL28rocblas_dot_batched_4_kernelIiLi64ELi4ELb1EfDF16_PKDF16_EviT5_lT_lS2_lS3_liPT4_.kd
    .uniform_work_group_size: 1
    .uses_dynamic_stack: false
    .vgpr_count:     14
    .vgpr_spill_count: 0
    .wavefront_size: 32
    .workgroup_processor_mode: 1
  - .args:
      - .offset:         0
        .size:           4
        .value_kind:     by_value
      - .actual_access:  read_only
        .address_space:  global
        .offset:         8
        .size:           8
        .value_kind:     global_buffer
      - .offset:         16
        .size:           8
        .value_kind:     by_value
      - .offset:         24
        .size:           8
        .value_kind:     by_value
      - .actual_access:  read_only
        .address_space:  global
        .offset:         32
        .size:           8
        .value_kind:     global_buffer
      - .offset:         40
        .size:           8
        .value_kind:     by_value
      - .offset:         48
        .size:           8
        .value_kind:     by_value
      - .offset:         56
        .size:           4
        .value_kind:     by_value
      - .actual_access:  read_only
        .address_space:  global
        .offset:         64
        .size:           8
        .value_kind:     global_buffer
      - .actual_access:  write_only
        .address_space:  global
        .offset:         72
        .size:           8
        .value_kind:     global_buffer
    .group_segment_fixed_size: 128
    .kernarg_segment_align: 8
    .kernarg_segment_size: 80
    .language:       OpenCL C
    .language_version:
      - 2
      - 0
    .max_flat_workgroup_size: 1024
    .name:           _ZL26rocblas_dot_kernel_inc1by2ILb1ELi1024ELi32ELb1EDF16_PKDF16_fEviT4_llS2_lliPT5_PT3_
    .private_segment_fixed_size: 0
    .sgpr_count:     26
    .sgpr_spill_count: 0
    .symbol:         _ZL26rocblas_dot_kernel_inc1by2ILb1ELi1024ELi32ELb1EDF16_PKDF16_fEviT4_llS2_lliPT5_PT3_.kd
    .uniform_work_group_size: 1
    .uses_dynamic_stack: false
    .vgpr_count:     10
    .vgpr_spill_count: 0
    .wavefront_size: 32
    .workgroup_processor_mode: 1
  - .args:
      - .offset:         0
        .size:           4
        .value_kind:     by_value
      - .actual_access:  read_only
        .address_space:  global
        .offset:         8
        .size:           8
        .value_kind:     global_buffer
      - .offset:         16
        .size:           8
        .value_kind:     by_value
      - .offset:         24
        .size:           4
        .value_kind:     by_value
      - .offset:         32
        .size:           8
        .value_kind:     by_value
      - .actual_access:  read_only
        .address_space:  global
        .offset:         40
        .size:           8
        .value_kind:     global_buffer
      - .offset:         48
        .size:           8
        .value_kind:     by_value
      - .offset:         56
        .size:           4
        .value_kind:     by_value
      - .offset:         64
        .size:           8
        .value_kind:     by_value
      - .offset:         72
        .size:           4
        .value_kind:     by_value
      - .actual_access:  read_only
        .address_space:  global
        .offset:         80
        .size:           8
        .value_kind:     global_buffer
      - .actual_access:  write_only
        .address_space:  global
        .offset:         88
        .size:           8
        .value_kind:     global_buffer
      - .offset:         96
        .size:           4
        .value_kind:     hidden_block_count_x
      - .offset:         100
        .size:           4
        .value_kind:     hidden_block_count_y
      - .offset:         104
        .size:           4
        .value_kind:     hidden_block_count_z
      - .offset:         108
        .size:           2
        .value_kind:     hidden_group_size_x
      - .offset:         110
        .size:           2
        .value_kind:     hidden_group_size_y
      - .offset:         112
        .size:           2
        .value_kind:     hidden_group_size_z
      - .offset:         114
        .size:           2
        .value_kind:     hidden_remainder_x
      - .offset:         116
        .size:           2
        .value_kind:     hidden_remainder_y
      - .offset:         118
        .size:           2
        .value_kind:     hidden_remainder_z
      - .offset:         136
        .size:           8
        .value_kind:     hidden_global_offset_x
      - .offset:         144
        .size:           8
        .value_kind:     hidden_global_offset_y
      - .offset:         152
        .size:           8
        .value_kind:     hidden_global_offset_z
      - .offset:         160
        .size:           2
        .value_kind:     hidden_grid_dims
    .group_segment_fixed_size: 128
    .kernarg_segment_align: 8
    .kernarg_segment_size: 352
    .language:       OpenCL C
    .language_version:
      - 2
      - 0
    .max_flat_workgroup_size: 1024
    .name:           _ZL18rocblas_dot_kernelIiLb1ELi1024ELi32ELb1EDF16_PKDF16_fEviT5_lT_lS2_lS3_liPT6_PT4_
    .private_segment_fixed_size: 0
    .sgpr_count:     27
    .sgpr_spill_count: 0
    .symbol:         _ZL18rocblas_dot_kernelIiLb1ELi1024ELi32ELb1EDF16_PKDF16_fEviT5_lT_lS2_lS3_liPT6_PT4_.kd
    .uniform_work_group_size: 1
    .uses_dynamic_stack: false
    .vgpr_count:     10
    .vgpr_spill_count: 0
    .wavefront_size: 32
    .workgroup_processor_mode: 1
  - .args:
      - .offset:         0
        .size:           4
        .value_kind:     by_value
      - .actual_access:  read_only
        .address_space:  global
        .offset:         8
        .size:           8
        .value_kind:     global_buffer
      - .offset:         16
        .size:           8
        .value_kind:     by_value
      - .offset:         24
        .size:           4
        .value_kind:     by_value
      - .offset:         32
        .size:           8
        .value_kind:     by_value
      - .offset:         40
        .size:           4
        .value_kind:     by_value
      - .actual_access:  read_only
        .address_space:  global
        .offset:         48
        .size:           8
        .value_kind:     global_buffer
      - .actual_access:  write_only
        .address_space:  global
        .offset:         56
        .size:           8
        .value_kind:     global_buffer
      - .offset:         64
        .size:           4
        .value_kind:     hidden_block_count_x
      - .offset:         68
        .size:           4
        .value_kind:     hidden_block_count_y
      - .offset:         72
        .size:           4
        .value_kind:     hidden_block_count_z
      - .offset:         76
        .size:           2
        .value_kind:     hidden_group_size_x
      - .offset:         78
        .size:           2
        .value_kind:     hidden_group_size_y
      - .offset:         80
        .size:           2
        .value_kind:     hidden_group_size_z
      - .offset:         82
        .size:           2
        .value_kind:     hidden_remainder_x
      - .offset:         84
        .size:           2
        .value_kind:     hidden_remainder_y
      - .offset:         86
        .size:           2
        .value_kind:     hidden_remainder_z
      - .offset:         104
        .size:           8
        .value_kind:     hidden_global_offset_x
      - .offset:         112
        .size:           8
        .value_kind:     hidden_global_offset_y
      - .offset:         120
        .size:           8
        .value_kind:     hidden_global_offset_z
      - .offset:         128
        .size:           2
        .value_kind:     hidden_grid_dims
    .group_segment_fixed_size: 128
    .kernarg_segment_align: 8
    .kernarg_segment_size: 320
    .language:       OpenCL C
    .language_version:
      - 2
      - 0
    .max_flat_workgroup_size: 1024
    .name:           _ZL24rocblas_dot_kernel_magsqIiLb1ELi1024ELi32ELb1EDF16_PKDF16_fEviT5_lT_liPT6_PT4_
    .private_segment_fixed_size: 0
    .sgpr_count:     19
    .sgpr_spill_count: 0
    .symbol:         _ZL24rocblas_dot_kernel_magsqIiLb1ELi1024ELi32ELb1EDF16_PKDF16_fEviT5_lT_liPT6_PT4_.kd
    .uniform_work_group_size: 1
    .uses_dynamic_stack: false
    .vgpr_count:     10
    .vgpr_spill_count: 0
    .wavefront_size: 32
    .workgroup_processor_mode: 1
  - .args:
      - .offset:         0
        .size:           4
        .value_kind:     by_value
      - .actual_access:  read_only
        .address_space:  global
        .offset:         8
        .size:           8
        .value_kind:     global_buffer
      - .offset:         16
        .size:           8
        .value_kind:     by_value
      - .offset:         24
        .size:           8
        .value_kind:     by_value
      - .actual_access:  read_only
        .address_space:  global
        .offset:         32
        .size:           8
        .value_kind:     global_buffer
      - .offset:         40
        .size:           8
        .value_kind:     by_value
      - .offset:         48
        .size:           8
        .value_kind:     by_value
      - .offset:         56
        .size:           4
        .value_kind:     by_value
      - .actual_access:  write_only
        .address_space:  global
        .offset:         64
        .size:           8
        .value_kind:     global_buffer
      - .actual_access:  write_only
        .address_space:  global
        .offset:         72
        .size:           8
        .value_kind:     global_buffer
      - .offset:         80
        .size:           4
        .value_kind:     hidden_block_count_x
      - .offset:         84
        .size:           4
        .value_kind:     hidden_block_count_y
      - .offset:         88
        .size:           4
        .value_kind:     hidden_block_count_z
      - .offset:         92
        .size:           2
        .value_kind:     hidden_group_size_x
      - .offset:         94
        .size:           2
        .value_kind:     hidden_group_size_y
      - .offset:         96
        .size:           2
        .value_kind:     hidden_group_size_z
      - .offset:         98
        .size:           2
        .value_kind:     hidden_remainder_x
      - .offset:         100
        .size:           2
        .value_kind:     hidden_remainder_y
      - .offset:         102
        .size:           2
        .value_kind:     hidden_remainder_z
      - .offset:         120
        .size:           8
        .value_kind:     hidden_global_offset_x
      - .offset:         128
        .size:           8
        .value_kind:     hidden_global_offset_y
      - .offset:         136
        .size:           8
        .value_kind:     hidden_global_offset_z
      - .offset:         144
        .size:           2
        .value_kind:     hidden_grid_dims
    .group_segment_fixed_size: 128
    .kernarg_segment_align: 8
    .kernarg_segment_size: 336
    .language:       OpenCL C
    .language_version:
      - 2
      - 0
    .max_flat_workgroup_size: 512
    .name:           _ZL23rocblas_dot_kernel_inc1ILb0ELi512ELi8ELb1EDF16_PKDF16_fEviT4_llS2_lliPT5_PT3_
    .private_segment_fixed_size: 0
    .sgpr_count:     26
    .sgpr_spill_count: 0
    .symbol:         _ZL23rocblas_dot_kernel_inc1ILb0ELi512ELi8ELb1EDF16_PKDF16_fEviT4_llS2_lliPT5_PT3_.kd
    .uniform_work_group_size: 1
    .uses_dynamic_stack: false
    .vgpr_count:     9
    .vgpr_spill_count: 0
    .wavefront_size: 32
    .workgroup_processor_mode: 1
  - .args:
      - .offset:         0
        .size:           4
        .value_kind:     by_value
      - .actual_access:  read_only
        .address_space:  global
        .offset:         8
        .size:           8
        .value_kind:     global_buffer
      - .offset:         16
        .size:           8
        .value_kind:     by_value
      - .offset:         24
        .size:           4
        .value_kind:     by_value
      - .offset:         32
        .size:           8
        .value_kind:     by_value
      - .actual_access:  read_only
        .address_space:  global
        .offset:         40
        .size:           8
        .value_kind:     global_buffer
      - .offset:         48
        .size:           8
        .value_kind:     by_value
      - .offset:         56
        .size:           4
        .value_kind:     by_value
      - .offset:         64
        .size:           8
        .value_kind:     by_value
      - .offset:         72
        .size:           4
        .value_kind:     by_value
      - .actual_access:  write_only
        .address_space:  global
        .offset:         80
        .size:           8
        .value_kind:     global_buffer
      - .actual_access:  write_only
        .address_space:  global
        .offset:         88
        .size:           8
        .value_kind:     global_buffer
      - .offset:         96
        .size:           4
        .value_kind:     hidden_block_count_x
      - .offset:         100
        .size:           4
        .value_kind:     hidden_block_count_y
      - .offset:         104
        .size:           4
        .value_kind:     hidden_block_count_z
      - .offset:         108
        .size:           2
        .value_kind:     hidden_group_size_x
      - .offset:         110
        .size:           2
        .value_kind:     hidden_group_size_y
      - .offset:         112
        .size:           2
        .value_kind:     hidden_group_size_z
      - .offset:         114
        .size:           2
        .value_kind:     hidden_remainder_x
      - .offset:         116
        .size:           2
        .value_kind:     hidden_remainder_y
      - .offset:         118
        .size:           2
        .value_kind:     hidden_remainder_z
      - .offset:         136
        .size:           8
        .value_kind:     hidden_global_offset_x
      - .offset:         144
        .size:           8
        .value_kind:     hidden_global_offset_y
      - .offset:         152
        .size:           8
        .value_kind:     hidden_global_offset_z
      - .offset:         160
        .size:           2
        .value_kind:     hidden_grid_dims
    .group_segment_fixed_size: 128
    .kernarg_segment_align: 8
    .kernarg_segment_size: 352
    .language:       OpenCL C
    .language_version:
      - 2
      - 0
    .max_flat_workgroup_size: 512
    .name:           _ZL18rocblas_dot_kernelIiLb0ELi512ELi8ELb1EDF16_PKDF16_fEviT5_lT_lS2_lS3_liPT6_PT4_
    .private_segment_fixed_size: 0
    .sgpr_count:     30
    .sgpr_spill_count: 0
    .symbol:         _ZL18rocblas_dot_kernelIiLb0ELi512ELi8ELb1EDF16_PKDF16_fEviT5_lT_lS2_lS3_liPT6_PT4_.kd
    .uniform_work_group_size: 1
    .uses_dynamic_stack: false
    .vgpr_count:     10
    .vgpr_spill_count: 0
    .wavefront_size: 32
    .workgroup_processor_mode: 1
  - .args:
      - .offset:         0
        .size:           4
        .value_kind:     by_value
      - .actual_access:  read_only
        .address_space:  global
        .offset:         8
        .size:           8
        .value_kind:     global_buffer
      - .offset:         16
        .size:           8
        .value_kind:     by_value
      - .offset:         24
        .size:           4
        .value_kind:     by_value
      - .offset:         32
        .size:           8
        .value_kind:     by_value
      - .offset:         40
        .size:           4
        .value_kind:     by_value
      - .actual_access:  write_only
        .address_space:  global
        .offset:         48
        .size:           8
        .value_kind:     global_buffer
      - .actual_access:  write_only
        .address_space:  global
        .offset:         56
        .size:           8
        .value_kind:     global_buffer
      - .offset:         64
        .size:           4
        .value_kind:     hidden_block_count_x
      - .offset:         68
        .size:           4
        .value_kind:     hidden_block_count_y
      - .offset:         72
        .size:           4
        .value_kind:     hidden_block_count_z
      - .offset:         76
        .size:           2
        .value_kind:     hidden_group_size_x
      - .offset:         78
        .size:           2
        .value_kind:     hidden_group_size_y
      - .offset:         80
        .size:           2
        .value_kind:     hidden_group_size_z
      - .offset:         82
        .size:           2
        .value_kind:     hidden_remainder_x
      - .offset:         84
        .size:           2
        .value_kind:     hidden_remainder_y
      - .offset:         86
        .size:           2
        .value_kind:     hidden_remainder_z
      - .offset:         104
        .size:           8
        .value_kind:     hidden_global_offset_x
      - .offset:         112
        .size:           8
        .value_kind:     hidden_global_offset_y
      - .offset:         120
        .size:           8
        .value_kind:     hidden_global_offset_z
      - .offset:         128
        .size:           2
        .value_kind:     hidden_grid_dims
    .group_segment_fixed_size: 128
    .kernarg_segment_align: 8
    .kernarg_segment_size: 320
    .language:       OpenCL C
    .language_version:
      - 2
      - 0
    .max_flat_workgroup_size: 512
    .name:           _ZL24rocblas_dot_kernel_magsqIiLb0ELi512ELi8ELb1EDF16_PKDF16_fEviT5_lT_liPT6_PT4_
    .private_segment_fixed_size: 0
    .sgpr_count:     24
    .sgpr_spill_count: 0
    .symbol:         _ZL24rocblas_dot_kernel_magsqIiLb0ELi512ELi8ELb1EDF16_PKDF16_fEviT5_lT_liPT6_PT4_.kd
    .uniform_work_group_size: 1
    .uses_dynamic_stack: false
    .vgpr_count:     9
    .vgpr_spill_count: 0
    .wavefront_size: 32
    .workgroup_processor_mode: 1
  - .args:
      - .offset:         0
        .size:           4
        .value_kind:     by_value
      - .actual_access:  read_only
        .address_space:  global
        .offset:         8
        .size:           8
        .value_kind:     global_buffer
      - .offset:         16
        .size:           8
        .value_kind:     by_value
      - .offset:         24
        .size:           4
        .value_kind:     by_value
      - .offset:         32
        .size:           8
        .value_kind:     by_value
      - .actual_access:  read_only
        .address_space:  global
        .offset:         40
        .size:           8
        .value_kind:     global_buffer
      - .offset:         48
        .size:           8
        .value_kind:     by_value
      - .offset:         56
        .size:           4
        .value_kind:     by_value
      - .offset:         64
        .size:           8
        .value_kind:     by_value
      - .offset:         72
        .size:           4
        .value_kind:     by_value
      - .actual_access:  write_only
        .address_space:  global
        .offset:         80
        .size:           8
        .value_kind:     global_buffer
    .group_segment_fixed_size: 0
    .kernarg_segment_align: 8
    .kernarg_segment_size: 88
    .language:       OpenCL C
    .language_version:
      - 2
      - 0
    .max_flat_workgroup_size: 128
    .name:           _ZL28rocblas_dot_batched_4_kernelIiLi32ELi4ELb1EffPKDF16_EviT5_lT_lS2_lS3_liPT4_
    .private_segment_fixed_size: 0
    .sgpr_count:     22
    .sgpr_spill_count: 0
    .symbol:         _ZL28rocblas_dot_batched_4_kernelIiLi32ELi4ELb1EffPKDF16_EviT5_lT_lS2_lS3_liPT4_.kd
    .uniform_work_group_size: 1
    .uses_dynamic_stack: false
    .vgpr_count:     14
    .vgpr_spill_count: 0
    .wavefront_size: 32
    .workgroup_processor_mode: 1
  - .args:
      - .offset:         0
        .size:           4
        .value_kind:     by_value
      - .actual_access:  read_only
        .address_space:  global
        .offset:         8
        .size:           8
        .value_kind:     global_buffer
      - .offset:         16
        .size:           8
        .value_kind:     by_value
      - .offset:         24
        .size:           4
        .value_kind:     by_value
      - .offset:         32
        .size:           8
        .value_kind:     by_value
      - .actual_access:  read_only
        .address_space:  global
        .offset:         40
        .size:           8
        .value_kind:     global_buffer
      - .offset:         48
        .size:           8
        .value_kind:     by_value
      - .offset:         56
        .size:           4
        .value_kind:     by_value
      - .offset:         64
        .size:           8
        .value_kind:     by_value
      - .offset:         72
        .size:           4
        .value_kind:     by_value
      - .actual_access:  write_only
        .address_space:  global
        .offset:         80
        .size:           8
        .value_kind:     global_buffer
    .group_segment_fixed_size: 0
    .kernarg_segment_align: 8
    .kernarg_segment_size: 88
    .language:       OpenCL C
    .language_version:
      - 2
      - 0
    .max_flat_workgroup_size: 256
    .name:           _ZL28rocblas_dot_batched_4_kernelIiLi64ELi4ELb1EffPKDF16_EviT5_lT_lS2_lS3_liPT4_
    .private_segment_fixed_size: 0
    .sgpr_count:     22
    .sgpr_spill_count: 0
    .symbol:         _ZL28rocblas_dot_batched_4_kernelIiLi64ELi4ELb1EffPKDF16_EviT5_lT_lS2_lS3_liPT4_.kd
    .uniform_work_group_size: 1
    .uses_dynamic_stack: false
    .vgpr_count:     14
    .vgpr_spill_count: 0
    .wavefront_size: 32
    .workgroup_processor_mode: 1
  - .args:
      - .offset:         0
        .size:           4
        .value_kind:     by_value
      - .actual_access:  read_only
        .address_space:  global
        .offset:         8
        .size:           8
        .value_kind:     global_buffer
      - .offset:         16
        .size:           8
        .value_kind:     by_value
      - .offset:         24
        .size:           4
        .value_kind:     by_value
      - .offset:         32
        .size:           8
        .value_kind:     by_value
      - .actual_access:  read_only
        .address_space:  global
        .offset:         40
        .size:           8
        .value_kind:     global_buffer
      - .offset:         48
        .size:           8
        .value_kind:     by_value
      - .offset:         56
        .size:           4
        .value_kind:     by_value
      - .offset:         64
        .size:           8
        .value_kind:     by_value
      - .offset:         72
        .size:           4
        .value_kind:     by_value
      - .actual_access:  read_only
        .address_space:  global
        .offset:         80
        .size:           8
        .value_kind:     global_buffer
      - .actual_access:  write_only
        .address_space:  global
        .offset:         88
        .size:           8
        .value_kind:     global_buffer
      - .offset:         96
        .size:           4
        .value_kind:     hidden_block_count_x
      - .offset:         100
        .size:           4
        .value_kind:     hidden_block_count_y
      - .offset:         104
        .size:           4
        .value_kind:     hidden_block_count_z
      - .offset:         108
        .size:           2
        .value_kind:     hidden_group_size_x
      - .offset:         110
        .size:           2
        .value_kind:     hidden_group_size_y
      - .offset:         112
        .size:           2
        .value_kind:     hidden_group_size_z
      - .offset:         114
        .size:           2
        .value_kind:     hidden_remainder_x
      - .offset:         116
        .size:           2
        .value_kind:     hidden_remainder_y
      - .offset:         118
        .size:           2
        .value_kind:     hidden_remainder_z
      - .offset:         136
        .size:           8
        .value_kind:     hidden_global_offset_x
      - .offset:         144
        .size:           8
        .value_kind:     hidden_global_offset_y
      - .offset:         152
        .size:           8
        .value_kind:     hidden_global_offset_z
      - .offset:         160
        .size:           2
        .value_kind:     hidden_grid_dims
    .group_segment_fixed_size: 128
    .kernarg_segment_align: 8
    .kernarg_segment_size: 352
    .language:       OpenCL C
    .language_version:
      - 2
      - 0
    .max_flat_workgroup_size: 1024
    .name:           _ZL18rocblas_dot_kernelIiLb1ELi1024ELi32ELb1EfPKDF16_fEviT5_lT_lS2_lS3_liPT6_PT4_
    .private_segment_fixed_size: 0
    .sgpr_count:     27
    .sgpr_spill_count: 0
    .symbol:         _ZL18rocblas_dot_kernelIiLb1ELi1024ELi32ELb1EfPKDF16_fEviT5_lT_lS2_lS3_liPT6_PT4_.kd
    .uniform_work_group_size: 1
    .uses_dynamic_stack: false
    .vgpr_count:     10
    .vgpr_spill_count: 0
    .wavefront_size: 32
    .workgroup_processor_mode: 1
  - .args:
      - .offset:         0
        .size:           4
        .value_kind:     by_value
      - .actual_access:  read_only
        .address_space:  global
        .offset:         8
        .size:           8
        .value_kind:     global_buffer
      - .offset:         16
        .size:           8
        .value_kind:     by_value
      - .offset:         24
        .size:           4
        .value_kind:     by_value
      - .offset:         32
        .size:           8
        .value_kind:     by_value
      - .offset:         40
        .size:           4
        .value_kind:     by_value
      - .actual_access:  read_only
        .address_space:  global
        .offset:         48
        .size:           8
        .value_kind:     global_buffer
      - .actual_access:  write_only
        .address_space:  global
        .offset:         56
        .size:           8
        .value_kind:     global_buffer
      - .offset:         64
        .size:           4
        .value_kind:     hidden_block_count_x
      - .offset:         68
        .size:           4
        .value_kind:     hidden_block_count_y
      - .offset:         72
        .size:           4
        .value_kind:     hidden_block_count_z
      - .offset:         76
        .size:           2
        .value_kind:     hidden_group_size_x
      - .offset:         78
        .size:           2
        .value_kind:     hidden_group_size_y
      - .offset:         80
        .size:           2
        .value_kind:     hidden_group_size_z
      - .offset:         82
        .size:           2
        .value_kind:     hidden_remainder_x
      - .offset:         84
        .size:           2
        .value_kind:     hidden_remainder_y
      - .offset:         86
        .size:           2
        .value_kind:     hidden_remainder_z
      - .offset:         104
        .size:           8
        .value_kind:     hidden_global_offset_x
      - .offset:         112
        .size:           8
        .value_kind:     hidden_global_offset_y
      - .offset:         120
        .size:           8
        .value_kind:     hidden_global_offset_z
      - .offset:         128
        .size:           2
        .value_kind:     hidden_grid_dims
    .group_segment_fixed_size: 128
    .kernarg_segment_align: 8
    .kernarg_segment_size: 320
    .language:       OpenCL C
    .language_version:
      - 2
      - 0
    .max_flat_workgroup_size: 1024
    .name:           _ZL24rocblas_dot_kernel_magsqIiLb1ELi1024ELi32ELb1EfPKDF16_fEviT5_lT_liPT6_PT4_
    .private_segment_fixed_size: 0
    .sgpr_count:     19
    .sgpr_spill_count: 0
    .symbol:         _ZL24rocblas_dot_kernel_magsqIiLb1ELi1024ELi32ELb1EfPKDF16_fEviT5_lT_liPT6_PT4_.kd
    .uniform_work_group_size: 1
    .uses_dynamic_stack: false
    .vgpr_count:     10
    .vgpr_spill_count: 0
    .wavefront_size: 32
    .workgroup_processor_mode: 1
  - .args:
      - .offset:         0
        .size:           4
        .value_kind:     by_value
      - .actual_access:  read_only
        .address_space:  global
        .offset:         8
        .size:           8
        .value_kind:     global_buffer
      - .offset:         16
        .size:           8
        .value_kind:     by_value
      - .offset:         24
        .size:           4
        .value_kind:     by_value
      - .offset:         32
        .size:           8
        .value_kind:     by_value
      - .actual_access:  read_only
        .address_space:  global
        .offset:         40
        .size:           8
        .value_kind:     global_buffer
      - .offset:         48
        .size:           8
        .value_kind:     by_value
      - .offset:         56
        .size:           4
        .value_kind:     by_value
      - .offset:         64
        .size:           8
        .value_kind:     by_value
      - .offset:         72
        .size:           4
        .value_kind:     by_value
      - .actual_access:  write_only
        .address_space:  global
        .offset:         80
        .size:           8
        .value_kind:     global_buffer
      - .actual_access:  write_only
        .address_space:  global
        .offset:         88
        .size:           8
        .value_kind:     global_buffer
      - .offset:         96
        .size:           4
        .value_kind:     hidden_block_count_x
      - .offset:         100
        .size:           4
        .value_kind:     hidden_block_count_y
      - .offset:         104
        .size:           4
        .value_kind:     hidden_block_count_z
      - .offset:         108
        .size:           2
        .value_kind:     hidden_group_size_x
      - .offset:         110
        .size:           2
        .value_kind:     hidden_group_size_y
      - .offset:         112
        .size:           2
        .value_kind:     hidden_group_size_z
      - .offset:         114
        .size:           2
        .value_kind:     hidden_remainder_x
      - .offset:         116
        .size:           2
        .value_kind:     hidden_remainder_y
      - .offset:         118
        .size:           2
        .value_kind:     hidden_remainder_z
      - .offset:         136
        .size:           8
        .value_kind:     hidden_global_offset_x
      - .offset:         144
        .size:           8
        .value_kind:     hidden_global_offset_y
      - .offset:         152
        .size:           8
        .value_kind:     hidden_global_offset_z
      - .offset:         160
        .size:           2
        .value_kind:     hidden_grid_dims
    .group_segment_fixed_size: 128
    .kernarg_segment_align: 8
    .kernarg_segment_size: 352
    .language:       OpenCL C
    .language_version:
      - 2
      - 0
    .max_flat_workgroup_size: 512
    .name:           _ZL18rocblas_dot_kernelIiLb0ELi512ELi4ELb1EfPKDF16_fEviT5_lT_lS2_lS3_liPT6_PT4_
    .private_segment_fixed_size: 0
    .sgpr_count:     30
    .sgpr_spill_count: 0
    .symbol:         _ZL18rocblas_dot_kernelIiLb0ELi512ELi4ELb1EfPKDF16_fEviT5_lT_lS2_lS3_liPT6_PT4_.kd
    .uniform_work_group_size: 1
    .uses_dynamic_stack: false
    .vgpr_count:     10
    .vgpr_spill_count: 0
    .wavefront_size: 32
    .workgroup_processor_mode: 1
  - .args:
      - .offset:         0
        .size:           4
        .value_kind:     by_value
      - .actual_access:  read_only
        .address_space:  global
        .offset:         8
        .size:           8
        .value_kind:     global_buffer
      - .offset:         16
        .size:           8
        .value_kind:     by_value
      - .offset:         24
        .size:           4
        .value_kind:     by_value
      - .offset:         32
        .size:           8
        .value_kind:     by_value
      - .offset:         40
        .size:           4
        .value_kind:     by_value
      - .actual_access:  write_only
        .address_space:  global
        .offset:         48
        .size:           8
        .value_kind:     global_buffer
      - .actual_access:  write_only
        .address_space:  global
        .offset:         56
        .size:           8
        .value_kind:     global_buffer
      - .offset:         64
        .size:           4
        .value_kind:     hidden_block_count_x
      - .offset:         68
        .size:           4
        .value_kind:     hidden_block_count_y
      - .offset:         72
        .size:           4
        .value_kind:     hidden_block_count_z
      - .offset:         76
        .size:           2
        .value_kind:     hidden_group_size_x
      - .offset:         78
        .size:           2
        .value_kind:     hidden_group_size_y
      - .offset:         80
        .size:           2
        .value_kind:     hidden_group_size_z
      - .offset:         82
        .size:           2
        .value_kind:     hidden_remainder_x
      - .offset:         84
        .size:           2
        .value_kind:     hidden_remainder_y
      - .offset:         86
        .size:           2
        .value_kind:     hidden_remainder_z
      - .offset:         104
        .size:           8
        .value_kind:     hidden_global_offset_x
      - .offset:         112
        .size:           8
        .value_kind:     hidden_global_offset_y
      - .offset:         120
        .size:           8
        .value_kind:     hidden_global_offset_z
      - .offset:         128
        .size:           2
        .value_kind:     hidden_grid_dims
    .group_segment_fixed_size: 128
    .kernarg_segment_align: 8
    .kernarg_segment_size: 320
    .language:       OpenCL C
    .language_version:
      - 2
      - 0
    .max_flat_workgroup_size: 512
    .name:           _ZL24rocblas_dot_kernel_magsqIiLb0ELi512ELi4ELb1EfPKDF16_fEviT5_lT_liPT6_PT4_
    .private_segment_fixed_size: 0
    .sgpr_count:     24
    .sgpr_spill_count: 0
    .symbol:         _ZL24rocblas_dot_kernel_magsqIiLb0ELi512ELi4ELb1EfPKDF16_fEviT5_lT_liPT6_PT4_.kd
    .uniform_work_group_size: 1
    .uses_dynamic_stack: false
    .vgpr_count:     9
    .vgpr_spill_count: 0
    .wavefront_size: 32
    .workgroup_processor_mode: 1
  - .args:
      - .offset:         0
        .size:           4
        .value_kind:     by_value
      - .actual_access:  read_only
        .address_space:  global
        .offset:         8
        .size:           8
        .value_kind:     global_buffer
      - .offset:         16
        .size:           8
        .value_kind:     by_value
      - .offset:         24
        .size:           8
        .value_kind:     by_value
      - .offset:         32
        .size:           8
        .value_kind:     by_value
      - .actual_access:  read_only
        .address_space:  global
        .offset:         40
        .size:           8
        .value_kind:     global_buffer
      - .offset:         48
        .size:           8
        .value_kind:     by_value
      - .offset:         56
        .size:           8
        .value_kind:     by_value
      - .offset:         64
        .size:           8
        .value_kind:     by_value
      - .offset:         72
        .size:           4
        .value_kind:     by_value
      - .actual_access:  write_only
        .address_space:  global
        .offset:         80
        .size:           8
        .value_kind:     global_buffer
    .group_segment_fixed_size: 0
    .kernarg_segment_align: 8
    .kernarg_segment_size: 88
    .language:       OpenCL C
    .language_version:
      - 2
      - 0
    .max_flat_workgroup_size: 128
    .name:           _ZL28rocblas_dot_batched_4_kernelIlLi32ELi4ELb1EfDF16_PKDF16_EviT5_lT_lS2_lS3_liPT4_
    .private_segment_fixed_size: 0
    .sgpr_count:     22
    .sgpr_spill_count: 0
    .symbol:         _ZL28rocblas_dot_batched_4_kernelIlLi32ELi4ELb1EfDF16_PKDF16_EviT5_lT_lS2_lS3_liPT4_.kd
    .uniform_work_group_size: 1
    .uses_dynamic_stack: false
    .vgpr_count:     17
    .vgpr_spill_count: 0
    .wavefront_size: 32
    .workgroup_processor_mode: 1
  - .args:
      - .offset:         0
        .size:           4
        .value_kind:     by_value
      - .actual_access:  read_only
        .address_space:  global
        .offset:         8
        .size:           8
        .value_kind:     global_buffer
      - .offset:         16
        .size:           8
        .value_kind:     by_value
      - .offset:         24
        .size:           8
        .value_kind:     by_value
      - .offset:         32
        .size:           8
        .value_kind:     by_value
      - .actual_access:  read_only
        .address_space:  global
        .offset:         40
        .size:           8
        .value_kind:     global_buffer
      - .offset:         48
        .size:           8
        .value_kind:     by_value
      - .offset:         56
        .size:           8
        .value_kind:     by_value
      - .offset:         64
        .size:           8
        .value_kind:     by_value
      - .offset:         72
        .size:           4
        .value_kind:     by_value
      - .actual_access:  write_only
        .address_space:  global
        .offset:         80
        .size:           8
        .value_kind:     global_buffer
    .group_segment_fixed_size: 0
    .kernarg_segment_align: 8
    .kernarg_segment_size: 88
    .language:       OpenCL C
    .language_version:
      - 2
      - 0
    .max_flat_workgroup_size: 256
    .name:           _ZL28rocblas_dot_batched_4_kernelIlLi64ELi4ELb1EfDF16_PKDF16_EviT5_lT_lS2_lS3_liPT4_
    .private_segment_fixed_size: 0
    .sgpr_count:     22
    .sgpr_spill_count: 0
    .symbol:         _ZL28rocblas_dot_batched_4_kernelIlLi64ELi4ELb1EfDF16_PKDF16_EviT5_lT_lS2_lS3_liPT4_.kd
    .uniform_work_group_size: 1
    .uses_dynamic_stack: false
    .vgpr_count:     17
    .vgpr_spill_count: 0
    .wavefront_size: 32
    .workgroup_processor_mode: 1
  - .args:
      - .offset:         0
        .size:           4
        .value_kind:     by_value
      - .actual_access:  read_only
        .address_space:  global
        .offset:         8
        .size:           8
        .value_kind:     global_buffer
      - .offset:         16
        .size:           8
        .value_kind:     by_value
      - .offset:         24
        .size:           8
        .value_kind:     by_value
      - .offset:         32
        .size:           8
        .value_kind:     by_value
      - .actual_access:  read_only
        .address_space:  global
        .offset:         40
        .size:           8
        .value_kind:     global_buffer
      - .offset:         48
        .size:           8
        .value_kind:     by_value
      - .offset:         56
        .size:           8
        .value_kind:     by_value
      - .offset:         64
        .size:           8
        .value_kind:     by_value
      - .offset:         72
        .size:           4
        .value_kind:     by_value
      - .actual_access:  read_only
        .address_space:  global
        .offset:         80
        .size:           8
        .value_kind:     global_buffer
      - .actual_access:  write_only
        .address_space:  global
        .offset:         88
        .size:           8
        .value_kind:     global_buffer
      - .offset:         96
        .size:           4
        .value_kind:     hidden_block_count_x
      - .offset:         100
        .size:           4
        .value_kind:     hidden_block_count_y
      - .offset:         104
        .size:           4
        .value_kind:     hidden_block_count_z
      - .offset:         108
        .size:           2
        .value_kind:     hidden_group_size_x
      - .offset:         110
        .size:           2
        .value_kind:     hidden_group_size_y
      - .offset:         112
        .size:           2
        .value_kind:     hidden_group_size_z
      - .offset:         114
        .size:           2
        .value_kind:     hidden_remainder_x
      - .offset:         116
        .size:           2
        .value_kind:     hidden_remainder_y
      - .offset:         118
        .size:           2
        .value_kind:     hidden_remainder_z
      - .offset:         136
        .size:           8
        .value_kind:     hidden_global_offset_x
      - .offset:         144
        .size:           8
        .value_kind:     hidden_global_offset_y
      - .offset:         152
        .size:           8
        .value_kind:     hidden_global_offset_z
      - .offset:         160
        .size:           2
        .value_kind:     hidden_grid_dims
    .group_segment_fixed_size: 128
    .kernarg_segment_align: 8
    .kernarg_segment_size: 352
    .language:       OpenCL C
    .language_version:
      - 2
      - 0
    .max_flat_workgroup_size: 1024
    .name:           _ZL18rocblas_dot_kernelIlLb1ELi1024ELi32ELb1EDF16_PKDF16_fEviT5_lT_lS2_lS3_liPT6_PT4_
    .private_segment_fixed_size: 0
    .sgpr_count:     29
    .sgpr_spill_count: 0
    .symbol:         _ZL18rocblas_dot_kernelIlLb1ELi1024ELi32ELb1EDF16_PKDF16_fEviT5_lT_lS2_lS3_liPT6_PT4_.kd
    .uniform_work_group_size: 1
    .uses_dynamic_stack: false
    .vgpr_count:     11
    .vgpr_spill_count: 0
    .wavefront_size: 32
    .workgroup_processor_mode: 1
  - .args:
      - .offset:         0
        .size:           4
        .value_kind:     by_value
      - .actual_access:  read_only
        .address_space:  global
        .offset:         8
        .size:           8
        .value_kind:     global_buffer
      - .offset:         16
        .size:           8
        .value_kind:     by_value
      - .offset:         24
        .size:           8
        .value_kind:     by_value
      - .offset:         32
        .size:           8
        .value_kind:     by_value
      - .offset:         40
        .size:           4
        .value_kind:     by_value
      - .actual_access:  read_only
        .address_space:  global
        .offset:         48
        .size:           8
        .value_kind:     global_buffer
      - .actual_access:  write_only
        .address_space:  global
        .offset:         56
        .size:           8
        .value_kind:     global_buffer
      - .offset:         64
        .size:           4
        .value_kind:     hidden_block_count_x
      - .offset:         68
        .size:           4
        .value_kind:     hidden_block_count_y
      - .offset:         72
        .size:           4
        .value_kind:     hidden_block_count_z
      - .offset:         76
        .size:           2
        .value_kind:     hidden_group_size_x
      - .offset:         78
        .size:           2
        .value_kind:     hidden_group_size_y
      - .offset:         80
        .size:           2
        .value_kind:     hidden_group_size_z
      - .offset:         82
        .size:           2
        .value_kind:     hidden_remainder_x
      - .offset:         84
        .size:           2
        .value_kind:     hidden_remainder_y
      - .offset:         86
        .size:           2
        .value_kind:     hidden_remainder_z
      - .offset:         104
        .size:           8
        .value_kind:     hidden_global_offset_x
      - .offset:         112
        .size:           8
        .value_kind:     hidden_global_offset_y
      - .offset:         120
        .size:           8
        .value_kind:     hidden_global_offset_z
      - .offset:         128
        .size:           2
        .value_kind:     hidden_grid_dims
    .group_segment_fixed_size: 128
    .kernarg_segment_align: 8
    .kernarg_segment_size: 320
    .language:       OpenCL C
    .language_version:
      - 2
      - 0
    .max_flat_workgroup_size: 1024
    .name:           _ZL24rocblas_dot_kernel_magsqIlLb1ELi1024ELi32ELb1EDF16_PKDF16_fEviT5_lT_liPT6_PT4_
    .private_segment_fixed_size: 0
    .sgpr_count:     19
    .sgpr_spill_count: 0
    .symbol:         _ZL24rocblas_dot_kernel_magsqIlLb1ELi1024ELi32ELb1EDF16_PKDF16_fEviT5_lT_liPT6_PT4_.kd
    .uniform_work_group_size: 1
    .uses_dynamic_stack: false
    .vgpr_count:     10
    .vgpr_spill_count: 0
    .wavefront_size: 32
    .workgroup_processor_mode: 1
  - .args:
      - .offset:         0
        .size:           4
        .value_kind:     by_value
      - .actual_access:  read_only
        .address_space:  global
        .offset:         8
        .size:           8
        .value_kind:     global_buffer
      - .offset:         16
        .size:           8
        .value_kind:     by_value
      - .offset:         24
        .size:           8
        .value_kind:     by_value
      - .offset:         32
        .size:           8
        .value_kind:     by_value
      - .actual_access:  read_only
        .address_space:  global
        .offset:         40
        .size:           8
        .value_kind:     global_buffer
      - .offset:         48
        .size:           8
        .value_kind:     by_value
      - .offset:         56
        .size:           8
        .value_kind:     by_value
      - .offset:         64
        .size:           8
        .value_kind:     by_value
      - .offset:         72
        .size:           4
        .value_kind:     by_value
      - .actual_access:  write_only
        .address_space:  global
        .offset:         80
        .size:           8
        .value_kind:     global_buffer
      - .actual_access:  write_only
        .address_space:  global
        .offset:         88
        .size:           8
        .value_kind:     global_buffer
      - .offset:         96
        .size:           4
        .value_kind:     hidden_block_count_x
      - .offset:         100
        .size:           4
        .value_kind:     hidden_block_count_y
      - .offset:         104
        .size:           4
        .value_kind:     hidden_block_count_z
      - .offset:         108
        .size:           2
        .value_kind:     hidden_group_size_x
      - .offset:         110
        .size:           2
        .value_kind:     hidden_group_size_y
      - .offset:         112
        .size:           2
        .value_kind:     hidden_group_size_z
      - .offset:         114
        .size:           2
        .value_kind:     hidden_remainder_x
      - .offset:         116
        .size:           2
        .value_kind:     hidden_remainder_y
      - .offset:         118
        .size:           2
        .value_kind:     hidden_remainder_z
      - .offset:         136
        .size:           8
        .value_kind:     hidden_global_offset_x
      - .offset:         144
        .size:           8
        .value_kind:     hidden_global_offset_y
      - .offset:         152
        .size:           8
        .value_kind:     hidden_global_offset_z
      - .offset:         160
        .size:           2
        .value_kind:     hidden_grid_dims
    .group_segment_fixed_size: 128
    .kernarg_segment_align: 8
    .kernarg_segment_size: 352
    .language:       OpenCL C
    .language_version:
      - 2
      - 0
    .max_flat_workgroup_size: 512
    .name:           _ZL18rocblas_dot_kernelIlLb0ELi512ELi8ELb1EDF16_PKDF16_fEviT5_lT_lS2_lS3_liPT6_PT4_
    .private_segment_fixed_size: 0
    .sgpr_count:     30
    .sgpr_spill_count: 0
    .symbol:         _ZL18rocblas_dot_kernelIlLb0ELi512ELi8ELb1EDF16_PKDF16_fEviT5_lT_lS2_lS3_liPT6_PT4_.kd
    .uniform_work_group_size: 1
    .uses_dynamic_stack: false
    .vgpr_count:     11
    .vgpr_spill_count: 0
    .wavefront_size: 32
    .workgroup_processor_mode: 1
  - .args:
      - .offset:         0
        .size:           4
        .value_kind:     by_value
      - .actual_access:  read_only
        .address_space:  global
        .offset:         8
        .size:           8
        .value_kind:     global_buffer
      - .offset:         16
        .size:           8
        .value_kind:     by_value
      - .offset:         24
        .size:           8
        .value_kind:     by_value
      - .offset:         32
        .size:           8
        .value_kind:     by_value
      - .offset:         40
        .size:           4
        .value_kind:     by_value
      - .actual_access:  write_only
        .address_space:  global
        .offset:         48
        .size:           8
        .value_kind:     global_buffer
      - .actual_access:  write_only
        .address_space:  global
        .offset:         56
        .size:           8
        .value_kind:     global_buffer
      - .offset:         64
        .size:           4
        .value_kind:     hidden_block_count_x
      - .offset:         68
        .size:           4
        .value_kind:     hidden_block_count_y
      - .offset:         72
        .size:           4
        .value_kind:     hidden_block_count_z
      - .offset:         76
        .size:           2
        .value_kind:     hidden_group_size_x
      - .offset:         78
        .size:           2
        .value_kind:     hidden_group_size_y
      - .offset:         80
        .size:           2
        .value_kind:     hidden_group_size_z
      - .offset:         82
        .size:           2
        .value_kind:     hidden_remainder_x
      - .offset:         84
        .size:           2
        .value_kind:     hidden_remainder_y
      - .offset:         86
        .size:           2
        .value_kind:     hidden_remainder_z
      - .offset:         104
        .size:           8
        .value_kind:     hidden_global_offset_x
      - .offset:         112
        .size:           8
        .value_kind:     hidden_global_offset_y
      - .offset:         120
        .size:           8
        .value_kind:     hidden_global_offset_z
      - .offset:         128
        .size:           2
        .value_kind:     hidden_grid_dims
    .group_segment_fixed_size: 128
    .kernarg_segment_align: 8
    .kernarg_segment_size: 320
    .language:       OpenCL C
    .language_version:
      - 2
      - 0
    .max_flat_workgroup_size: 512
    .name:           _ZL24rocblas_dot_kernel_magsqIlLb0ELi512ELi8ELb1EDF16_PKDF16_fEviT5_lT_liPT6_PT4_
    .private_segment_fixed_size: 0
    .sgpr_count:     24
    .sgpr_spill_count: 0
    .symbol:         _ZL24rocblas_dot_kernel_magsqIlLb0ELi512ELi8ELb1EDF16_PKDF16_fEviT5_lT_liPT6_PT4_.kd
    .uniform_work_group_size: 1
    .uses_dynamic_stack: false
    .vgpr_count:     9
    .vgpr_spill_count: 0
    .wavefront_size: 32
    .workgroup_processor_mode: 1
  - .args:
      - .offset:         0
        .size:           4
        .value_kind:     by_value
      - .actual_access:  read_only
        .address_space:  global
        .offset:         8
        .size:           8
        .value_kind:     global_buffer
      - .offset:         16
        .size:           8
        .value_kind:     by_value
      - .offset:         24
        .size:           4
        .value_kind:     by_value
      - .offset:         32
        .size:           8
        .value_kind:     by_value
      - .actual_access:  read_only
        .address_space:  global
        .offset:         40
        .size:           8
        .value_kind:     global_buffer
      - .offset:         48
        .size:           8
        .value_kind:     by_value
      - .offset:         56
        .size:           4
        .value_kind:     by_value
      - .offset:         64
        .size:           8
        .value_kind:     by_value
      - .offset:         72
        .size:           4
        .value_kind:     by_value
      - .actual_access:  write_only
        .address_space:  global
        .offset:         80
        .size:           8
        .value_kind:     global_buffer
    .group_segment_fixed_size: 0
    .kernarg_segment_align: 8
    .kernarg_segment_size: 88
    .language:       OpenCL C
    .language_version:
      - 2
      - 0
    .max_flat_workgroup_size: 128
    .name:           _ZL28rocblas_dot_batched_4_kernelIiLi32ELi4ELb1EfDF16_PKPKDF16_EviT5_lT_lS4_lS5_liPT4_
    .private_segment_fixed_size: 0
    .sgpr_count:     18
    .sgpr_spill_count: 0
    .symbol:         _ZL28rocblas_dot_batched_4_kernelIiLi32ELi4ELb1EfDF16_PKPKDF16_EviT5_lT_lS4_lS5_liPT4_.kd
    .uniform_work_group_size: 1
    .uses_dynamic_stack: false
    .vgpr_count:     12
    .vgpr_spill_count: 0
    .wavefront_size: 32
    .workgroup_processor_mode: 1
  - .args:
      - .offset:         0
        .size:           4
        .value_kind:     by_value
      - .actual_access:  read_only
        .address_space:  global
        .offset:         8
        .size:           8
        .value_kind:     global_buffer
      - .offset:         16
        .size:           8
        .value_kind:     by_value
      - .offset:         24
        .size:           4
        .value_kind:     by_value
      - .offset:         32
        .size:           8
        .value_kind:     by_value
      - .actual_access:  read_only
        .address_space:  global
        .offset:         40
        .size:           8
        .value_kind:     global_buffer
      - .offset:         48
        .size:           8
        .value_kind:     by_value
      - .offset:         56
        .size:           4
        .value_kind:     by_value
      - .offset:         64
        .size:           8
        .value_kind:     by_value
      - .offset:         72
        .size:           4
        .value_kind:     by_value
      - .actual_access:  write_only
        .address_space:  global
        .offset:         80
        .size:           8
        .value_kind:     global_buffer
    .group_segment_fixed_size: 0
    .kernarg_segment_align: 8
    .kernarg_segment_size: 88
    .language:       OpenCL C
    .language_version:
      - 2
      - 0
    .max_flat_workgroup_size: 256
    .name:           _ZL28rocblas_dot_batched_4_kernelIiLi64ELi4ELb1EfDF16_PKPKDF16_EviT5_lT_lS4_lS5_liPT4_
    .private_segment_fixed_size: 0
    .sgpr_count:     18
    .sgpr_spill_count: 0
    .symbol:         _ZL28rocblas_dot_batched_4_kernelIiLi64ELi4ELb1EfDF16_PKPKDF16_EviT5_lT_lS4_lS5_liPT4_.kd
    .uniform_work_group_size: 1
    .uses_dynamic_stack: false
    .vgpr_count:     12
    .vgpr_spill_count: 0
    .wavefront_size: 32
    .workgroup_processor_mode: 1
  - .args:
      - .offset:         0
        .size:           4
        .value_kind:     by_value
      - .actual_access:  read_only
        .address_space:  global
        .offset:         8
        .size:           8
        .value_kind:     global_buffer
      - .offset:         16
        .size:           8
        .value_kind:     by_value
      - .offset:         24
        .size:           8
        .value_kind:     by_value
      - .actual_access:  read_only
        .address_space:  global
        .offset:         32
        .size:           8
        .value_kind:     global_buffer
      - .offset:         40
        .size:           8
        .value_kind:     by_value
      - .offset:         48
        .size:           8
        .value_kind:     by_value
      - .offset:         56
        .size:           4
        .value_kind:     by_value
      - .actual_access:  read_only
        .address_space:  global
        .offset:         64
        .size:           8
        .value_kind:     global_buffer
      - .actual_access:  write_only
        .address_space:  global
        .offset:         72
        .size:           8
        .value_kind:     global_buffer
    .group_segment_fixed_size: 128
    .kernarg_segment_align: 8
    .kernarg_segment_size: 80
    .language:       OpenCL C
    .language_version:
      - 2
      - 0
    .max_flat_workgroup_size: 1024
    .name:           _ZL26rocblas_dot_kernel_inc1by2ILb1ELi1024ELi32ELb1EDF16_PKPKDF16_fEviT4_llS4_lliPT5_PT3_
    .private_segment_fixed_size: 0
    .sgpr_count:     21
    .sgpr_spill_count: 0
    .symbol:         _ZL26rocblas_dot_kernel_inc1by2ILb1ELi1024ELi32ELb1EDF16_PKPKDF16_fEviT4_llS4_lliPT5_PT3_.kd
    .uniform_work_group_size: 1
    .uses_dynamic_stack: false
    .vgpr_count:     10
    .vgpr_spill_count: 0
    .wavefront_size: 32
    .workgroup_processor_mode: 1
  - .args:
      - .offset:         0
        .size:           4
        .value_kind:     by_value
      - .actual_access:  read_only
        .address_space:  global
        .offset:         8
        .size:           8
        .value_kind:     global_buffer
      - .offset:         16
        .size:           8
        .value_kind:     by_value
      - .offset:         24
        .size:           4
        .value_kind:     by_value
      - .offset:         32
        .size:           8
        .value_kind:     by_value
      - .actual_access:  read_only
        .address_space:  global
        .offset:         40
        .size:           8
        .value_kind:     global_buffer
      - .offset:         48
        .size:           8
        .value_kind:     by_value
      - .offset:         56
        .size:           4
        .value_kind:     by_value
      - .offset:         64
        .size:           8
        .value_kind:     by_value
      - .offset:         72
        .size:           4
        .value_kind:     by_value
      - .actual_access:  read_only
        .address_space:  global
        .offset:         80
        .size:           8
        .value_kind:     global_buffer
      - .actual_access:  write_only
        .address_space:  global
        .offset:         88
        .size:           8
        .value_kind:     global_buffer
      - .offset:         96
        .size:           4
        .value_kind:     hidden_block_count_x
      - .offset:         100
        .size:           4
        .value_kind:     hidden_block_count_y
      - .offset:         104
        .size:           4
        .value_kind:     hidden_block_count_z
      - .offset:         108
        .size:           2
        .value_kind:     hidden_group_size_x
      - .offset:         110
        .size:           2
        .value_kind:     hidden_group_size_y
      - .offset:         112
        .size:           2
        .value_kind:     hidden_group_size_z
      - .offset:         114
        .size:           2
        .value_kind:     hidden_remainder_x
      - .offset:         116
        .size:           2
        .value_kind:     hidden_remainder_y
      - .offset:         118
        .size:           2
        .value_kind:     hidden_remainder_z
      - .offset:         136
        .size:           8
        .value_kind:     hidden_global_offset_x
      - .offset:         144
        .size:           8
        .value_kind:     hidden_global_offset_y
      - .offset:         152
        .size:           8
        .value_kind:     hidden_global_offset_z
      - .offset:         160
        .size:           2
        .value_kind:     hidden_grid_dims
    .group_segment_fixed_size: 128
    .kernarg_segment_align: 8
    .kernarg_segment_size: 352
    .language:       OpenCL C
    .language_version:
      - 2
      - 0
    .max_flat_workgroup_size: 1024
    .name:           _ZL18rocblas_dot_kernelIiLb1ELi1024ELi32ELb1EDF16_PKPKDF16_fEviT5_lT_lS4_lS5_liPT6_PT4_
    .private_segment_fixed_size: 0
    .sgpr_count:     23
    .sgpr_spill_count: 0
    .symbol:         _ZL18rocblas_dot_kernelIiLb1ELi1024ELi32ELb1EDF16_PKPKDF16_fEviT5_lT_lS4_lS5_liPT6_PT4_.kd
    .uniform_work_group_size: 1
    .uses_dynamic_stack: false
    .vgpr_count:     10
    .vgpr_spill_count: 0
    .wavefront_size: 32
    .workgroup_processor_mode: 1
  - .args:
      - .offset:         0
        .size:           4
        .value_kind:     by_value
      - .actual_access:  read_only
        .address_space:  global
        .offset:         8
        .size:           8
        .value_kind:     global_buffer
      - .offset:         16
        .size:           8
        .value_kind:     by_value
      - .offset:         24
        .size:           4
        .value_kind:     by_value
      - .offset:         32
        .size:           8
        .value_kind:     by_value
      - .offset:         40
        .size:           4
        .value_kind:     by_value
      - .actual_access:  read_only
        .address_space:  global
        .offset:         48
        .size:           8
        .value_kind:     global_buffer
      - .actual_access:  write_only
        .address_space:  global
        .offset:         56
        .size:           8
        .value_kind:     global_buffer
      - .offset:         64
        .size:           4
        .value_kind:     hidden_block_count_x
      - .offset:         68
        .size:           4
        .value_kind:     hidden_block_count_y
      - .offset:         72
        .size:           4
        .value_kind:     hidden_block_count_z
      - .offset:         76
        .size:           2
        .value_kind:     hidden_group_size_x
      - .offset:         78
        .size:           2
        .value_kind:     hidden_group_size_y
      - .offset:         80
        .size:           2
        .value_kind:     hidden_group_size_z
      - .offset:         82
        .size:           2
        .value_kind:     hidden_remainder_x
      - .offset:         84
        .size:           2
        .value_kind:     hidden_remainder_y
      - .offset:         86
        .size:           2
        .value_kind:     hidden_remainder_z
      - .offset:         104
        .size:           8
        .value_kind:     hidden_global_offset_x
      - .offset:         112
        .size:           8
        .value_kind:     hidden_global_offset_y
      - .offset:         120
        .size:           8
        .value_kind:     hidden_global_offset_z
      - .offset:         128
        .size:           2
        .value_kind:     hidden_grid_dims
    .group_segment_fixed_size: 128
    .kernarg_segment_align: 8
    .kernarg_segment_size: 320
    .language:       OpenCL C
    .language_version:
      - 2
      - 0
    .max_flat_workgroup_size: 1024
    .name:           _ZL24rocblas_dot_kernel_magsqIiLb1ELi1024ELi32ELb1EDF16_PKPKDF16_fEviT5_lT_liPT6_PT4_
    .private_segment_fixed_size: 0
    .sgpr_count:     19
    .sgpr_spill_count: 0
    .symbol:         _ZL24rocblas_dot_kernel_magsqIiLb1ELi1024ELi32ELb1EDF16_PKPKDF16_fEviT5_lT_liPT6_PT4_.kd
    .uniform_work_group_size: 1
    .uses_dynamic_stack: false
    .vgpr_count:     10
    .vgpr_spill_count: 0
    .wavefront_size: 32
    .workgroup_processor_mode: 1
  - .args:
      - .offset:         0
        .size:           4
        .value_kind:     by_value
      - .actual_access:  read_only
        .address_space:  global
        .offset:         8
        .size:           8
        .value_kind:     global_buffer
      - .offset:         16
        .size:           8
        .value_kind:     by_value
      - .offset:         24
        .size:           8
        .value_kind:     by_value
      - .actual_access:  read_only
        .address_space:  global
        .offset:         32
        .size:           8
        .value_kind:     global_buffer
      - .offset:         40
        .size:           8
        .value_kind:     by_value
      - .offset:         48
        .size:           8
        .value_kind:     by_value
      - .offset:         56
        .size:           4
        .value_kind:     by_value
      - .actual_access:  write_only
        .address_space:  global
        .offset:         64
        .size:           8
        .value_kind:     global_buffer
      - .actual_access:  write_only
        .address_space:  global
        .offset:         72
        .size:           8
        .value_kind:     global_buffer
      - .offset:         80
        .size:           4
        .value_kind:     hidden_block_count_x
      - .offset:         84
        .size:           4
        .value_kind:     hidden_block_count_y
      - .offset:         88
        .size:           4
        .value_kind:     hidden_block_count_z
      - .offset:         92
        .size:           2
        .value_kind:     hidden_group_size_x
      - .offset:         94
        .size:           2
        .value_kind:     hidden_group_size_y
      - .offset:         96
        .size:           2
        .value_kind:     hidden_group_size_z
      - .offset:         98
        .size:           2
        .value_kind:     hidden_remainder_x
      - .offset:         100
        .size:           2
        .value_kind:     hidden_remainder_y
      - .offset:         102
        .size:           2
        .value_kind:     hidden_remainder_z
      - .offset:         120
        .size:           8
        .value_kind:     hidden_global_offset_x
      - .offset:         128
        .size:           8
        .value_kind:     hidden_global_offset_y
      - .offset:         136
        .size:           8
        .value_kind:     hidden_global_offset_z
      - .offset:         144
        .size:           2
        .value_kind:     hidden_grid_dims
    .group_segment_fixed_size: 128
    .kernarg_segment_align: 8
    .kernarg_segment_size: 336
    .language:       OpenCL C
    .language_version:
      - 2
      - 0
    .max_flat_workgroup_size: 512
    .name:           _ZL23rocblas_dot_kernel_inc1ILb0ELi512ELi8ELb1EDF16_PKPKDF16_fEviT4_llS4_lliPT5_PT3_
    .private_segment_fixed_size: 0
    .sgpr_count:     26
    .sgpr_spill_count: 0
    .symbol:         _ZL23rocblas_dot_kernel_inc1ILb0ELi512ELi8ELb1EDF16_PKPKDF16_fEviT4_llS4_lliPT5_PT3_.kd
    .uniform_work_group_size: 1
    .uses_dynamic_stack: false
    .vgpr_count:     10
    .vgpr_spill_count: 0
    .wavefront_size: 32
    .workgroup_processor_mode: 1
  - .args:
      - .offset:         0
        .size:           4
        .value_kind:     by_value
      - .actual_access:  read_only
        .address_space:  global
        .offset:         8
        .size:           8
        .value_kind:     global_buffer
      - .offset:         16
        .size:           8
        .value_kind:     by_value
      - .offset:         24
        .size:           4
        .value_kind:     by_value
      - .offset:         32
        .size:           8
        .value_kind:     by_value
      - .actual_access:  read_only
        .address_space:  global
        .offset:         40
        .size:           8
        .value_kind:     global_buffer
      - .offset:         48
        .size:           8
        .value_kind:     by_value
      - .offset:         56
        .size:           4
        .value_kind:     by_value
      - .offset:         64
        .size:           8
        .value_kind:     by_value
      - .offset:         72
        .size:           4
        .value_kind:     by_value
      - .actual_access:  write_only
        .address_space:  global
        .offset:         80
        .size:           8
        .value_kind:     global_buffer
      - .actual_access:  write_only
        .address_space:  global
        .offset:         88
        .size:           8
        .value_kind:     global_buffer
      - .offset:         96
        .size:           4
        .value_kind:     hidden_block_count_x
      - .offset:         100
        .size:           4
        .value_kind:     hidden_block_count_y
      - .offset:         104
        .size:           4
        .value_kind:     hidden_block_count_z
      - .offset:         108
        .size:           2
        .value_kind:     hidden_group_size_x
      - .offset:         110
        .size:           2
        .value_kind:     hidden_group_size_y
      - .offset:         112
        .size:           2
        .value_kind:     hidden_group_size_z
      - .offset:         114
        .size:           2
        .value_kind:     hidden_remainder_x
      - .offset:         116
        .size:           2
        .value_kind:     hidden_remainder_y
      - .offset:         118
        .size:           2
        .value_kind:     hidden_remainder_z
      - .offset:         136
        .size:           8
        .value_kind:     hidden_global_offset_x
      - .offset:         144
        .size:           8
        .value_kind:     hidden_global_offset_y
      - .offset:         152
        .size:           8
        .value_kind:     hidden_global_offset_z
      - .offset:         160
        .size:           2
        .value_kind:     hidden_grid_dims
    .group_segment_fixed_size: 128
    .kernarg_segment_align: 8
    .kernarg_segment_size: 352
    .language:       OpenCL C
    .language_version:
      - 2
      - 0
    .max_flat_workgroup_size: 512
    .name:           _ZL18rocblas_dot_kernelIiLb0ELi512ELi8ELb1EDF16_PKPKDF16_fEviT5_lT_lS4_lS5_liPT6_PT4_
    .private_segment_fixed_size: 0
    .sgpr_count:     27
    .sgpr_spill_count: 0
    .symbol:         _ZL18rocblas_dot_kernelIiLb0ELi512ELi8ELb1EDF16_PKPKDF16_fEviT5_lT_lS4_lS5_liPT6_PT4_.kd
    .uniform_work_group_size: 1
    .uses_dynamic_stack: false
    .vgpr_count:     9
    .vgpr_spill_count: 0
    .wavefront_size: 32
    .workgroup_processor_mode: 1
  - .args:
      - .offset:         0
        .size:           4
        .value_kind:     by_value
      - .actual_access:  read_only
        .address_space:  global
        .offset:         8
        .size:           8
        .value_kind:     global_buffer
      - .offset:         16
        .size:           8
        .value_kind:     by_value
      - .offset:         24
        .size:           4
        .value_kind:     by_value
      - .offset:         32
        .size:           8
        .value_kind:     by_value
      - .offset:         40
        .size:           4
        .value_kind:     by_value
      - .actual_access:  write_only
        .address_space:  global
        .offset:         48
        .size:           8
        .value_kind:     global_buffer
      - .actual_access:  write_only
        .address_space:  global
        .offset:         56
        .size:           8
        .value_kind:     global_buffer
      - .offset:         64
        .size:           4
        .value_kind:     hidden_block_count_x
      - .offset:         68
        .size:           4
        .value_kind:     hidden_block_count_y
      - .offset:         72
        .size:           4
        .value_kind:     hidden_block_count_z
      - .offset:         76
        .size:           2
        .value_kind:     hidden_group_size_x
      - .offset:         78
        .size:           2
        .value_kind:     hidden_group_size_y
      - .offset:         80
        .size:           2
        .value_kind:     hidden_group_size_z
      - .offset:         82
        .size:           2
        .value_kind:     hidden_remainder_x
      - .offset:         84
        .size:           2
        .value_kind:     hidden_remainder_y
      - .offset:         86
        .size:           2
        .value_kind:     hidden_remainder_z
      - .offset:         104
        .size:           8
        .value_kind:     hidden_global_offset_x
      - .offset:         112
        .size:           8
        .value_kind:     hidden_global_offset_y
      - .offset:         120
        .size:           8
        .value_kind:     hidden_global_offset_z
      - .offset:         128
        .size:           2
        .value_kind:     hidden_grid_dims
    .group_segment_fixed_size: 128
    .kernarg_segment_align: 8
    .kernarg_segment_size: 320
    .language:       OpenCL C
    .language_version:
      - 2
      - 0
    .max_flat_workgroup_size: 512
    .name:           _ZL24rocblas_dot_kernel_magsqIiLb0ELi512ELi8ELb1EDF16_PKPKDF16_fEviT5_lT_liPT6_PT4_
    .private_segment_fixed_size: 0
    .sgpr_count:     22
    .sgpr_spill_count: 0
    .symbol:         _ZL24rocblas_dot_kernel_magsqIiLb0ELi512ELi8ELb1EDF16_PKPKDF16_fEviT5_lT_liPT6_PT4_.kd
    .uniform_work_group_size: 1
    .uses_dynamic_stack: false
    .vgpr_count:     9
    .vgpr_spill_count: 0
    .wavefront_size: 32
    .workgroup_processor_mode: 1
  - .args:
      - .offset:         0
        .size:           4
        .value_kind:     by_value
      - .actual_access:  read_only
        .address_space:  global
        .offset:         8
        .size:           8
        .value_kind:     global_buffer
      - .offset:         16
        .size:           8
        .value_kind:     by_value
      - .offset:         24
        .size:           4
        .value_kind:     by_value
      - .offset:         32
        .size:           8
        .value_kind:     by_value
      - .actual_access:  read_only
        .address_space:  global
        .offset:         40
        .size:           8
        .value_kind:     global_buffer
      - .offset:         48
        .size:           8
        .value_kind:     by_value
      - .offset:         56
        .size:           4
        .value_kind:     by_value
      - .offset:         64
        .size:           8
        .value_kind:     by_value
      - .offset:         72
        .size:           4
        .value_kind:     by_value
      - .actual_access:  write_only
        .address_space:  global
        .offset:         80
        .size:           8
        .value_kind:     global_buffer
    .group_segment_fixed_size: 0
    .kernarg_segment_align: 8
    .kernarg_segment_size: 88
    .language:       OpenCL C
    .language_version:
      - 2
      - 0
    .max_flat_workgroup_size: 128
    .name:           _ZL28rocblas_dot_batched_4_kernelIiLi32ELi4ELb1EffPKPKDF16_EviT5_lT_lS4_lS5_liPT4_
    .private_segment_fixed_size: 0
    .sgpr_count:     18
    .sgpr_spill_count: 0
    .symbol:         _ZL28rocblas_dot_batched_4_kernelIiLi32ELi4ELb1EffPKPKDF16_EviT5_lT_lS4_lS5_liPT4_.kd
    .uniform_work_group_size: 1
    .uses_dynamic_stack: false
    .vgpr_count:     12
    .vgpr_spill_count: 0
    .wavefront_size: 32
    .workgroup_processor_mode: 1
  - .args:
      - .offset:         0
        .size:           4
        .value_kind:     by_value
      - .actual_access:  read_only
        .address_space:  global
        .offset:         8
        .size:           8
        .value_kind:     global_buffer
      - .offset:         16
        .size:           8
        .value_kind:     by_value
      - .offset:         24
        .size:           4
        .value_kind:     by_value
      - .offset:         32
        .size:           8
        .value_kind:     by_value
      - .actual_access:  read_only
        .address_space:  global
        .offset:         40
        .size:           8
        .value_kind:     global_buffer
      - .offset:         48
        .size:           8
        .value_kind:     by_value
      - .offset:         56
        .size:           4
        .value_kind:     by_value
      - .offset:         64
        .size:           8
        .value_kind:     by_value
      - .offset:         72
        .size:           4
        .value_kind:     by_value
      - .actual_access:  write_only
        .address_space:  global
        .offset:         80
        .size:           8
        .value_kind:     global_buffer
    .group_segment_fixed_size: 0
    .kernarg_segment_align: 8
    .kernarg_segment_size: 88
    .language:       OpenCL C
    .language_version:
      - 2
      - 0
    .max_flat_workgroup_size: 256
    .name:           _ZL28rocblas_dot_batched_4_kernelIiLi64ELi4ELb1EffPKPKDF16_EviT5_lT_lS4_lS5_liPT4_
    .private_segment_fixed_size: 0
    .sgpr_count:     18
    .sgpr_spill_count: 0
    .symbol:         _ZL28rocblas_dot_batched_4_kernelIiLi64ELi4ELb1EffPKPKDF16_EviT5_lT_lS4_lS5_liPT4_.kd
    .uniform_work_group_size: 1
    .uses_dynamic_stack: false
    .vgpr_count:     12
    .vgpr_spill_count: 0
    .wavefront_size: 32
    .workgroup_processor_mode: 1
  - .args:
      - .offset:         0
        .size:           4
        .value_kind:     by_value
      - .actual_access:  read_only
        .address_space:  global
        .offset:         8
        .size:           8
        .value_kind:     global_buffer
      - .offset:         16
        .size:           8
        .value_kind:     by_value
      - .offset:         24
        .size:           4
        .value_kind:     by_value
      - .offset:         32
        .size:           8
        .value_kind:     by_value
      - .actual_access:  read_only
        .address_space:  global
        .offset:         40
        .size:           8
        .value_kind:     global_buffer
      - .offset:         48
        .size:           8
        .value_kind:     by_value
      - .offset:         56
        .size:           4
        .value_kind:     by_value
      - .offset:         64
        .size:           8
        .value_kind:     by_value
      - .offset:         72
        .size:           4
        .value_kind:     by_value
      - .actual_access:  read_only
        .address_space:  global
        .offset:         80
        .size:           8
        .value_kind:     global_buffer
      - .actual_access:  write_only
        .address_space:  global
        .offset:         88
        .size:           8
        .value_kind:     global_buffer
      - .offset:         96
        .size:           4
        .value_kind:     hidden_block_count_x
      - .offset:         100
        .size:           4
        .value_kind:     hidden_block_count_y
      - .offset:         104
        .size:           4
        .value_kind:     hidden_block_count_z
      - .offset:         108
        .size:           2
        .value_kind:     hidden_group_size_x
      - .offset:         110
        .size:           2
        .value_kind:     hidden_group_size_y
      - .offset:         112
        .size:           2
        .value_kind:     hidden_group_size_z
      - .offset:         114
        .size:           2
        .value_kind:     hidden_remainder_x
      - .offset:         116
        .size:           2
        .value_kind:     hidden_remainder_y
      - .offset:         118
        .size:           2
        .value_kind:     hidden_remainder_z
      - .offset:         136
        .size:           8
        .value_kind:     hidden_global_offset_x
      - .offset:         144
        .size:           8
        .value_kind:     hidden_global_offset_y
      - .offset:         152
        .size:           8
        .value_kind:     hidden_global_offset_z
      - .offset:         160
        .size:           2
        .value_kind:     hidden_grid_dims
    .group_segment_fixed_size: 128
    .kernarg_segment_align: 8
    .kernarg_segment_size: 352
    .language:       OpenCL C
    .language_version:
      - 2
      - 0
    .max_flat_workgroup_size: 1024
    .name:           _ZL18rocblas_dot_kernelIiLb1ELi1024ELi32ELb1EfPKPKDF16_fEviT5_lT_lS4_lS5_liPT6_PT4_
    .private_segment_fixed_size: 0
    .sgpr_count:     23
    .sgpr_spill_count: 0
    .symbol:         _ZL18rocblas_dot_kernelIiLb1ELi1024ELi32ELb1EfPKPKDF16_fEviT5_lT_lS4_lS5_liPT6_PT4_.kd
    .uniform_work_group_size: 1
    .uses_dynamic_stack: false
    .vgpr_count:     10
    .vgpr_spill_count: 0
    .wavefront_size: 32
    .workgroup_processor_mode: 1
  - .args:
      - .offset:         0
        .size:           4
        .value_kind:     by_value
      - .actual_access:  read_only
        .address_space:  global
        .offset:         8
        .size:           8
        .value_kind:     global_buffer
      - .offset:         16
        .size:           8
        .value_kind:     by_value
      - .offset:         24
        .size:           4
        .value_kind:     by_value
      - .offset:         32
        .size:           8
        .value_kind:     by_value
      - .offset:         40
        .size:           4
        .value_kind:     by_value
      - .actual_access:  read_only
        .address_space:  global
        .offset:         48
        .size:           8
        .value_kind:     global_buffer
      - .actual_access:  write_only
        .address_space:  global
        .offset:         56
        .size:           8
        .value_kind:     global_buffer
      - .offset:         64
        .size:           4
        .value_kind:     hidden_block_count_x
      - .offset:         68
        .size:           4
        .value_kind:     hidden_block_count_y
      - .offset:         72
        .size:           4
        .value_kind:     hidden_block_count_z
      - .offset:         76
        .size:           2
        .value_kind:     hidden_group_size_x
      - .offset:         78
        .size:           2
        .value_kind:     hidden_group_size_y
      - .offset:         80
        .size:           2
        .value_kind:     hidden_group_size_z
      - .offset:         82
        .size:           2
        .value_kind:     hidden_remainder_x
      - .offset:         84
        .size:           2
        .value_kind:     hidden_remainder_y
      - .offset:         86
        .size:           2
        .value_kind:     hidden_remainder_z
      - .offset:         104
        .size:           8
        .value_kind:     hidden_global_offset_x
      - .offset:         112
        .size:           8
        .value_kind:     hidden_global_offset_y
      - .offset:         120
        .size:           8
        .value_kind:     hidden_global_offset_z
      - .offset:         128
        .size:           2
        .value_kind:     hidden_grid_dims
    .group_segment_fixed_size: 128
    .kernarg_segment_align: 8
    .kernarg_segment_size: 320
    .language:       OpenCL C
    .language_version:
      - 2
      - 0
    .max_flat_workgroup_size: 1024
    .name:           _ZL24rocblas_dot_kernel_magsqIiLb1ELi1024ELi32ELb1EfPKPKDF16_fEviT5_lT_liPT6_PT4_
    .private_segment_fixed_size: 0
    .sgpr_count:     19
    .sgpr_spill_count: 0
    .symbol:         _ZL24rocblas_dot_kernel_magsqIiLb1ELi1024ELi32ELb1EfPKPKDF16_fEviT5_lT_liPT6_PT4_.kd
    .uniform_work_group_size: 1
    .uses_dynamic_stack: false
    .vgpr_count:     10
    .vgpr_spill_count: 0
    .wavefront_size: 32
    .workgroup_processor_mode: 1
  - .args:
      - .offset:         0
        .size:           4
        .value_kind:     by_value
      - .actual_access:  read_only
        .address_space:  global
        .offset:         8
        .size:           8
        .value_kind:     global_buffer
      - .offset:         16
        .size:           8
        .value_kind:     by_value
      - .offset:         24
        .size:           4
        .value_kind:     by_value
      - .offset:         32
        .size:           8
        .value_kind:     by_value
      - .actual_access:  read_only
        .address_space:  global
        .offset:         40
        .size:           8
        .value_kind:     global_buffer
      - .offset:         48
        .size:           8
        .value_kind:     by_value
      - .offset:         56
        .size:           4
        .value_kind:     by_value
      - .offset:         64
        .size:           8
        .value_kind:     by_value
      - .offset:         72
        .size:           4
        .value_kind:     by_value
      - .actual_access:  write_only
        .address_space:  global
        .offset:         80
        .size:           8
        .value_kind:     global_buffer
      - .actual_access:  write_only
        .address_space:  global
        .offset:         88
        .size:           8
        .value_kind:     global_buffer
      - .offset:         96
        .size:           4
        .value_kind:     hidden_block_count_x
      - .offset:         100
        .size:           4
        .value_kind:     hidden_block_count_y
      - .offset:         104
        .size:           4
        .value_kind:     hidden_block_count_z
      - .offset:         108
        .size:           2
        .value_kind:     hidden_group_size_x
      - .offset:         110
        .size:           2
        .value_kind:     hidden_group_size_y
      - .offset:         112
        .size:           2
        .value_kind:     hidden_group_size_z
      - .offset:         114
        .size:           2
        .value_kind:     hidden_remainder_x
      - .offset:         116
        .size:           2
        .value_kind:     hidden_remainder_y
      - .offset:         118
        .size:           2
        .value_kind:     hidden_remainder_z
      - .offset:         136
        .size:           8
        .value_kind:     hidden_global_offset_x
      - .offset:         144
        .size:           8
        .value_kind:     hidden_global_offset_y
      - .offset:         152
        .size:           8
        .value_kind:     hidden_global_offset_z
      - .offset:         160
        .size:           2
        .value_kind:     hidden_grid_dims
    .group_segment_fixed_size: 128
    .kernarg_segment_align: 8
    .kernarg_segment_size: 352
    .language:       OpenCL C
    .language_version:
      - 2
      - 0
    .max_flat_workgroup_size: 512
    .name:           _ZL18rocblas_dot_kernelIiLb0ELi512ELi4ELb1EfPKPKDF16_fEviT5_lT_lS4_lS5_liPT6_PT4_
    .private_segment_fixed_size: 0
    .sgpr_count:     27
    .sgpr_spill_count: 0
    .symbol:         _ZL18rocblas_dot_kernelIiLb0ELi512ELi4ELb1EfPKPKDF16_fEviT5_lT_lS4_lS5_liPT6_PT4_.kd
    .uniform_work_group_size: 1
    .uses_dynamic_stack: false
    .vgpr_count:     9
    .vgpr_spill_count: 0
    .wavefront_size: 32
    .workgroup_processor_mode: 1
  - .args:
      - .offset:         0
        .size:           4
        .value_kind:     by_value
      - .actual_access:  read_only
        .address_space:  global
        .offset:         8
        .size:           8
        .value_kind:     global_buffer
      - .offset:         16
        .size:           8
        .value_kind:     by_value
      - .offset:         24
        .size:           4
        .value_kind:     by_value
      - .offset:         32
        .size:           8
        .value_kind:     by_value
      - .offset:         40
        .size:           4
        .value_kind:     by_value
      - .actual_access:  write_only
        .address_space:  global
        .offset:         48
        .size:           8
        .value_kind:     global_buffer
      - .actual_access:  write_only
        .address_space:  global
        .offset:         56
        .size:           8
        .value_kind:     global_buffer
      - .offset:         64
        .size:           4
        .value_kind:     hidden_block_count_x
      - .offset:         68
        .size:           4
        .value_kind:     hidden_block_count_y
      - .offset:         72
        .size:           4
        .value_kind:     hidden_block_count_z
      - .offset:         76
        .size:           2
        .value_kind:     hidden_group_size_x
      - .offset:         78
        .size:           2
        .value_kind:     hidden_group_size_y
      - .offset:         80
        .size:           2
        .value_kind:     hidden_group_size_z
      - .offset:         82
        .size:           2
        .value_kind:     hidden_remainder_x
      - .offset:         84
        .size:           2
        .value_kind:     hidden_remainder_y
      - .offset:         86
        .size:           2
        .value_kind:     hidden_remainder_z
      - .offset:         104
        .size:           8
        .value_kind:     hidden_global_offset_x
      - .offset:         112
        .size:           8
        .value_kind:     hidden_global_offset_y
      - .offset:         120
        .size:           8
        .value_kind:     hidden_global_offset_z
      - .offset:         128
        .size:           2
        .value_kind:     hidden_grid_dims
    .group_segment_fixed_size: 128
    .kernarg_segment_align: 8
    .kernarg_segment_size: 320
    .language:       OpenCL C
    .language_version:
      - 2
      - 0
    .max_flat_workgroup_size: 512
    .name:           _ZL24rocblas_dot_kernel_magsqIiLb0ELi512ELi4ELb1EfPKPKDF16_fEviT5_lT_liPT6_PT4_
    .private_segment_fixed_size: 0
    .sgpr_count:     22
    .sgpr_spill_count: 0
    .symbol:         _ZL24rocblas_dot_kernel_magsqIiLb0ELi512ELi4ELb1EfPKPKDF16_fEviT5_lT_liPT6_PT4_.kd
    .uniform_work_group_size: 1
    .uses_dynamic_stack: false
    .vgpr_count:     9
    .vgpr_spill_count: 0
    .wavefront_size: 32
    .workgroup_processor_mode: 1
  - .args:
      - .offset:         0
        .size:           4
        .value_kind:     by_value
      - .actual_access:  read_only
        .address_space:  global
        .offset:         8
        .size:           8
        .value_kind:     global_buffer
      - .offset:         16
        .size:           8
        .value_kind:     by_value
      - .offset:         24
        .size:           8
        .value_kind:     by_value
      - .offset:         32
        .size:           8
        .value_kind:     by_value
      - .actual_access:  read_only
        .address_space:  global
        .offset:         40
        .size:           8
        .value_kind:     global_buffer
      - .offset:         48
        .size:           8
        .value_kind:     by_value
      - .offset:         56
        .size:           8
        .value_kind:     by_value
      - .offset:         64
        .size:           8
        .value_kind:     by_value
      - .offset:         72
        .size:           4
        .value_kind:     by_value
      - .actual_access:  write_only
        .address_space:  global
        .offset:         80
        .size:           8
        .value_kind:     global_buffer
    .group_segment_fixed_size: 0
    .kernarg_segment_align: 8
    .kernarg_segment_size: 88
    .language:       OpenCL C
    .language_version:
      - 2
      - 0
    .max_flat_workgroup_size: 128
    .name:           _ZL28rocblas_dot_batched_4_kernelIlLi32ELi4ELb1EfDF16_PKPKDF16_EviT5_lT_lS4_lS5_liPT4_
    .private_segment_fixed_size: 0
    .sgpr_count:     18
    .sgpr_spill_count: 0
    .symbol:         _ZL28rocblas_dot_batched_4_kernelIlLi32ELi4ELb1EfDF16_PKPKDF16_EviT5_lT_lS4_lS5_liPT4_.kd
    .uniform_work_group_size: 1
    .uses_dynamic_stack: false
    .vgpr_count:     14
    .vgpr_spill_count: 0
    .wavefront_size: 32
    .workgroup_processor_mode: 1
  - .args:
      - .offset:         0
        .size:           4
        .value_kind:     by_value
      - .actual_access:  read_only
        .address_space:  global
        .offset:         8
        .size:           8
        .value_kind:     global_buffer
      - .offset:         16
        .size:           8
        .value_kind:     by_value
      - .offset:         24
        .size:           8
        .value_kind:     by_value
      - .offset:         32
        .size:           8
        .value_kind:     by_value
      - .actual_access:  read_only
        .address_space:  global
        .offset:         40
        .size:           8
        .value_kind:     global_buffer
      - .offset:         48
        .size:           8
        .value_kind:     by_value
      - .offset:         56
        .size:           8
        .value_kind:     by_value
      - .offset:         64
        .size:           8
        .value_kind:     by_value
      - .offset:         72
        .size:           4
        .value_kind:     by_value
      - .actual_access:  write_only
        .address_space:  global
        .offset:         80
        .size:           8
        .value_kind:     global_buffer
    .group_segment_fixed_size: 0
    .kernarg_segment_align: 8
    .kernarg_segment_size: 88
    .language:       OpenCL C
    .language_version:
      - 2
      - 0
    .max_flat_workgroup_size: 256
    .name:           _ZL28rocblas_dot_batched_4_kernelIlLi64ELi4ELb1EfDF16_PKPKDF16_EviT5_lT_lS4_lS5_liPT4_
    .private_segment_fixed_size: 0
    .sgpr_count:     18
    .sgpr_spill_count: 0
    .symbol:         _ZL28rocblas_dot_batched_4_kernelIlLi64ELi4ELb1EfDF16_PKPKDF16_EviT5_lT_lS4_lS5_liPT4_.kd
    .uniform_work_group_size: 1
    .uses_dynamic_stack: false
    .vgpr_count:     14
    .vgpr_spill_count: 0
    .wavefront_size: 32
    .workgroup_processor_mode: 1
  - .args:
      - .offset:         0
        .size:           4
        .value_kind:     by_value
      - .actual_access:  read_only
        .address_space:  global
        .offset:         8
        .size:           8
        .value_kind:     global_buffer
      - .offset:         16
        .size:           8
        .value_kind:     by_value
      - .offset:         24
        .size:           8
        .value_kind:     by_value
      - .offset:         32
        .size:           8
        .value_kind:     by_value
      - .actual_access:  read_only
        .address_space:  global
        .offset:         40
        .size:           8
        .value_kind:     global_buffer
      - .offset:         48
        .size:           8
        .value_kind:     by_value
      - .offset:         56
        .size:           8
        .value_kind:     by_value
      - .offset:         64
        .size:           8
        .value_kind:     by_value
      - .offset:         72
        .size:           4
        .value_kind:     by_value
      - .actual_access:  read_only
        .address_space:  global
        .offset:         80
        .size:           8
        .value_kind:     global_buffer
      - .actual_access:  write_only
        .address_space:  global
        .offset:         88
        .size:           8
        .value_kind:     global_buffer
      - .offset:         96
        .size:           4
        .value_kind:     hidden_block_count_x
      - .offset:         100
        .size:           4
        .value_kind:     hidden_block_count_y
      - .offset:         104
        .size:           4
        .value_kind:     hidden_block_count_z
      - .offset:         108
        .size:           2
        .value_kind:     hidden_group_size_x
      - .offset:         110
        .size:           2
        .value_kind:     hidden_group_size_y
      - .offset:         112
        .size:           2
        .value_kind:     hidden_group_size_z
      - .offset:         114
        .size:           2
        .value_kind:     hidden_remainder_x
      - .offset:         116
        .size:           2
        .value_kind:     hidden_remainder_y
      - .offset:         118
        .size:           2
        .value_kind:     hidden_remainder_z
      - .offset:         136
        .size:           8
        .value_kind:     hidden_global_offset_x
      - .offset:         144
        .size:           8
        .value_kind:     hidden_global_offset_y
      - .offset:         152
        .size:           8
        .value_kind:     hidden_global_offset_z
      - .offset:         160
        .size:           2
        .value_kind:     hidden_grid_dims
    .group_segment_fixed_size: 128
    .kernarg_segment_align: 8
    .kernarg_segment_size: 352
    .language:       OpenCL C
    .language_version:
      - 2
      - 0
    .max_flat_workgroup_size: 1024
    .name:           _ZL18rocblas_dot_kernelIlLb1ELi1024ELi32ELb1EDF16_PKPKDF16_fEviT5_lT_lS4_lS5_liPT6_PT4_
    .private_segment_fixed_size: 0
    .sgpr_count:     27
    .sgpr_spill_count: 0
    .symbol:         _ZL18rocblas_dot_kernelIlLb1ELi1024ELi32ELb1EDF16_PKPKDF16_fEviT5_lT_lS4_lS5_liPT6_PT4_.kd
    .uniform_work_group_size: 1
    .uses_dynamic_stack: false
    .vgpr_count:     10
    .vgpr_spill_count: 0
    .wavefront_size: 32
    .workgroup_processor_mode: 1
  - .args:
      - .offset:         0
        .size:           4
        .value_kind:     by_value
      - .actual_access:  read_only
        .address_space:  global
        .offset:         8
        .size:           8
        .value_kind:     global_buffer
      - .offset:         16
        .size:           8
        .value_kind:     by_value
      - .offset:         24
        .size:           8
        .value_kind:     by_value
      - .offset:         32
        .size:           8
        .value_kind:     by_value
      - .offset:         40
        .size:           4
        .value_kind:     by_value
      - .actual_access:  read_only
        .address_space:  global
        .offset:         48
        .size:           8
        .value_kind:     global_buffer
      - .actual_access:  write_only
        .address_space:  global
        .offset:         56
        .size:           8
        .value_kind:     global_buffer
      - .offset:         64
        .size:           4
        .value_kind:     hidden_block_count_x
      - .offset:         68
        .size:           4
        .value_kind:     hidden_block_count_y
      - .offset:         72
        .size:           4
        .value_kind:     hidden_block_count_z
      - .offset:         76
        .size:           2
        .value_kind:     hidden_group_size_x
      - .offset:         78
        .size:           2
        .value_kind:     hidden_group_size_y
      - .offset:         80
        .size:           2
        .value_kind:     hidden_group_size_z
      - .offset:         82
        .size:           2
        .value_kind:     hidden_remainder_x
      - .offset:         84
        .size:           2
        .value_kind:     hidden_remainder_y
      - .offset:         86
        .size:           2
        .value_kind:     hidden_remainder_z
      - .offset:         104
        .size:           8
        .value_kind:     hidden_global_offset_x
      - .offset:         112
        .size:           8
        .value_kind:     hidden_global_offset_y
      - .offset:         120
        .size:           8
        .value_kind:     hidden_global_offset_z
      - .offset:         128
        .size:           2
        .value_kind:     hidden_grid_dims
    .group_segment_fixed_size: 128
    .kernarg_segment_align: 8
    .kernarg_segment_size: 320
    .language:       OpenCL C
    .language_version:
      - 2
      - 0
    .max_flat_workgroup_size: 1024
    .name:           _ZL24rocblas_dot_kernel_magsqIlLb1ELi1024ELi32ELb1EDF16_PKPKDF16_fEviT5_lT_liPT6_PT4_
    .private_segment_fixed_size: 0
    .sgpr_count:     19
    .sgpr_spill_count: 0
    .symbol:         _ZL24rocblas_dot_kernel_magsqIlLb1ELi1024ELi32ELb1EDF16_PKPKDF16_fEviT5_lT_liPT6_PT4_.kd
    .uniform_work_group_size: 1
    .uses_dynamic_stack: false
    .vgpr_count:     10
    .vgpr_spill_count: 0
    .wavefront_size: 32
    .workgroup_processor_mode: 1
  - .args:
      - .offset:         0
        .size:           4
        .value_kind:     by_value
      - .actual_access:  read_only
        .address_space:  global
        .offset:         8
        .size:           8
        .value_kind:     global_buffer
      - .offset:         16
        .size:           8
        .value_kind:     by_value
      - .offset:         24
        .size:           8
        .value_kind:     by_value
      - .offset:         32
        .size:           8
        .value_kind:     by_value
      - .actual_access:  read_only
        .address_space:  global
        .offset:         40
        .size:           8
        .value_kind:     global_buffer
      - .offset:         48
        .size:           8
        .value_kind:     by_value
      - .offset:         56
        .size:           8
        .value_kind:     by_value
      - .offset:         64
        .size:           8
        .value_kind:     by_value
      - .offset:         72
        .size:           4
        .value_kind:     by_value
      - .actual_access:  write_only
        .address_space:  global
        .offset:         80
        .size:           8
        .value_kind:     global_buffer
      - .actual_access:  write_only
        .address_space:  global
        .offset:         88
        .size:           8
        .value_kind:     global_buffer
      - .offset:         96
        .size:           4
        .value_kind:     hidden_block_count_x
      - .offset:         100
        .size:           4
        .value_kind:     hidden_block_count_y
      - .offset:         104
        .size:           4
        .value_kind:     hidden_block_count_z
      - .offset:         108
        .size:           2
        .value_kind:     hidden_group_size_x
      - .offset:         110
        .size:           2
        .value_kind:     hidden_group_size_y
      - .offset:         112
        .size:           2
        .value_kind:     hidden_group_size_z
      - .offset:         114
        .size:           2
        .value_kind:     hidden_remainder_x
      - .offset:         116
        .size:           2
        .value_kind:     hidden_remainder_y
      - .offset:         118
        .size:           2
        .value_kind:     hidden_remainder_z
      - .offset:         136
        .size:           8
        .value_kind:     hidden_global_offset_x
      - .offset:         144
        .size:           8
        .value_kind:     hidden_global_offset_y
      - .offset:         152
        .size:           8
        .value_kind:     hidden_global_offset_z
      - .offset:         160
        .size:           2
        .value_kind:     hidden_grid_dims
    .group_segment_fixed_size: 128
    .kernarg_segment_align: 8
    .kernarg_segment_size: 352
    .language:       OpenCL C
    .language_version:
      - 2
      - 0
    .max_flat_workgroup_size: 512
    .name:           _ZL18rocblas_dot_kernelIlLb0ELi512ELi8ELb1EDF16_PKPKDF16_fEviT5_lT_lS4_lS5_liPT6_PT4_
    .private_segment_fixed_size: 0
    .sgpr_count:     31
    .sgpr_spill_count: 0
    .symbol:         _ZL18rocblas_dot_kernelIlLb0ELi512ELi8ELb1EDF16_PKPKDF16_fEviT5_lT_lS4_lS5_liPT6_PT4_.kd
    .uniform_work_group_size: 1
    .uses_dynamic_stack: false
    .vgpr_count:     12
    .vgpr_spill_count: 0
    .wavefront_size: 32
    .workgroup_processor_mode: 1
  - .args:
      - .offset:         0
        .size:           4
        .value_kind:     by_value
      - .actual_access:  read_only
        .address_space:  global
        .offset:         8
        .size:           8
        .value_kind:     global_buffer
      - .offset:         16
        .size:           8
        .value_kind:     by_value
      - .offset:         24
        .size:           8
        .value_kind:     by_value
      - .offset:         32
        .size:           8
        .value_kind:     by_value
      - .offset:         40
        .size:           4
        .value_kind:     by_value
      - .actual_access:  write_only
        .address_space:  global
        .offset:         48
        .size:           8
        .value_kind:     global_buffer
      - .actual_access:  write_only
        .address_space:  global
        .offset:         56
        .size:           8
        .value_kind:     global_buffer
      - .offset:         64
        .size:           4
        .value_kind:     hidden_block_count_x
      - .offset:         68
        .size:           4
        .value_kind:     hidden_block_count_y
      - .offset:         72
        .size:           4
        .value_kind:     hidden_block_count_z
      - .offset:         76
        .size:           2
        .value_kind:     hidden_group_size_x
      - .offset:         78
        .size:           2
        .value_kind:     hidden_group_size_y
      - .offset:         80
        .size:           2
        .value_kind:     hidden_group_size_z
      - .offset:         82
        .size:           2
        .value_kind:     hidden_remainder_x
      - .offset:         84
        .size:           2
        .value_kind:     hidden_remainder_y
      - .offset:         86
        .size:           2
        .value_kind:     hidden_remainder_z
      - .offset:         104
        .size:           8
        .value_kind:     hidden_global_offset_x
      - .offset:         112
        .size:           8
        .value_kind:     hidden_global_offset_y
      - .offset:         120
        .size:           8
        .value_kind:     hidden_global_offset_z
      - .offset:         128
        .size:           2
        .value_kind:     hidden_grid_dims
    .group_segment_fixed_size: 128
    .kernarg_segment_align: 8
    .kernarg_segment_size: 320
    .language:       OpenCL C
    .language_version:
      - 2
      - 0
    .max_flat_workgroup_size: 512
    .name:           _ZL24rocblas_dot_kernel_magsqIlLb0ELi512ELi8ELb1EDF16_PKPKDF16_fEviT5_lT_liPT6_PT4_
    .private_segment_fixed_size: 0
    .sgpr_count:     22
    .sgpr_spill_count: 0
    .symbol:         _ZL24rocblas_dot_kernel_magsqIlLb0ELi512ELi8ELb1EDF16_PKPKDF16_fEviT5_lT_liPT6_PT4_.kd
    .uniform_work_group_size: 1
    .uses_dynamic_stack: false
    .vgpr_count:     9
    .vgpr_spill_count: 0
    .wavefront_size: 32
    .workgroup_processor_mode: 1
  - .args:
      - .offset:         0
        .size:           4
        .value_kind:     by_value
      - .actual_access:  read_only
        .address_space:  global
        .offset:         8
        .size:           8
        .value_kind:     global_buffer
      - .offset:         16
        .size:           8
        .value_kind:     by_value
      - .offset:         24
        .size:           4
        .value_kind:     by_value
      - .offset:         32
        .size:           8
        .value_kind:     by_value
      - .actual_access:  read_only
        .address_space:  global
        .offset:         40
        .size:           8
        .value_kind:     global_buffer
      - .offset:         48
        .size:           8
        .value_kind:     by_value
      - .offset:         56
        .size:           4
        .value_kind:     by_value
      - .offset:         64
        .size:           8
        .value_kind:     by_value
      - .offset:         72
        .size:           4
        .value_kind:     by_value
      - .actual_access:  write_only
        .address_space:  global
        .offset:         80
        .size:           8
        .value_kind:     global_buffer
    .group_segment_fixed_size: 0
    .kernarg_segment_align: 8
    .kernarg_segment_size: 88
    .language:       OpenCL C
    .language_version:
      - 2
      - 0
    .max_flat_workgroup_size: 128
    .name:           _ZL28rocblas_dot_batched_4_kernelIiLi32ELi4ELb1EDF16_DF16_PKDF16_EviT5_lT_lS2_lS3_liPT4_
    .private_segment_fixed_size: 0
    .sgpr_count:     22
    .sgpr_spill_count: 0
    .symbol:         _ZL28rocblas_dot_batched_4_kernelIiLi32ELi4ELb1EDF16_DF16_PKDF16_EviT5_lT_lS2_lS3_liPT4_.kd
    .uniform_work_group_size: 1
    .uses_dynamic_stack: false
    .vgpr_count:     14
    .vgpr_spill_count: 0
    .wavefront_size: 32
    .workgroup_processor_mode: 1
  - .args:
      - .offset:         0
        .size:           4
        .value_kind:     by_value
      - .actual_access:  read_only
        .address_space:  global
        .offset:         8
        .size:           8
        .value_kind:     global_buffer
      - .offset:         16
        .size:           8
        .value_kind:     by_value
      - .offset:         24
        .size:           4
        .value_kind:     by_value
      - .offset:         32
        .size:           8
        .value_kind:     by_value
      - .actual_access:  read_only
        .address_space:  global
        .offset:         40
        .size:           8
        .value_kind:     global_buffer
      - .offset:         48
        .size:           8
        .value_kind:     by_value
      - .offset:         56
        .size:           4
        .value_kind:     by_value
      - .offset:         64
        .size:           8
        .value_kind:     by_value
      - .offset:         72
        .size:           4
        .value_kind:     by_value
      - .actual_access:  write_only
        .address_space:  global
        .offset:         80
        .size:           8
        .value_kind:     global_buffer
    .group_segment_fixed_size: 0
    .kernarg_segment_align: 8
    .kernarg_segment_size: 88
    .language:       OpenCL C
    .language_version:
      - 2
      - 0
    .max_flat_workgroup_size: 256
    .name:           _ZL28rocblas_dot_batched_4_kernelIiLi64ELi4ELb1EDF16_DF16_PKDF16_EviT5_lT_lS2_lS3_liPT4_
    .private_segment_fixed_size: 0
    .sgpr_count:     22
    .sgpr_spill_count: 0
    .symbol:         _ZL28rocblas_dot_batched_4_kernelIiLi64ELi4ELb1EDF16_DF16_PKDF16_EviT5_lT_lS2_lS3_liPT4_.kd
    .uniform_work_group_size: 1
    .uses_dynamic_stack: false
    .vgpr_count:     14
    .vgpr_spill_count: 0
    .wavefront_size: 32
    .workgroup_processor_mode: 1
  - .args:
      - .offset:         0
        .size:           4
        .value_kind:     by_value
      - .actual_access:  read_only
        .address_space:  global
        .offset:         8
        .size:           8
        .value_kind:     global_buffer
      - .offset:         16
        .size:           8
        .value_kind:     by_value
      - .offset:         24
        .size:           8
        .value_kind:     by_value
      - .actual_access:  read_only
        .address_space:  global
        .offset:         32
        .size:           8
        .value_kind:     global_buffer
      - .offset:         40
        .size:           8
        .value_kind:     by_value
      - .offset:         48
        .size:           8
        .value_kind:     by_value
      - .offset:         56
        .size:           4
        .value_kind:     by_value
      - .actual_access:  read_only
        .address_space:  global
        .offset:         64
        .size:           8
        .value_kind:     global_buffer
      - .actual_access:  write_only
        .address_space:  global
        .offset:         72
        .size:           8
        .value_kind:     global_buffer
    .group_segment_fixed_size: 64
    .kernarg_segment_align: 8
    .kernarg_segment_size: 80
    .language:       OpenCL C
    .language_version:
      - 2
      - 0
    .max_flat_workgroup_size: 1024
    .name:           _ZL26rocblas_dot_kernel_inc1by2ILb1ELi1024ELi32ELb1EDF16_PKDF16_DF16_EviT4_llS2_lliPT5_PT3_
    .private_segment_fixed_size: 0
    .sgpr_count:     26
    .sgpr_spill_count: 0
    .symbol:         _ZL26rocblas_dot_kernel_inc1by2ILb1ELi1024ELi32ELb1EDF16_PKDF16_DF16_EviT4_llS2_lliPT5_PT3_.kd
    .uniform_work_group_size: 1
    .uses_dynamic_stack: false
    .vgpr_count:     11
    .vgpr_spill_count: 0
    .wavefront_size: 32
    .workgroup_processor_mode: 1
  - .args:
      - .offset:         0
        .size:           4
        .value_kind:     by_value
      - .actual_access:  read_only
        .address_space:  global
        .offset:         8
        .size:           8
        .value_kind:     global_buffer
      - .offset:         16
        .size:           8
        .value_kind:     by_value
      - .offset:         24
        .size:           4
        .value_kind:     by_value
      - .offset:         32
        .size:           8
        .value_kind:     by_value
      - .actual_access:  read_only
        .address_space:  global
        .offset:         40
        .size:           8
        .value_kind:     global_buffer
      - .offset:         48
        .size:           8
        .value_kind:     by_value
      - .offset:         56
        .size:           4
        .value_kind:     by_value
      - .offset:         64
        .size:           8
        .value_kind:     by_value
      - .offset:         72
        .size:           4
        .value_kind:     by_value
      - .actual_access:  read_only
        .address_space:  global
        .offset:         80
        .size:           8
        .value_kind:     global_buffer
      - .actual_access:  write_only
        .address_space:  global
        .offset:         88
        .size:           8
        .value_kind:     global_buffer
      - .offset:         96
        .size:           4
        .value_kind:     hidden_block_count_x
      - .offset:         100
        .size:           4
        .value_kind:     hidden_block_count_y
      - .offset:         104
        .size:           4
        .value_kind:     hidden_block_count_z
      - .offset:         108
        .size:           2
        .value_kind:     hidden_group_size_x
      - .offset:         110
        .size:           2
        .value_kind:     hidden_group_size_y
      - .offset:         112
        .size:           2
        .value_kind:     hidden_group_size_z
      - .offset:         114
        .size:           2
        .value_kind:     hidden_remainder_x
      - .offset:         116
        .size:           2
        .value_kind:     hidden_remainder_y
      - .offset:         118
        .size:           2
        .value_kind:     hidden_remainder_z
      - .offset:         136
        .size:           8
        .value_kind:     hidden_global_offset_x
      - .offset:         144
        .size:           8
        .value_kind:     hidden_global_offset_y
      - .offset:         152
        .size:           8
        .value_kind:     hidden_global_offset_z
      - .offset:         160
        .size:           2
        .value_kind:     hidden_grid_dims
    .group_segment_fixed_size: 64
    .kernarg_segment_align: 8
    .kernarg_segment_size: 352
    .language:       OpenCL C
    .language_version:
      - 2
      - 0
    .max_flat_workgroup_size: 1024
    .name:           _ZL18rocblas_dot_kernelIiLb1ELi1024ELi32ELb1EDF16_PKDF16_DF16_EviT5_lT_lS2_lS3_liPT6_PT4_
    .private_segment_fixed_size: 0
    .sgpr_count:     27
    .sgpr_spill_count: 0
    .symbol:         _ZL18rocblas_dot_kernelIiLb1ELi1024ELi32ELb1EDF16_PKDF16_DF16_EviT5_lT_lS2_lS3_liPT6_PT4_.kd
    .uniform_work_group_size: 1
    .uses_dynamic_stack: false
    .vgpr_count:     11
    .vgpr_spill_count: 0
    .wavefront_size: 32
    .workgroup_processor_mode: 1
  - .args:
      - .offset:         0
        .size:           4
        .value_kind:     by_value
      - .actual_access:  read_only
        .address_space:  global
        .offset:         8
        .size:           8
        .value_kind:     global_buffer
      - .offset:         16
        .size:           8
        .value_kind:     by_value
      - .offset:         24
        .size:           4
        .value_kind:     by_value
      - .offset:         32
        .size:           8
        .value_kind:     by_value
      - .offset:         40
        .size:           4
        .value_kind:     by_value
      - .actual_access:  read_only
        .address_space:  global
        .offset:         48
        .size:           8
        .value_kind:     global_buffer
      - .actual_access:  write_only
        .address_space:  global
        .offset:         56
        .size:           8
        .value_kind:     global_buffer
      - .offset:         64
        .size:           4
        .value_kind:     hidden_block_count_x
      - .offset:         68
        .size:           4
        .value_kind:     hidden_block_count_y
      - .offset:         72
        .size:           4
        .value_kind:     hidden_block_count_z
      - .offset:         76
        .size:           2
        .value_kind:     hidden_group_size_x
      - .offset:         78
        .size:           2
        .value_kind:     hidden_group_size_y
      - .offset:         80
        .size:           2
        .value_kind:     hidden_group_size_z
      - .offset:         82
        .size:           2
        .value_kind:     hidden_remainder_x
      - .offset:         84
        .size:           2
        .value_kind:     hidden_remainder_y
      - .offset:         86
        .size:           2
        .value_kind:     hidden_remainder_z
      - .offset:         104
        .size:           8
        .value_kind:     hidden_global_offset_x
      - .offset:         112
        .size:           8
        .value_kind:     hidden_global_offset_y
      - .offset:         120
        .size:           8
        .value_kind:     hidden_global_offset_z
      - .offset:         128
        .size:           2
        .value_kind:     hidden_grid_dims
    .group_segment_fixed_size: 64
    .kernarg_segment_align: 8
    .kernarg_segment_size: 320
    .language:       OpenCL C
    .language_version:
      - 2
      - 0
    .max_flat_workgroup_size: 1024
    .name:           _ZL24rocblas_dot_kernel_magsqIiLb1ELi1024ELi32ELb1EDF16_PKDF16_DF16_EviT5_lT_liPT6_PT4_
    .private_segment_fixed_size: 0
    .sgpr_count:     19
    .sgpr_spill_count: 0
    .symbol:         _ZL24rocblas_dot_kernel_magsqIiLb1ELi1024ELi32ELb1EDF16_PKDF16_DF16_EviT5_lT_liPT6_PT4_.kd
    .uniform_work_group_size: 1
    .uses_dynamic_stack: false
    .vgpr_count:     11
    .vgpr_spill_count: 0
    .wavefront_size: 32
    .workgroup_processor_mode: 1
  - .args:
      - .offset:         0
        .size:           4
        .value_kind:     by_value
      - .actual_access:  read_only
        .address_space:  global
        .offset:         8
        .size:           8
        .value_kind:     global_buffer
      - .offset:         16
        .size:           8
        .value_kind:     by_value
      - .offset:         24
        .size:           8
        .value_kind:     by_value
      - .actual_access:  read_only
        .address_space:  global
        .offset:         32
        .size:           8
        .value_kind:     global_buffer
      - .offset:         40
        .size:           8
        .value_kind:     by_value
      - .offset:         48
        .size:           8
        .value_kind:     by_value
      - .offset:         56
        .size:           4
        .value_kind:     by_value
      - .actual_access:  write_only
        .address_space:  global
        .offset:         64
        .size:           8
        .value_kind:     global_buffer
      - .actual_access:  write_only
        .address_space:  global
        .offset:         72
        .size:           8
        .value_kind:     global_buffer
      - .offset:         80
        .size:           4
        .value_kind:     hidden_block_count_x
      - .offset:         84
        .size:           4
        .value_kind:     hidden_block_count_y
      - .offset:         88
        .size:           4
        .value_kind:     hidden_block_count_z
      - .offset:         92
        .size:           2
        .value_kind:     hidden_group_size_x
      - .offset:         94
        .size:           2
        .value_kind:     hidden_group_size_y
      - .offset:         96
        .size:           2
        .value_kind:     hidden_group_size_z
      - .offset:         98
        .size:           2
        .value_kind:     hidden_remainder_x
      - .offset:         100
        .size:           2
        .value_kind:     hidden_remainder_y
      - .offset:         102
        .size:           2
        .value_kind:     hidden_remainder_z
      - .offset:         120
        .size:           8
        .value_kind:     hidden_global_offset_x
      - .offset:         128
        .size:           8
        .value_kind:     hidden_global_offset_y
      - .offset:         136
        .size:           8
        .value_kind:     hidden_global_offset_z
      - .offset:         144
        .size:           2
        .value_kind:     hidden_grid_dims
    .group_segment_fixed_size: 64
    .kernarg_segment_align: 8
    .kernarg_segment_size: 336
    .language:       OpenCL C
    .language_version:
      - 2
      - 0
    .max_flat_workgroup_size: 512
    .name:           _ZL23rocblas_dot_kernel_inc1ILb0ELi512ELi8ELb1EDF16_PKDF16_DF16_EviT4_llS2_lliPT5_PT3_
    .private_segment_fixed_size: 0
    .sgpr_count:     26
    .sgpr_spill_count: 0
    .symbol:         _ZL23rocblas_dot_kernel_inc1ILb0ELi512ELi8ELb1EDF16_PKDF16_DF16_EviT4_llS2_lliPT5_PT3_.kd
    .uniform_work_group_size: 1
    .uses_dynamic_stack: false
    .vgpr_count:     10
    .vgpr_spill_count: 0
    .wavefront_size: 32
    .workgroup_processor_mode: 1
  - .args:
      - .offset:         0
        .size:           4
        .value_kind:     by_value
      - .actual_access:  read_only
        .address_space:  global
        .offset:         8
        .size:           8
        .value_kind:     global_buffer
      - .offset:         16
        .size:           8
        .value_kind:     by_value
      - .offset:         24
        .size:           4
        .value_kind:     by_value
      - .offset:         32
        .size:           8
        .value_kind:     by_value
      - .actual_access:  read_only
        .address_space:  global
        .offset:         40
        .size:           8
        .value_kind:     global_buffer
      - .offset:         48
        .size:           8
        .value_kind:     by_value
      - .offset:         56
        .size:           4
        .value_kind:     by_value
      - .offset:         64
        .size:           8
        .value_kind:     by_value
      - .offset:         72
        .size:           4
        .value_kind:     by_value
      - .actual_access:  write_only
        .address_space:  global
        .offset:         80
        .size:           8
        .value_kind:     global_buffer
      - .actual_access:  write_only
        .address_space:  global
        .offset:         88
        .size:           8
        .value_kind:     global_buffer
      - .offset:         96
        .size:           4
        .value_kind:     hidden_block_count_x
      - .offset:         100
        .size:           4
        .value_kind:     hidden_block_count_y
      - .offset:         104
        .size:           4
        .value_kind:     hidden_block_count_z
      - .offset:         108
        .size:           2
        .value_kind:     hidden_group_size_x
      - .offset:         110
        .size:           2
        .value_kind:     hidden_group_size_y
      - .offset:         112
        .size:           2
        .value_kind:     hidden_group_size_z
      - .offset:         114
        .size:           2
        .value_kind:     hidden_remainder_x
      - .offset:         116
        .size:           2
        .value_kind:     hidden_remainder_y
      - .offset:         118
        .size:           2
        .value_kind:     hidden_remainder_z
      - .offset:         136
        .size:           8
        .value_kind:     hidden_global_offset_x
      - .offset:         144
        .size:           8
        .value_kind:     hidden_global_offset_y
      - .offset:         152
        .size:           8
        .value_kind:     hidden_global_offset_z
      - .offset:         160
        .size:           2
        .value_kind:     hidden_grid_dims
    .group_segment_fixed_size: 64
    .kernarg_segment_align: 8
    .kernarg_segment_size: 352
    .language:       OpenCL C
    .language_version:
      - 2
      - 0
    .max_flat_workgroup_size: 512
    .name:           _ZL18rocblas_dot_kernelIiLb0ELi512ELi8ELb1EDF16_PKDF16_DF16_EviT5_lT_lS2_lS3_liPT6_PT4_
    .private_segment_fixed_size: 0
    .sgpr_count:     30
    .sgpr_spill_count: 0
    .symbol:         _ZL18rocblas_dot_kernelIiLb0ELi512ELi8ELb1EDF16_PKDF16_DF16_EviT5_lT_lS2_lS3_liPT6_PT4_.kd
    .uniform_work_group_size: 1
    .uses_dynamic_stack: false
    .vgpr_count:     10
    .vgpr_spill_count: 0
    .wavefront_size: 32
    .workgroup_processor_mode: 1
  - .args:
      - .offset:         0
        .size:           4
        .value_kind:     by_value
      - .actual_access:  read_only
        .address_space:  global
        .offset:         8
        .size:           8
        .value_kind:     global_buffer
      - .offset:         16
        .size:           8
        .value_kind:     by_value
      - .offset:         24
        .size:           4
        .value_kind:     by_value
      - .offset:         32
        .size:           8
        .value_kind:     by_value
      - .offset:         40
        .size:           4
        .value_kind:     by_value
      - .actual_access:  write_only
        .address_space:  global
        .offset:         48
        .size:           8
        .value_kind:     global_buffer
      - .actual_access:  write_only
        .address_space:  global
        .offset:         56
        .size:           8
        .value_kind:     global_buffer
      - .offset:         64
        .size:           4
        .value_kind:     hidden_block_count_x
      - .offset:         68
        .size:           4
        .value_kind:     hidden_block_count_y
      - .offset:         72
        .size:           4
        .value_kind:     hidden_block_count_z
      - .offset:         76
        .size:           2
        .value_kind:     hidden_group_size_x
      - .offset:         78
        .size:           2
        .value_kind:     hidden_group_size_y
      - .offset:         80
        .size:           2
        .value_kind:     hidden_group_size_z
      - .offset:         82
        .size:           2
        .value_kind:     hidden_remainder_x
      - .offset:         84
        .size:           2
        .value_kind:     hidden_remainder_y
      - .offset:         86
        .size:           2
        .value_kind:     hidden_remainder_z
      - .offset:         104
        .size:           8
        .value_kind:     hidden_global_offset_x
      - .offset:         112
        .size:           8
        .value_kind:     hidden_global_offset_y
      - .offset:         120
        .size:           8
        .value_kind:     hidden_global_offset_z
      - .offset:         128
        .size:           2
        .value_kind:     hidden_grid_dims
    .group_segment_fixed_size: 64
    .kernarg_segment_align: 8
    .kernarg_segment_size: 320
    .language:       OpenCL C
    .language_version:
      - 2
      - 0
    .max_flat_workgroup_size: 512
    .name:           _ZL24rocblas_dot_kernel_magsqIiLb0ELi512ELi8ELb1EDF16_PKDF16_DF16_EviT5_lT_liPT6_PT4_
    .private_segment_fixed_size: 0
    .sgpr_count:     24
    .sgpr_spill_count: 0
    .symbol:         _ZL24rocblas_dot_kernel_magsqIiLb0ELi512ELi8ELb1EDF16_PKDF16_DF16_EviT5_lT_liPT6_PT4_.kd
    .uniform_work_group_size: 1
    .uses_dynamic_stack: false
    .vgpr_count:     10
    .vgpr_spill_count: 0
    .wavefront_size: 32
    .workgroup_processor_mode: 1
  - .args:
      - .offset:         0
        .size:           4
        .value_kind:     by_value
      - .actual_access:  read_only
        .address_space:  global
        .offset:         8
        .size:           8
        .value_kind:     global_buffer
      - .actual_access:  write_only
        .address_space:  global
        .offset:         16
        .size:           8
        .value_kind:     global_buffer
    .group_segment_fixed_size: 64
    .kernarg_segment_align: 8
    .kernarg_segment_size: 24
    .language:       OpenCL C
    .language_version:
      - 2
      - 0
    .max_flat_workgroup_size: 512
    .name:           _ZL30rocblas_reduction_kernel_part2ILi512ELi8E25rocblas_finalize_identityDF16_DF16_EviPT2_PT3_
    .private_segment_fixed_size: 0
    .sgpr_count:     18
    .sgpr_spill_count: 0
    .symbol:         _ZL30rocblas_reduction_kernel_part2ILi512ELi8E25rocblas_finalize_identityDF16_DF16_EviPT2_PT3_.kd
    .uniform_work_group_size: 1
    .uses_dynamic_stack: false
    .vgpr_count:     10
    .vgpr_spill_count: 0
    .wavefront_size: 32
    .workgroup_processor_mode: 1
  - .args:
      - .offset:         0
        .size:           4
        .value_kind:     by_value
      - .actual_access:  read_only
        .address_space:  global
        .offset:         8
        .size:           8
        .value_kind:     global_buffer
      - .offset:         16
        .size:           8
        .value_kind:     by_value
      - .offset:         24
        .size:           8
        .value_kind:     by_value
      - .offset:         32
        .size:           8
        .value_kind:     by_value
      - .actual_access:  read_only
        .address_space:  global
        .offset:         40
        .size:           8
        .value_kind:     global_buffer
      - .offset:         48
        .size:           8
        .value_kind:     by_value
      - .offset:         56
        .size:           8
        .value_kind:     by_value
      - .offset:         64
        .size:           8
        .value_kind:     by_value
      - .offset:         72
        .size:           4
        .value_kind:     by_value
      - .actual_access:  write_only
        .address_space:  global
        .offset:         80
        .size:           8
        .value_kind:     global_buffer
    .group_segment_fixed_size: 0
    .kernarg_segment_align: 8
    .kernarg_segment_size: 88
    .language:       OpenCL C
    .language_version:
      - 2
      - 0
    .max_flat_workgroup_size: 128
    .name:           _ZL28rocblas_dot_batched_4_kernelIlLi32ELi4ELb1EDF16_DF16_PKDF16_EviT5_lT_lS2_lS3_liPT4_
    .private_segment_fixed_size: 0
    .sgpr_count:     22
    .sgpr_spill_count: 0
    .symbol:         _ZL28rocblas_dot_batched_4_kernelIlLi32ELi4ELb1EDF16_DF16_PKDF16_EviT5_lT_lS2_lS3_liPT4_.kd
    .uniform_work_group_size: 1
    .uses_dynamic_stack: false
    .vgpr_count:     17
    .vgpr_spill_count: 0
    .wavefront_size: 32
    .workgroup_processor_mode: 1
  - .args:
      - .offset:         0
        .size:           4
        .value_kind:     by_value
      - .actual_access:  read_only
        .address_space:  global
        .offset:         8
        .size:           8
        .value_kind:     global_buffer
      - .offset:         16
        .size:           8
        .value_kind:     by_value
      - .offset:         24
        .size:           8
        .value_kind:     by_value
      - .offset:         32
        .size:           8
        .value_kind:     by_value
      - .actual_access:  read_only
        .address_space:  global
        .offset:         40
        .size:           8
        .value_kind:     global_buffer
      - .offset:         48
        .size:           8
        .value_kind:     by_value
      - .offset:         56
        .size:           8
        .value_kind:     by_value
      - .offset:         64
        .size:           8
        .value_kind:     by_value
      - .offset:         72
        .size:           4
        .value_kind:     by_value
      - .actual_access:  write_only
        .address_space:  global
        .offset:         80
        .size:           8
        .value_kind:     global_buffer
    .group_segment_fixed_size: 0
    .kernarg_segment_align: 8
    .kernarg_segment_size: 88
    .language:       OpenCL C
    .language_version:
      - 2
      - 0
    .max_flat_workgroup_size: 256
    .name:           _ZL28rocblas_dot_batched_4_kernelIlLi64ELi4ELb1EDF16_DF16_PKDF16_EviT5_lT_lS2_lS3_liPT4_
    .private_segment_fixed_size: 0
    .sgpr_count:     22
    .sgpr_spill_count: 0
    .symbol:         _ZL28rocblas_dot_batched_4_kernelIlLi64ELi4ELb1EDF16_DF16_PKDF16_EviT5_lT_lS2_lS3_liPT4_.kd
    .uniform_work_group_size: 1
    .uses_dynamic_stack: false
    .vgpr_count:     17
    .vgpr_spill_count: 0
    .wavefront_size: 32
    .workgroup_processor_mode: 1
  - .args:
      - .offset:         0
        .size:           4
        .value_kind:     by_value
      - .actual_access:  read_only
        .address_space:  global
        .offset:         8
        .size:           8
        .value_kind:     global_buffer
      - .offset:         16
        .size:           8
        .value_kind:     by_value
      - .offset:         24
        .size:           8
        .value_kind:     by_value
      - .offset:         32
        .size:           8
        .value_kind:     by_value
      - .actual_access:  read_only
        .address_space:  global
        .offset:         40
        .size:           8
        .value_kind:     global_buffer
      - .offset:         48
        .size:           8
        .value_kind:     by_value
      - .offset:         56
        .size:           8
        .value_kind:     by_value
      - .offset:         64
        .size:           8
        .value_kind:     by_value
      - .offset:         72
        .size:           4
        .value_kind:     by_value
      - .actual_access:  read_only
        .address_space:  global
        .offset:         80
        .size:           8
        .value_kind:     global_buffer
      - .actual_access:  write_only
        .address_space:  global
        .offset:         88
        .size:           8
        .value_kind:     global_buffer
      - .offset:         96
        .size:           4
        .value_kind:     hidden_block_count_x
      - .offset:         100
        .size:           4
        .value_kind:     hidden_block_count_y
      - .offset:         104
        .size:           4
        .value_kind:     hidden_block_count_z
      - .offset:         108
        .size:           2
        .value_kind:     hidden_group_size_x
      - .offset:         110
        .size:           2
        .value_kind:     hidden_group_size_y
      - .offset:         112
        .size:           2
        .value_kind:     hidden_group_size_z
      - .offset:         114
        .size:           2
        .value_kind:     hidden_remainder_x
      - .offset:         116
        .size:           2
        .value_kind:     hidden_remainder_y
      - .offset:         118
        .size:           2
        .value_kind:     hidden_remainder_z
      - .offset:         136
        .size:           8
        .value_kind:     hidden_global_offset_x
      - .offset:         144
        .size:           8
        .value_kind:     hidden_global_offset_y
      - .offset:         152
        .size:           8
        .value_kind:     hidden_global_offset_z
      - .offset:         160
        .size:           2
        .value_kind:     hidden_grid_dims
    .group_segment_fixed_size: 64
    .kernarg_segment_align: 8
    .kernarg_segment_size: 352
    .language:       OpenCL C
    .language_version:
      - 2
      - 0
    .max_flat_workgroup_size: 1024
    .name:           _ZL18rocblas_dot_kernelIlLb1ELi1024ELi32ELb1EDF16_PKDF16_DF16_EviT5_lT_lS2_lS3_liPT6_PT4_
    .private_segment_fixed_size: 0
    .sgpr_count:     29
    .sgpr_spill_count: 0
    .symbol:         _ZL18rocblas_dot_kernelIlLb1ELi1024ELi32ELb1EDF16_PKDF16_DF16_EviT5_lT_lS2_lS3_liPT6_PT4_.kd
    .uniform_work_group_size: 1
    .uses_dynamic_stack: false
    .vgpr_count:     11
    .vgpr_spill_count: 0
    .wavefront_size: 32
    .workgroup_processor_mode: 1
  - .args:
      - .offset:         0
        .size:           4
        .value_kind:     by_value
      - .actual_access:  read_only
        .address_space:  global
        .offset:         8
        .size:           8
        .value_kind:     global_buffer
      - .offset:         16
        .size:           8
        .value_kind:     by_value
      - .offset:         24
        .size:           8
        .value_kind:     by_value
      - .offset:         32
        .size:           8
        .value_kind:     by_value
      - .offset:         40
        .size:           4
        .value_kind:     by_value
      - .actual_access:  read_only
        .address_space:  global
        .offset:         48
        .size:           8
        .value_kind:     global_buffer
      - .actual_access:  write_only
        .address_space:  global
        .offset:         56
        .size:           8
        .value_kind:     global_buffer
      - .offset:         64
        .size:           4
        .value_kind:     hidden_block_count_x
      - .offset:         68
        .size:           4
        .value_kind:     hidden_block_count_y
      - .offset:         72
        .size:           4
        .value_kind:     hidden_block_count_z
      - .offset:         76
        .size:           2
        .value_kind:     hidden_group_size_x
      - .offset:         78
        .size:           2
        .value_kind:     hidden_group_size_y
      - .offset:         80
        .size:           2
        .value_kind:     hidden_group_size_z
      - .offset:         82
        .size:           2
        .value_kind:     hidden_remainder_x
      - .offset:         84
        .size:           2
        .value_kind:     hidden_remainder_y
      - .offset:         86
        .size:           2
        .value_kind:     hidden_remainder_z
      - .offset:         104
        .size:           8
        .value_kind:     hidden_global_offset_x
      - .offset:         112
        .size:           8
        .value_kind:     hidden_global_offset_y
      - .offset:         120
        .size:           8
        .value_kind:     hidden_global_offset_z
      - .offset:         128
        .size:           2
        .value_kind:     hidden_grid_dims
    .group_segment_fixed_size: 64
    .kernarg_segment_align: 8
    .kernarg_segment_size: 320
    .language:       OpenCL C
    .language_version:
      - 2
      - 0
    .max_flat_workgroup_size: 1024
    .name:           _ZL24rocblas_dot_kernel_magsqIlLb1ELi1024ELi32ELb1EDF16_PKDF16_DF16_EviT5_lT_liPT6_PT4_
    .private_segment_fixed_size: 0
    .sgpr_count:     19
    .sgpr_spill_count: 0
    .symbol:         _ZL24rocblas_dot_kernel_magsqIlLb1ELi1024ELi32ELb1EDF16_PKDF16_DF16_EviT5_lT_liPT6_PT4_.kd
    .uniform_work_group_size: 1
    .uses_dynamic_stack: false
    .vgpr_count:     11
    .vgpr_spill_count: 0
    .wavefront_size: 32
    .workgroup_processor_mode: 1
  - .args:
      - .offset:         0
        .size:           4
        .value_kind:     by_value
      - .actual_access:  read_only
        .address_space:  global
        .offset:         8
        .size:           8
        .value_kind:     global_buffer
      - .offset:         16
        .size:           8
        .value_kind:     by_value
      - .offset:         24
        .size:           8
        .value_kind:     by_value
      - .offset:         32
        .size:           8
        .value_kind:     by_value
      - .actual_access:  read_only
        .address_space:  global
        .offset:         40
        .size:           8
        .value_kind:     global_buffer
      - .offset:         48
        .size:           8
        .value_kind:     by_value
      - .offset:         56
        .size:           8
        .value_kind:     by_value
      - .offset:         64
        .size:           8
        .value_kind:     by_value
      - .offset:         72
        .size:           4
        .value_kind:     by_value
      - .actual_access:  write_only
        .address_space:  global
        .offset:         80
        .size:           8
        .value_kind:     global_buffer
      - .actual_access:  write_only
        .address_space:  global
        .offset:         88
        .size:           8
        .value_kind:     global_buffer
      - .offset:         96
        .size:           4
        .value_kind:     hidden_block_count_x
      - .offset:         100
        .size:           4
        .value_kind:     hidden_block_count_y
      - .offset:         104
        .size:           4
        .value_kind:     hidden_block_count_z
      - .offset:         108
        .size:           2
        .value_kind:     hidden_group_size_x
      - .offset:         110
        .size:           2
        .value_kind:     hidden_group_size_y
      - .offset:         112
        .size:           2
        .value_kind:     hidden_group_size_z
      - .offset:         114
        .size:           2
        .value_kind:     hidden_remainder_x
      - .offset:         116
        .size:           2
        .value_kind:     hidden_remainder_y
      - .offset:         118
        .size:           2
        .value_kind:     hidden_remainder_z
      - .offset:         136
        .size:           8
        .value_kind:     hidden_global_offset_x
      - .offset:         144
        .size:           8
        .value_kind:     hidden_global_offset_y
      - .offset:         152
        .size:           8
        .value_kind:     hidden_global_offset_z
      - .offset:         160
        .size:           2
        .value_kind:     hidden_grid_dims
    .group_segment_fixed_size: 64
    .kernarg_segment_align: 8
    .kernarg_segment_size: 352
    .language:       OpenCL C
    .language_version:
      - 2
      - 0
    .max_flat_workgroup_size: 512
    .name:           _ZL18rocblas_dot_kernelIlLb0ELi512ELi8ELb1EDF16_PKDF16_DF16_EviT5_lT_lS2_lS3_liPT6_PT4_
    .private_segment_fixed_size: 0
    .sgpr_count:     30
    .sgpr_spill_count: 0
    .symbol:         _ZL18rocblas_dot_kernelIlLb0ELi512ELi8ELb1EDF16_PKDF16_DF16_EviT5_lT_lS2_lS3_liPT6_PT4_.kd
    .uniform_work_group_size: 1
    .uses_dynamic_stack: false
    .vgpr_count:     11
    .vgpr_spill_count: 0
    .wavefront_size: 32
    .workgroup_processor_mode: 1
  - .args:
      - .offset:         0
        .size:           4
        .value_kind:     by_value
      - .actual_access:  read_only
        .address_space:  global
        .offset:         8
        .size:           8
        .value_kind:     global_buffer
      - .offset:         16
        .size:           8
        .value_kind:     by_value
      - .offset:         24
        .size:           8
        .value_kind:     by_value
      - .offset:         32
        .size:           8
        .value_kind:     by_value
      - .offset:         40
        .size:           4
        .value_kind:     by_value
      - .actual_access:  write_only
        .address_space:  global
        .offset:         48
        .size:           8
        .value_kind:     global_buffer
      - .actual_access:  write_only
        .address_space:  global
        .offset:         56
        .size:           8
        .value_kind:     global_buffer
      - .offset:         64
        .size:           4
        .value_kind:     hidden_block_count_x
      - .offset:         68
        .size:           4
        .value_kind:     hidden_block_count_y
      - .offset:         72
        .size:           4
        .value_kind:     hidden_block_count_z
      - .offset:         76
        .size:           2
        .value_kind:     hidden_group_size_x
      - .offset:         78
        .size:           2
        .value_kind:     hidden_group_size_y
      - .offset:         80
        .size:           2
        .value_kind:     hidden_group_size_z
      - .offset:         82
        .size:           2
        .value_kind:     hidden_remainder_x
      - .offset:         84
        .size:           2
        .value_kind:     hidden_remainder_y
      - .offset:         86
        .size:           2
        .value_kind:     hidden_remainder_z
      - .offset:         104
        .size:           8
        .value_kind:     hidden_global_offset_x
      - .offset:         112
        .size:           8
        .value_kind:     hidden_global_offset_y
      - .offset:         120
        .size:           8
        .value_kind:     hidden_global_offset_z
      - .offset:         128
        .size:           2
        .value_kind:     hidden_grid_dims
    .group_segment_fixed_size: 64
    .kernarg_segment_align: 8
    .kernarg_segment_size: 320
    .language:       OpenCL C
    .language_version:
      - 2
      - 0
    .max_flat_workgroup_size: 512
    .name:           _ZL24rocblas_dot_kernel_magsqIlLb0ELi512ELi8ELb1EDF16_PKDF16_DF16_EviT5_lT_liPT6_PT4_
    .private_segment_fixed_size: 0
    .sgpr_count:     24
    .sgpr_spill_count: 0
    .symbol:         _ZL24rocblas_dot_kernel_magsqIlLb0ELi512ELi8ELb1EDF16_PKDF16_DF16_EviT5_lT_liPT6_PT4_.kd
    .uniform_work_group_size: 1
    .uses_dynamic_stack: false
    .vgpr_count:     10
    .vgpr_spill_count: 0
    .wavefront_size: 32
    .workgroup_processor_mode: 1
  - .args:
      - .offset:         0
        .size:           4
        .value_kind:     by_value
      - .actual_access:  read_only
        .address_space:  global
        .offset:         8
        .size:           8
        .value_kind:     global_buffer
      - .offset:         16
        .size:           8
        .value_kind:     by_value
      - .offset:         24
        .size:           4
        .value_kind:     by_value
      - .offset:         32
        .size:           8
        .value_kind:     by_value
      - .actual_access:  read_only
        .address_space:  global
        .offset:         40
        .size:           8
        .value_kind:     global_buffer
      - .offset:         48
        .size:           8
        .value_kind:     by_value
      - .offset:         56
        .size:           4
        .value_kind:     by_value
      - .offset:         64
        .size:           8
        .value_kind:     by_value
      - .offset:         72
        .size:           4
        .value_kind:     by_value
      - .actual_access:  write_only
        .address_space:  global
        .offset:         80
        .size:           8
        .value_kind:     global_buffer
    .group_segment_fixed_size: 0
    .kernarg_segment_align: 8
    .kernarg_segment_size: 88
    .language:       OpenCL C
    .language_version:
      - 2
      - 0
    .max_flat_workgroup_size: 128
    .name:           _ZL28rocblas_dot_batched_4_kernelIiLi32ELi4ELb1EDF16_DF16_PKPKDF16_EviT5_lT_lS4_lS5_liPT4_
    .private_segment_fixed_size: 0
    .sgpr_count:     18
    .sgpr_spill_count: 0
    .symbol:         _ZL28rocblas_dot_batched_4_kernelIiLi32ELi4ELb1EDF16_DF16_PKPKDF16_EviT5_lT_lS4_lS5_liPT4_.kd
    .uniform_work_group_size: 1
    .uses_dynamic_stack: false
    .vgpr_count:     12
    .vgpr_spill_count: 0
    .wavefront_size: 32
    .workgroup_processor_mode: 1
  - .args:
      - .offset:         0
        .size:           4
        .value_kind:     by_value
      - .actual_access:  read_only
        .address_space:  global
        .offset:         8
        .size:           8
        .value_kind:     global_buffer
      - .offset:         16
        .size:           8
        .value_kind:     by_value
      - .offset:         24
        .size:           4
        .value_kind:     by_value
      - .offset:         32
        .size:           8
        .value_kind:     by_value
      - .actual_access:  read_only
        .address_space:  global
        .offset:         40
        .size:           8
        .value_kind:     global_buffer
      - .offset:         48
        .size:           8
        .value_kind:     by_value
      - .offset:         56
        .size:           4
        .value_kind:     by_value
      - .offset:         64
        .size:           8
        .value_kind:     by_value
      - .offset:         72
        .size:           4
        .value_kind:     by_value
      - .actual_access:  write_only
        .address_space:  global
        .offset:         80
        .size:           8
        .value_kind:     global_buffer
    .group_segment_fixed_size: 0
    .kernarg_segment_align: 8
    .kernarg_segment_size: 88
    .language:       OpenCL C
    .language_version:
      - 2
      - 0
    .max_flat_workgroup_size: 256
    .name:           _ZL28rocblas_dot_batched_4_kernelIiLi64ELi4ELb1EDF16_DF16_PKPKDF16_EviT5_lT_lS4_lS5_liPT4_
    .private_segment_fixed_size: 0
    .sgpr_count:     18
    .sgpr_spill_count: 0
    .symbol:         _ZL28rocblas_dot_batched_4_kernelIiLi64ELi4ELb1EDF16_DF16_PKPKDF16_EviT5_lT_lS4_lS5_liPT4_.kd
    .uniform_work_group_size: 1
    .uses_dynamic_stack: false
    .vgpr_count:     12
    .vgpr_spill_count: 0
    .wavefront_size: 32
    .workgroup_processor_mode: 1
  - .args:
      - .offset:         0
        .size:           4
        .value_kind:     by_value
      - .actual_access:  read_only
        .address_space:  global
        .offset:         8
        .size:           8
        .value_kind:     global_buffer
      - .offset:         16
        .size:           8
        .value_kind:     by_value
      - .offset:         24
        .size:           8
        .value_kind:     by_value
      - .actual_access:  read_only
        .address_space:  global
        .offset:         32
        .size:           8
        .value_kind:     global_buffer
      - .offset:         40
        .size:           8
        .value_kind:     by_value
      - .offset:         48
        .size:           8
        .value_kind:     by_value
      - .offset:         56
        .size:           4
        .value_kind:     by_value
      - .actual_access:  read_only
        .address_space:  global
        .offset:         64
        .size:           8
        .value_kind:     global_buffer
      - .actual_access:  write_only
        .address_space:  global
        .offset:         72
        .size:           8
        .value_kind:     global_buffer
    .group_segment_fixed_size: 64
    .kernarg_segment_align: 8
    .kernarg_segment_size: 80
    .language:       OpenCL C
    .language_version:
      - 2
      - 0
    .max_flat_workgroup_size: 1024
    .name:           _ZL26rocblas_dot_kernel_inc1by2ILb1ELi1024ELi32ELb1EDF16_PKPKDF16_DF16_EviT4_llS4_lliPT5_PT3_
    .private_segment_fixed_size: 0
    .sgpr_count:     21
    .sgpr_spill_count: 0
    .symbol:         _ZL26rocblas_dot_kernel_inc1by2ILb1ELi1024ELi32ELb1EDF16_PKPKDF16_DF16_EviT4_llS4_lliPT5_PT3_.kd
    .uniform_work_group_size: 1
    .uses_dynamic_stack: false
    .vgpr_count:     11
    .vgpr_spill_count: 0
    .wavefront_size: 32
    .workgroup_processor_mode: 1
  - .args:
      - .offset:         0
        .size:           4
        .value_kind:     by_value
      - .actual_access:  read_only
        .address_space:  global
        .offset:         8
        .size:           8
        .value_kind:     global_buffer
      - .offset:         16
        .size:           8
        .value_kind:     by_value
      - .offset:         24
        .size:           4
        .value_kind:     by_value
      - .offset:         32
        .size:           8
        .value_kind:     by_value
      - .actual_access:  read_only
        .address_space:  global
        .offset:         40
        .size:           8
        .value_kind:     global_buffer
      - .offset:         48
        .size:           8
        .value_kind:     by_value
      - .offset:         56
        .size:           4
        .value_kind:     by_value
      - .offset:         64
        .size:           8
        .value_kind:     by_value
      - .offset:         72
        .size:           4
        .value_kind:     by_value
      - .actual_access:  read_only
        .address_space:  global
        .offset:         80
        .size:           8
        .value_kind:     global_buffer
      - .actual_access:  write_only
        .address_space:  global
        .offset:         88
        .size:           8
        .value_kind:     global_buffer
      - .offset:         96
        .size:           4
        .value_kind:     hidden_block_count_x
      - .offset:         100
        .size:           4
        .value_kind:     hidden_block_count_y
      - .offset:         104
        .size:           4
        .value_kind:     hidden_block_count_z
      - .offset:         108
        .size:           2
        .value_kind:     hidden_group_size_x
      - .offset:         110
        .size:           2
        .value_kind:     hidden_group_size_y
      - .offset:         112
        .size:           2
        .value_kind:     hidden_group_size_z
      - .offset:         114
        .size:           2
        .value_kind:     hidden_remainder_x
      - .offset:         116
        .size:           2
        .value_kind:     hidden_remainder_y
      - .offset:         118
        .size:           2
        .value_kind:     hidden_remainder_z
      - .offset:         136
        .size:           8
        .value_kind:     hidden_global_offset_x
      - .offset:         144
        .size:           8
        .value_kind:     hidden_global_offset_y
      - .offset:         152
        .size:           8
        .value_kind:     hidden_global_offset_z
      - .offset:         160
        .size:           2
        .value_kind:     hidden_grid_dims
    .group_segment_fixed_size: 64
    .kernarg_segment_align: 8
    .kernarg_segment_size: 352
    .language:       OpenCL C
    .language_version:
      - 2
      - 0
    .max_flat_workgroup_size: 1024
    .name:           _ZL18rocblas_dot_kernelIiLb1ELi1024ELi32ELb1EDF16_PKPKDF16_DF16_EviT5_lT_lS4_lS5_liPT6_PT4_
    .private_segment_fixed_size: 0
    .sgpr_count:     23
    .sgpr_spill_count: 0
    .symbol:         _ZL18rocblas_dot_kernelIiLb1ELi1024ELi32ELb1EDF16_PKPKDF16_DF16_EviT5_lT_lS4_lS5_liPT6_PT4_.kd
    .uniform_work_group_size: 1
    .uses_dynamic_stack: false
    .vgpr_count:     11
    .vgpr_spill_count: 0
    .wavefront_size: 32
    .workgroup_processor_mode: 1
  - .args:
      - .offset:         0
        .size:           4
        .value_kind:     by_value
      - .actual_access:  read_only
        .address_space:  global
        .offset:         8
        .size:           8
        .value_kind:     global_buffer
      - .offset:         16
        .size:           8
        .value_kind:     by_value
      - .offset:         24
        .size:           4
        .value_kind:     by_value
      - .offset:         32
        .size:           8
        .value_kind:     by_value
      - .offset:         40
        .size:           4
        .value_kind:     by_value
      - .actual_access:  read_only
        .address_space:  global
        .offset:         48
        .size:           8
        .value_kind:     global_buffer
      - .actual_access:  write_only
        .address_space:  global
        .offset:         56
        .size:           8
        .value_kind:     global_buffer
      - .offset:         64
        .size:           4
        .value_kind:     hidden_block_count_x
      - .offset:         68
        .size:           4
        .value_kind:     hidden_block_count_y
      - .offset:         72
        .size:           4
        .value_kind:     hidden_block_count_z
      - .offset:         76
        .size:           2
        .value_kind:     hidden_group_size_x
      - .offset:         78
        .size:           2
        .value_kind:     hidden_group_size_y
      - .offset:         80
        .size:           2
        .value_kind:     hidden_group_size_z
      - .offset:         82
        .size:           2
        .value_kind:     hidden_remainder_x
      - .offset:         84
        .size:           2
        .value_kind:     hidden_remainder_y
      - .offset:         86
        .size:           2
        .value_kind:     hidden_remainder_z
      - .offset:         104
        .size:           8
        .value_kind:     hidden_global_offset_x
      - .offset:         112
        .size:           8
        .value_kind:     hidden_global_offset_y
      - .offset:         120
        .size:           8
        .value_kind:     hidden_global_offset_z
      - .offset:         128
        .size:           2
        .value_kind:     hidden_grid_dims
    .group_segment_fixed_size: 64
    .kernarg_segment_align: 8
    .kernarg_segment_size: 320
    .language:       OpenCL C
    .language_version:
      - 2
      - 0
    .max_flat_workgroup_size: 1024
    .name:           _ZL24rocblas_dot_kernel_magsqIiLb1ELi1024ELi32ELb1EDF16_PKPKDF16_DF16_EviT5_lT_liPT6_PT4_
    .private_segment_fixed_size: 0
    .sgpr_count:     19
    .sgpr_spill_count: 0
    .symbol:         _ZL24rocblas_dot_kernel_magsqIiLb1ELi1024ELi32ELb1EDF16_PKPKDF16_DF16_EviT5_lT_liPT6_PT4_.kd
    .uniform_work_group_size: 1
    .uses_dynamic_stack: false
    .vgpr_count:     11
    .vgpr_spill_count: 0
    .wavefront_size: 32
    .workgroup_processor_mode: 1
  - .args:
      - .offset:         0
        .size:           4
        .value_kind:     by_value
      - .actual_access:  read_only
        .address_space:  global
        .offset:         8
        .size:           8
        .value_kind:     global_buffer
      - .offset:         16
        .size:           8
        .value_kind:     by_value
      - .offset:         24
        .size:           8
        .value_kind:     by_value
      - .actual_access:  read_only
        .address_space:  global
        .offset:         32
        .size:           8
        .value_kind:     global_buffer
      - .offset:         40
        .size:           8
        .value_kind:     by_value
      - .offset:         48
        .size:           8
        .value_kind:     by_value
      - .offset:         56
        .size:           4
        .value_kind:     by_value
      - .actual_access:  write_only
        .address_space:  global
        .offset:         64
        .size:           8
        .value_kind:     global_buffer
      - .actual_access:  write_only
        .address_space:  global
        .offset:         72
        .size:           8
        .value_kind:     global_buffer
      - .offset:         80
        .size:           4
        .value_kind:     hidden_block_count_x
      - .offset:         84
        .size:           4
        .value_kind:     hidden_block_count_y
      - .offset:         88
        .size:           4
        .value_kind:     hidden_block_count_z
      - .offset:         92
        .size:           2
        .value_kind:     hidden_group_size_x
      - .offset:         94
        .size:           2
        .value_kind:     hidden_group_size_y
      - .offset:         96
        .size:           2
        .value_kind:     hidden_group_size_z
      - .offset:         98
        .size:           2
        .value_kind:     hidden_remainder_x
      - .offset:         100
        .size:           2
        .value_kind:     hidden_remainder_y
      - .offset:         102
        .size:           2
        .value_kind:     hidden_remainder_z
      - .offset:         120
        .size:           8
        .value_kind:     hidden_global_offset_x
      - .offset:         128
        .size:           8
        .value_kind:     hidden_global_offset_y
      - .offset:         136
        .size:           8
        .value_kind:     hidden_global_offset_z
      - .offset:         144
        .size:           2
        .value_kind:     hidden_grid_dims
    .group_segment_fixed_size: 64
    .kernarg_segment_align: 8
    .kernarg_segment_size: 336
    .language:       OpenCL C
    .language_version:
      - 2
      - 0
    .max_flat_workgroup_size: 512
    .name:           _ZL23rocblas_dot_kernel_inc1ILb0ELi512ELi8ELb1EDF16_PKPKDF16_DF16_EviT4_llS4_lliPT5_PT3_
    .private_segment_fixed_size: 0
    .sgpr_count:     26
    .sgpr_spill_count: 0
    .symbol:         _ZL23rocblas_dot_kernel_inc1ILb0ELi512ELi8ELb1EDF16_PKPKDF16_DF16_EviT4_llS4_lliPT5_PT3_.kd
    .uniform_work_group_size: 1
    .uses_dynamic_stack: false
    .vgpr_count:     10
    .vgpr_spill_count: 0
    .wavefront_size: 32
    .workgroup_processor_mode: 1
  - .args:
      - .offset:         0
        .size:           4
        .value_kind:     by_value
      - .actual_access:  read_only
        .address_space:  global
        .offset:         8
        .size:           8
        .value_kind:     global_buffer
      - .offset:         16
        .size:           8
        .value_kind:     by_value
      - .offset:         24
        .size:           4
        .value_kind:     by_value
      - .offset:         32
        .size:           8
        .value_kind:     by_value
      - .actual_access:  read_only
        .address_space:  global
        .offset:         40
        .size:           8
        .value_kind:     global_buffer
      - .offset:         48
        .size:           8
        .value_kind:     by_value
      - .offset:         56
        .size:           4
        .value_kind:     by_value
      - .offset:         64
        .size:           8
        .value_kind:     by_value
      - .offset:         72
        .size:           4
        .value_kind:     by_value
      - .actual_access:  write_only
        .address_space:  global
        .offset:         80
        .size:           8
        .value_kind:     global_buffer
      - .actual_access:  write_only
        .address_space:  global
        .offset:         88
        .size:           8
        .value_kind:     global_buffer
      - .offset:         96
        .size:           4
        .value_kind:     hidden_block_count_x
      - .offset:         100
        .size:           4
        .value_kind:     hidden_block_count_y
      - .offset:         104
        .size:           4
        .value_kind:     hidden_block_count_z
      - .offset:         108
        .size:           2
        .value_kind:     hidden_group_size_x
      - .offset:         110
        .size:           2
        .value_kind:     hidden_group_size_y
      - .offset:         112
        .size:           2
        .value_kind:     hidden_group_size_z
      - .offset:         114
        .size:           2
        .value_kind:     hidden_remainder_x
      - .offset:         116
        .size:           2
        .value_kind:     hidden_remainder_y
      - .offset:         118
        .size:           2
        .value_kind:     hidden_remainder_z
      - .offset:         136
        .size:           8
        .value_kind:     hidden_global_offset_x
      - .offset:         144
        .size:           8
        .value_kind:     hidden_global_offset_y
      - .offset:         152
        .size:           8
        .value_kind:     hidden_global_offset_z
      - .offset:         160
        .size:           2
        .value_kind:     hidden_grid_dims
    .group_segment_fixed_size: 64
    .kernarg_segment_align: 8
    .kernarg_segment_size: 352
    .language:       OpenCL C
    .language_version:
      - 2
      - 0
    .max_flat_workgroup_size: 512
    .name:           _ZL18rocblas_dot_kernelIiLb0ELi512ELi8ELb1EDF16_PKPKDF16_DF16_EviT5_lT_lS4_lS5_liPT6_PT4_
    .private_segment_fixed_size: 0
    .sgpr_count:     27
    .sgpr_spill_count: 0
    .symbol:         _ZL18rocblas_dot_kernelIiLb0ELi512ELi8ELb1EDF16_PKPKDF16_DF16_EviT5_lT_lS4_lS5_liPT6_PT4_.kd
    .uniform_work_group_size: 1
    .uses_dynamic_stack: false
    .vgpr_count:     10
    .vgpr_spill_count: 0
    .wavefront_size: 32
    .workgroup_processor_mode: 1
  - .args:
      - .offset:         0
        .size:           4
        .value_kind:     by_value
      - .actual_access:  read_only
        .address_space:  global
        .offset:         8
        .size:           8
        .value_kind:     global_buffer
      - .offset:         16
        .size:           8
        .value_kind:     by_value
      - .offset:         24
        .size:           4
        .value_kind:     by_value
      - .offset:         32
        .size:           8
        .value_kind:     by_value
      - .offset:         40
        .size:           4
        .value_kind:     by_value
      - .actual_access:  write_only
        .address_space:  global
        .offset:         48
        .size:           8
        .value_kind:     global_buffer
      - .actual_access:  write_only
        .address_space:  global
        .offset:         56
        .size:           8
        .value_kind:     global_buffer
      - .offset:         64
        .size:           4
        .value_kind:     hidden_block_count_x
      - .offset:         68
        .size:           4
        .value_kind:     hidden_block_count_y
      - .offset:         72
        .size:           4
        .value_kind:     hidden_block_count_z
      - .offset:         76
        .size:           2
        .value_kind:     hidden_group_size_x
      - .offset:         78
        .size:           2
        .value_kind:     hidden_group_size_y
      - .offset:         80
        .size:           2
        .value_kind:     hidden_group_size_z
      - .offset:         82
        .size:           2
        .value_kind:     hidden_remainder_x
      - .offset:         84
        .size:           2
        .value_kind:     hidden_remainder_y
      - .offset:         86
        .size:           2
        .value_kind:     hidden_remainder_z
      - .offset:         104
        .size:           8
        .value_kind:     hidden_global_offset_x
      - .offset:         112
        .size:           8
        .value_kind:     hidden_global_offset_y
      - .offset:         120
        .size:           8
        .value_kind:     hidden_global_offset_z
      - .offset:         128
        .size:           2
        .value_kind:     hidden_grid_dims
    .group_segment_fixed_size: 64
    .kernarg_segment_align: 8
    .kernarg_segment_size: 320
    .language:       OpenCL C
    .language_version:
      - 2
      - 0
    .max_flat_workgroup_size: 512
    .name:           _ZL24rocblas_dot_kernel_magsqIiLb0ELi512ELi8ELb1EDF16_PKPKDF16_DF16_EviT5_lT_liPT6_PT4_
    .private_segment_fixed_size: 0
    .sgpr_count:     22
    .sgpr_spill_count: 0
    .symbol:         _ZL24rocblas_dot_kernel_magsqIiLb0ELi512ELi8ELb1EDF16_PKPKDF16_DF16_EviT5_lT_liPT6_PT4_.kd
    .uniform_work_group_size: 1
    .uses_dynamic_stack: false
    .vgpr_count:     10
    .vgpr_spill_count: 0
    .wavefront_size: 32
    .workgroup_processor_mode: 1
  - .args:
      - .offset:         0
        .size:           4
        .value_kind:     by_value
      - .actual_access:  read_only
        .address_space:  global
        .offset:         8
        .size:           8
        .value_kind:     global_buffer
      - .offset:         16
        .size:           8
        .value_kind:     by_value
      - .offset:         24
        .size:           8
        .value_kind:     by_value
      - .offset:         32
        .size:           8
        .value_kind:     by_value
      - .actual_access:  read_only
        .address_space:  global
        .offset:         40
        .size:           8
        .value_kind:     global_buffer
      - .offset:         48
        .size:           8
        .value_kind:     by_value
      - .offset:         56
        .size:           8
        .value_kind:     by_value
      - .offset:         64
        .size:           8
        .value_kind:     by_value
      - .offset:         72
        .size:           4
        .value_kind:     by_value
      - .actual_access:  write_only
        .address_space:  global
        .offset:         80
        .size:           8
        .value_kind:     global_buffer
    .group_segment_fixed_size: 0
    .kernarg_segment_align: 8
    .kernarg_segment_size: 88
    .language:       OpenCL C
    .language_version:
      - 2
      - 0
    .max_flat_workgroup_size: 128
    .name:           _ZL28rocblas_dot_batched_4_kernelIlLi32ELi4ELb1EDF16_DF16_PKPKDF16_EviT5_lT_lS4_lS5_liPT4_
    .private_segment_fixed_size: 0
    .sgpr_count:     18
    .sgpr_spill_count: 0
    .symbol:         _ZL28rocblas_dot_batched_4_kernelIlLi32ELi4ELb1EDF16_DF16_PKPKDF16_EviT5_lT_lS4_lS5_liPT4_.kd
    .uniform_work_group_size: 1
    .uses_dynamic_stack: false
    .vgpr_count:     14
    .vgpr_spill_count: 0
    .wavefront_size: 32
    .workgroup_processor_mode: 1
  - .args:
      - .offset:         0
        .size:           4
        .value_kind:     by_value
      - .actual_access:  read_only
        .address_space:  global
        .offset:         8
        .size:           8
        .value_kind:     global_buffer
      - .offset:         16
        .size:           8
        .value_kind:     by_value
      - .offset:         24
        .size:           8
        .value_kind:     by_value
      - .offset:         32
        .size:           8
        .value_kind:     by_value
      - .actual_access:  read_only
        .address_space:  global
        .offset:         40
        .size:           8
        .value_kind:     global_buffer
      - .offset:         48
        .size:           8
        .value_kind:     by_value
      - .offset:         56
        .size:           8
        .value_kind:     by_value
      - .offset:         64
        .size:           8
        .value_kind:     by_value
      - .offset:         72
        .size:           4
        .value_kind:     by_value
      - .actual_access:  write_only
        .address_space:  global
        .offset:         80
        .size:           8
        .value_kind:     global_buffer
    .group_segment_fixed_size: 0
    .kernarg_segment_align: 8
    .kernarg_segment_size: 88
    .language:       OpenCL C
    .language_version:
      - 2
      - 0
    .max_flat_workgroup_size: 256
    .name:           _ZL28rocblas_dot_batched_4_kernelIlLi64ELi4ELb1EDF16_DF16_PKPKDF16_EviT5_lT_lS4_lS5_liPT4_
    .private_segment_fixed_size: 0
    .sgpr_count:     18
    .sgpr_spill_count: 0
    .symbol:         _ZL28rocblas_dot_batched_4_kernelIlLi64ELi4ELb1EDF16_DF16_PKPKDF16_EviT5_lT_lS4_lS5_liPT4_.kd
    .uniform_work_group_size: 1
    .uses_dynamic_stack: false
    .vgpr_count:     14
    .vgpr_spill_count: 0
    .wavefront_size: 32
    .workgroup_processor_mode: 1
  - .args:
      - .offset:         0
        .size:           4
        .value_kind:     by_value
      - .actual_access:  read_only
        .address_space:  global
        .offset:         8
        .size:           8
        .value_kind:     global_buffer
      - .offset:         16
        .size:           8
        .value_kind:     by_value
      - .offset:         24
        .size:           8
        .value_kind:     by_value
      - .offset:         32
        .size:           8
        .value_kind:     by_value
      - .actual_access:  read_only
        .address_space:  global
        .offset:         40
        .size:           8
        .value_kind:     global_buffer
      - .offset:         48
        .size:           8
        .value_kind:     by_value
      - .offset:         56
        .size:           8
        .value_kind:     by_value
      - .offset:         64
        .size:           8
        .value_kind:     by_value
      - .offset:         72
        .size:           4
        .value_kind:     by_value
      - .actual_access:  read_only
        .address_space:  global
        .offset:         80
        .size:           8
        .value_kind:     global_buffer
      - .actual_access:  write_only
        .address_space:  global
        .offset:         88
        .size:           8
        .value_kind:     global_buffer
      - .offset:         96
        .size:           4
        .value_kind:     hidden_block_count_x
      - .offset:         100
        .size:           4
        .value_kind:     hidden_block_count_y
      - .offset:         104
        .size:           4
        .value_kind:     hidden_block_count_z
      - .offset:         108
        .size:           2
        .value_kind:     hidden_group_size_x
      - .offset:         110
        .size:           2
        .value_kind:     hidden_group_size_y
      - .offset:         112
        .size:           2
        .value_kind:     hidden_group_size_z
      - .offset:         114
        .size:           2
        .value_kind:     hidden_remainder_x
      - .offset:         116
        .size:           2
        .value_kind:     hidden_remainder_y
      - .offset:         118
        .size:           2
        .value_kind:     hidden_remainder_z
      - .offset:         136
        .size:           8
        .value_kind:     hidden_global_offset_x
      - .offset:         144
        .size:           8
        .value_kind:     hidden_global_offset_y
      - .offset:         152
        .size:           8
        .value_kind:     hidden_global_offset_z
      - .offset:         160
        .size:           2
        .value_kind:     hidden_grid_dims
    .group_segment_fixed_size: 64
    .kernarg_segment_align: 8
    .kernarg_segment_size: 352
    .language:       OpenCL C
    .language_version:
      - 2
      - 0
    .max_flat_workgroup_size: 1024
    .name:           _ZL18rocblas_dot_kernelIlLb1ELi1024ELi32ELb1EDF16_PKPKDF16_DF16_EviT5_lT_lS4_lS5_liPT6_PT4_
    .private_segment_fixed_size: 0
    .sgpr_count:     27
    .sgpr_spill_count: 0
    .symbol:         _ZL18rocblas_dot_kernelIlLb1ELi1024ELi32ELb1EDF16_PKPKDF16_DF16_EviT5_lT_lS4_lS5_liPT6_PT4_.kd
    .uniform_work_group_size: 1
    .uses_dynamic_stack: false
    .vgpr_count:     11
    .vgpr_spill_count: 0
    .wavefront_size: 32
    .workgroup_processor_mode: 1
  - .args:
      - .offset:         0
        .size:           4
        .value_kind:     by_value
      - .actual_access:  read_only
        .address_space:  global
        .offset:         8
        .size:           8
        .value_kind:     global_buffer
      - .offset:         16
        .size:           8
        .value_kind:     by_value
      - .offset:         24
        .size:           8
        .value_kind:     by_value
      - .offset:         32
        .size:           8
        .value_kind:     by_value
      - .offset:         40
        .size:           4
        .value_kind:     by_value
      - .actual_access:  read_only
        .address_space:  global
        .offset:         48
        .size:           8
        .value_kind:     global_buffer
      - .actual_access:  write_only
        .address_space:  global
        .offset:         56
        .size:           8
        .value_kind:     global_buffer
      - .offset:         64
        .size:           4
        .value_kind:     hidden_block_count_x
      - .offset:         68
        .size:           4
        .value_kind:     hidden_block_count_y
      - .offset:         72
        .size:           4
        .value_kind:     hidden_block_count_z
      - .offset:         76
        .size:           2
        .value_kind:     hidden_group_size_x
      - .offset:         78
        .size:           2
        .value_kind:     hidden_group_size_y
      - .offset:         80
        .size:           2
        .value_kind:     hidden_group_size_z
      - .offset:         82
        .size:           2
        .value_kind:     hidden_remainder_x
      - .offset:         84
        .size:           2
        .value_kind:     hidden_remainder_y
      - .offset:         86
        .size:           2
        .value_kind:     hidden_remainder_z
      - .offset:         104
        .size:           8
        .value_kind:     hidden_global_offset_x
      - .offset:         112
        .size:           8
        .value_kind:     hidden_global_offset_y
      - .offset:         120
        .size:           8
        .value_kind:     hidden_global_offset_z
      - .offset:         128
        .size:           2
        .value_kind:     hidden_grid_dims
    .group_segment_fixed_size: 64
    .kernarg_segment_align: 8
    .kernarg_segment_size: 320
    .language:       OpenCL C
    .language_version:
      - 2
      - 0
    .max_flat_workgroup_size: 1024
    .name:           _ZL24rocblas_dot_kernel_magsqIlLb1ELi1024ELi32ELb1EDF16_PKPKDF16_DF16_EviT5_lT_liPT6_PT4_
    .private_segment_fixed_size: 0
    .sgpr_count:     19
    .sgpr_spill_count: 0
    .symbol:         _ZL24rocblas_dot_kernel_magsqIlLb1ELi1024ELi32ELb1EDF16_PKPKDF16_DF16_EviT5_lT_liPT6_PT4_.kd
    .uniform_work_group_size: 1
    .uses_dynamic_stack: false
    .vgpr_count:     11
    .vgpr_spill_count: 0
    .wavefront_size: 32
    .workgroup_processor_mode: 1
  - .args:
      - .offset:         0
        .size:           4
        .value_kind:     by_value
      - .actual_access:  read_only
        .address_space:  global
        .offset:         8
        .size:           8
        .value_kind:     global_buffer
      - .offset:         16
        .size:           8
        .value_kind:     by_value
      - .offset:         24
        .size:           8
        .value_kind:     by_value
      - .offset:         32
        .size:           8
        .value_kind:     by_value
      - .actual_access:  read_only
        .address_space:  global
        .offset:         40
        .size:           8
        .value_kind:     global_buffer
      - .offset:         48
        .size:           8
        .value_kind:     by_value
      - .offset:         56
        .size:           8
        .value_kind:     by_value
      - .offset:         64
        .size:           8
        .value_kind:     by_value
      - .offset:         72
        .size:           4
        .value_kind:     by_value
      - .actual_access:  write_only
        .address_space:  global
        .offset:         80
        .size:           8
        .value_kind:     global_buffer
      - .actual_access:  write_only
        .address_space:  global
        .offset:         88
        .size:           8
        .value_kind:     global_buffer
      - .offset:         96
        .size:           4
        .value_kind:     hidden_block_count_x
      - .offset:         100
        .size:           4
        .value_kind:     hidden_block_count_y
      - .offset:         104
        .size:           4
        .value_kind:     hidden_block_count_z
      - .offset:         108
        .size:           2
        .value_kind:     hidden_group_size_x
      - .offset:         110
        .size:           2
        .value_kind:     hidden_group_size_y
      - .offset:         112
        .size:           2
        .value_kind:     hidden_group_size_z
      - .offset:         114
        .size:           2
        .value_kind:     hidden_remainder_x
      - .offset:         116
        .size:           2
        .value_kind:     hidden_remainder_y
      - .offset:         118
        .size:           2
        .value_kind:     hidden_remainder_z
      - .offset:         136
        .size:           8
        .value_kind:     hidden_global_offset_x
      - .offset:         144
        .size:           8
        .value_kind:     hidden_global_offset_y
      - .offset:         152
        .size:           8
        .value_kind:     hidden_global_offset_z
      - .offset:         160
        .size:           2
        .value_kind:     hidden_grid_dims
    .group_segment_fixed_size: 64
    .kernarg_segment_align: 8
    .kernarg_segment_size: 352
    .language:       OpenCL C
    .language_version:
      - 2
      - 0
    .max_flat_workgroup_size: 512
    .name:           _ZL18rocblas_dot_kernelIlLb0ELi512ELi8ELb1EDF16_PKPKDF16_DF16_EviT5_lT_lS4_lS5_liPT6_PT4_
    .private_segment_fixed_size: 0
    .sgpr_count:     31
    .sgpr_spill_count: 0
    .symbol:         _ZL18rocblas_dot_kernelIlLb0ELi512ELi8ELb1EDF16_PKPKDF16_DF16_EviT5_lT_lS4_lS5_liPT6_PT4_.kd
    .uniform_work_group_size: 1
    .uses_dynamic_stack: false
    .vgpr_count:     12
    .vgpr_spill_count: 0
    .wavefront_size: 32
    .workgroup_processor_mode: 1
  - .args:
      - .offset:         0
        .size:           4
        .value_kind:     by_value
      - .actual_access:  read_only
        .address_space:  global
        .offset:         8
        .size:           8
        .value_kind:     global_buffer
      - .offset:         16
        .size:           8
        .value_kind:     by_value
      - .offset:         24
        .size:           8
        .value_kind:     by_value
      - .offset:         32
        .size:           8
        .value_kind:     by_value
      - .offset:         40
        .size:           4
        .value_kind:     by_value
      - .actual_access:  write_only
        .address_space:  global
        .offset:         48
        .size:           8
        .value_kind:     global_buffer
      - .actual_access:  write_only
        .address_space:  global
        .offset:         56
        .size:           8
        .value_kind:     global_buffer
      - .offset:         64
        .size:           4
        .value_kind:     hidden_block_count_x
      - .offset:         68
        .size:           4
        .value_kind:     hidden_block_count_y
      - .offset:         72
        .size:           4
        .value_kind:     hidden_block_count_z
      - .offset:         76
        .size:           2
        .value_kind:     hidden_group_size_x
      - .offset:         78
        .size:           2
        .value_kind:     hidden_group_size_y
      - .offset:         80
        .size:           2
        .value_kind:     hidden_group_size_z
      - .offset:         82
        .size:           2
        .value_kind:     hidden_remainder_x
      - .offset:         84
        .size:           2
        .value_kind:     hidden_remainder_y
      - .offset:         86
        .size:           2
        .value_kind:     hidden_remainder_z
      - .offset:         104
        .size:           8
        .value_kind:     hidden_global_offset_x
      - .offset:         112
        .size:           8
        .value_kind:     hidden_global_offset_y
      - .offset:         120
        .size:           8
        .value_kind:     hidden_global_offset_z
      - .offset:         128
        .size:           2
        .value_kind:     hidden_grid_dims
    .group_segment_fixed_size: 64
    .kernarg_segment_align: 8
    .kernarg_segment_size: 320
    .language:       OpenCL C
    .language_version:
      - 2
      - 0
    .max_flat_workgroup_size: 512
    .name:           _ZL24rocblas_dot_kernel_magsqIlLb0ELi512ELi8ELb1EDF16_PKPKDF16_DF16_EviT5_lT_liPT6_PT4_
    .private_segment_fixed_size: 0
    .sgpr_count:     22
    .sgpr_spill_count: 0
    .symbol:         _ZL24rocblas_dot_kernel_magsqIlLb0ELi512ELi8ELb1EDF16_PKPKDF16_DF16_EviT5_lT_liPT6_PT4_.kd
    .uniform_work_group_size: 1
    .uses_dynamic_stack: false
    .vgpr_count:     10
    .vgpr_spill_count: 0
    .wavefront_size: 32
    .workgroup_processor_mode: 1
  - .args:
      - .offset:         0
        .size:           4
        .value_kind:     by_value
      - .actual_access:  read_only
        .address_space:  global
        .offset:         8
        .size:           8
        .value_kind:     global_buffer
      - .offset:         16
        .size:           8
        .value_kind:     by_value
      - .offset:         24
        .size:           4
        .value_kind:     by_value
      - .offset:         32
        .size:           8
        .value_kind:     by_value
      - .actual_access:  read_only
        .address_space:  global
        .offset:         40
        .size:           8
        .value_kind:     global_buffer
      - .offset:         48
        .size:           8
        .value_kind:     by_value
      - .offset:         56
        .size:           4
        .value_kind:     by_value
      - .offset:         64
        .size:           8
        .value_kind:     by_value
      - .offset:         72
        .size:           4
        .value_kind:     by_value
      - .actual_access:  write_only
        .address_space:  global
        .offset:         80
        .size:           8
        .value_kind:     global_buffer
    .group_segment_fixed_size: 0
    .kernarg_segment_align: 8
    .kernarg_segment_size: 88
    .language:       OpenCL C
    .language_version:
      - 2
      - 0
    .max_flat_workgroup_size: 128
    .name:           _ZL28rocblas_dot_batched_4_kernelIiLi32ELi4ELb1Ef16rocblas_bfloat16PKS0_EviT5_lT_lS3_lS4_liPT4_
    .private_segment_fixed_size: 0
    .sgpr_count:     22
    .sgpr_spill_count: 0
    .symbol:         _ZL28rocblas_dot_batched_4_kernelIiLi32ELi4ELb1Ef16rocblas_bfloat16PKS0_EviT5_lT_lS3_lS4_liPT4_.kd
    .uniform_work_group_size: 1
    .uses_dynamic_stack: false
    .vgpr_count:     14
    .vgpr_spill_count: 0
    .wavefront_size: 32
    .workgroup_processor_mode: 1
  - .args:
      - .offset:         0
        .size:           4
        .value_kind:     by_value
      - .actual_access:  read_only
        .address_space:  global
        .offset:         8
        .size:           8
        .value_kind:     global_buffer
      - .offset:         16
        .size:           8
        .value_kind:     by_value
      - .offset:         24
        .size:           4
        .value_kind:     by_value
      - .offset:         32
        .size:           8
        .value_kind:     by_value
      - .actual_access:  read_only
        .address_space:  global
        .offset:         40
        .size:           8
        .value_kind:     global_buffer
      - .offset:         48
        .size:           8
        .value_kind:     by_value
      - .offset:         56
        .size:           4
        .value_kind:     by_value
      - .offset:         64
        .size:           8
        .value_kind:     by_value
      - .offset:         72
        .size:           4
        .value_kind:     by_value
      - .actual_access:  write_only
        .address_space:  global
        .offset:         80
        .size:           8
        .value_kind:     global_buffer
    .group_segment_fixed_size: 0
    .kernarg_segment_align: 8
    .kernarg_segment_size: 88
    .language:       OpenCL C
    .language_version:
      - 2
      - 0
    .max_flat_workgroup_size: 256
    .name:           _ZL28rocblas_dot_batched_4_kernelIiLi64ELi4ELb1Ef16rocblas_bfloat16PKS0_EviT5_lT_lS3_lS4_liPT4_
    .private_segment_fixed_size: 0
    .sgpr_count:     22
    .sgpr_spill_count: 0
    .symbol:         _ZL28rocblas_dot_batched_4_kernelIiLi64ELi4ELb1Ef16rocblas_bfloat16PKS0_EviT5_lT_lS3_lS4_liPT4_.kd
    .uniform_work_group_size: 1
    .uses_dynamic_stack: false
    .vgpr_count:     14
    .vgpr_spill_count: 0
    .wavefront_size: 32
    .workgroup_processor_mode: 1
  - .args:
      - .offset:         0
        .size:           4
        .value_kind:     by_value
      - .actual_access:  read_only
        .address_space:  global
        .offset:         8
        .size:           8
        .value_kind:     global_buffer
      - .offset:         16
        .size:           8
        .value_kind:     by_value
      - .offset:         24
        .size:           8
        .value_kind:     by_value
      - .actual_access:  read_only
        .address_space:  global
        .offset:         32
        .size:           8
        .value_kind:     global_buffer
      - .offset:         40
        .size:           8
        .value_kind:     by_value
      - .offset:         48
        .size:           8
        .value_kind:     by_value
      - .offset:         56
        .size:           4
        .value_kind:     by_value
      - .actual_access:  read_only
        .address_space:  global
        .offset:         64
        .size:           8
        .value_kind:     global_buffer
      - .actual_access:  write_only
        .address_space:  global
        .offset:         72
        .size:           8
        .value_kind:     global_buffer
    .group_segment_fixed_size: 128
    .kernarg_segment_align: 8
    .kernarg_segment_size: 80
    .language:       OpenCL C
    .language_version:
      - 2
      - 0
    .max_flat_workgroup_size: 1024
    .name:           _ZL26rocblas_dot_kernel_inc1by2ILb1ELi1024ELi32ELb1E16rocblas_bfloat16PKS0_fEviT4_llS3_lliPT5_PT3_
    .private_segment_fixed_size: 0
    .sgpr_count:     26
    .sgpr_spill_count: 0
    .symbol:         _ZL26rocblas_dot_kernel_inc1by2ILb1ELi1024ELi32ELb1E16rocblas_bfloat16PKS0_fEviT4_llS3_lliPT5_PT3_.kd
    .uniform_work_group_size: 1
    .uses_dynamic_stack: false
    .vgpr_count:     11
    .vgpr_spill_count: 0
    .wavefront_size: 32
    .workgroup_processor_mode: 1
  - .args:
      - .offset:         0
        .size:           4
        .value_kind:     by_value
      - .actual_access:  read_only
        .address_space:  global
        .offset:         8
        .size:           8
        .value_kind:     global_buffer
      - .offset:         16
        .size:           8
        .value_kind:     by_value
      - .offset:         24
        .size:           4
        .value_kind:     by_value
      - .offset:         32
        .size:           8
        .value_kind:     by_value
      - .actual_access:  read_only
        .address_space:  global
        .offset:         40
        .size:           8
        .value_kind:     global_buffer
      - .offset:         48
        .size:           8
        .value_kind:     by_value
      - .offset:         56
        .size:           4
        .value_kind:     by_value
      - .offset:         64
        .size:           8
        .value_kind:     by_value
      - .offset:         72
        .size:           4
        .value_kind:     by_value
      - .actual_access:  read_only
        .address_space:  global
        .offset:         80
        .size:           8
        .value_kind:     global_buffer
      - .actual_access:  write_only
        .address_space:  global
        .offset:         88
        .size:           8
        .value_kind:     global_buffer
      - .offset:         96
        .size:           4
        .value_kind:     hidden_block_count_x
      - .offset:         100
        .size:           4
        .value_kind:     hidden_block_count_y
      - .offset:         104
        .size:           4
        .value_kind:     hidden_block_count_z
      - .offset:         108
        .size:           2
        .value_kind:     hidden_group_size_x
      - .offset:         110
        .size:           2
        .value_kind:     hidden_group_size_y
      - .offset:         112
        .size:           2
        .value_kind:     hidden_group_size_z
      - .offset:         114
        .size:           2
        .value_kind:     hidden_remainder_x
      - .offset:         116
        .size:           2
        .value_kind:     hidden_remainder_y
      - .offset:         118
        .size:           2
        .value_kind:     hidden_remainder_z
      - .offset:         136
        .size:           8
        .value_kind:     hidden_global_offset_x
      - .offset:         144
        .size:           8
        .value_kind:     hidden_global_offset_y
      - .offset:         152
        .size:           8
        .value_kind:     hidden_global_offset_z
      - .offset:         160
        .size:           2
        .value_kind:     hidden_grid_dims
    .group_segment_fixed_size: 128
    .kernarg_segment_align: 8
    .kernarg_segment_size: 352
    .language:       OpenCL C
    .language_version:
      - 2
      - 0
    .max_flat_workgroup_size: 1024
    .name:           _ZL18rocblas_dot_kernelIiLb1ELi1024ELi32ELb1E16rocblas_bfloat16PKS0_fEviT5_lT_lS3_lS4_liPT6_PT4_
    .private_segment_fixed_size: 0
    .sgpr_count:     27
    .sgpr_spill_count: 0
    .symbol:         _ZL18rocblas_dot_kernelIiLb1ELi1024ELi32ELb1E16rocblas_bfloat16PKS0_fEviT5_lT_lS3_lS4_liPT6_PT4_.kd
    .uniform_work_group_size: 1
    .uses_dynamic_stack: false
    .vgpr_count:     10
    .vgpr_spill_count: 0
    .wavefront_size: 32
    .workgroup_processor_mode: 1
  - .args:
      - .offset:         0
        .size:           4
        .value_kind:     by_value
      - .actual_access:  read_only
        .address_space:  global
        .offset:         8
        .size:           8
        .value_kind:     global_buffer
      - .offset:         16
        .size:           8
        .value_kind:     by_value
      - .offset:         24
        .size:           4
        .value_kind:     by_value
      - .offset:         32
        .size:           8
        .value_kind:     by_value
      - .offset:         40
        .size:           4
        .value_kind:     by_value
      - .actual_access:  read_only
        .address_space:  global
        .offset:         48
        .size:           8
        .value_kind:     global_buffer
      - .actual_access:  write_only
        .address_space:  global
        .offset:         56
        .size:           8
        .value_kind:     global_buffer
      - .offset:         64
        .size:           4
        .value_kind:     hidden_block_count_x
      - .offset:         68
        .size:           4
        .value_kind:     hidden_block_count_y
      - .offset:         72
        .size:           4
        .value_kind:     hidden_block_count_z
      - .offset:         76
        .size:           2
        .value_kind:     hidden_group_size_x
      - .offset:         78
        .size:           2
        .value_kind:     hidden_group_size_y
      - .offset:         80
        .size:           2
        .value_kind:     hidden_group_size_z
      - .offset:         82
        .size:           2
        .value_kind:     hidden_remainder_x
      - .offset:         84
        .size:           2
        .value_kind:     hidden_remainder_y
      - .offset:         86
        .size:           2
        .value_kind:     hidden_remainder_z
      - .offset:         104
        .size:           8
        .value_kind:     hidden_global_offset_x
      - .offset:         112
        .size:           8
        .value_kind:     hidden_global_offset_y
      - .offset:         120
        .size:           8
        .value_kind:     hidden_global_offset_z
      - .offset:         128
        .size:           2
        .value_kind:     hidden_grid_dims
    .group_segment_fixed_size: 128
    .kernarg_segment_align: 8
    .kernarg_segment_size: 320
    .language:       OpenCL C
    .language_version:
      - 2
      - 0
    .max_flat_workgroup_size: 1024
    .name:           _ZL24rocblas_dot_kernel_magsqIiLb1ELi1024ELi32ELb1E16rocblas_bfloat16PKS0_fEviT5_lT_liPT6_PT4_
    .private_segment_fixed_size: 0
    .sgpr_count:     19
    .sgpr_spill_count: 0
    .symbol:         _ZL24rocblas_dot_kernel_magsqIiLb1ELi1024ELi32ELb1E16rocblas_bfloat16PKS0_fEviT5_lT_liPT6_PT4_.kd
    .uniform_work_group_size: 1
    .uses_dynamic_stack: false
    .vgpr_count:     10
    .vgpr_spill_count: 0
    .wavefront_size: 32
    .workgroup_processor_mode: 1
  - .args:
      - .offset:         0
        .size:           4
        .value_kind:     by_value
      - .actual_access:  read_only
        .address_space:  global
        .offset:         8
        .size:           8
        .value_kind:     global_buffer
      - .offset:         16
        .size:           8
        .value_kind:     by_value
      - .offset:         24
        .size:           8
        .value_kind:     by_value
      - .actual_access:  read_only
        .address_space:  global
        .offset:         32
        .size:           8
        .value_kind:     global_buffer
      - .offset:         40
        .size:           8
        .value_kind:     by_value
      - .offset:         48
        .size:           8
        .value_kind:     by_value
      - .offset:         56
        .size:           4
        .value_kind:     by_value
      - .actual_access:  write_only
        .address_space:  global
        .offset:         64
        .size:           8
        .value_kind:     global_buffer
      - .actual_access:  write_only
        .address_space:  global
        .offset:         72
        .size:           8
        .value_kind:     global_buffer
      - .offset:         80
        .size:           4
        .value_kind:     hidden_block_count_x
      - .offset:         84
        .size:           4
        .value_kind:     hidden_block_count_y
      - .offset:         88
        .size:           4
        .value_kind:     hidden_block_count_z
      - .offset:         92
        .size:           2
        .value_kind:     hidden_group_size_x
      - .offset:         94
        .size:           2
        .value_kind:     hidden_group_size_y
      - .offset:         96
        .size:           2
        .value_kind:     hidden_group_size_z
      - .offset:         98
        .size:           2
        .value_kind:     hidden_remainder_x
      - .offset:         100
        .size:           2
        .value_kind:     hidden_remainder_y
      - .offset:         102
        .size:           2
        .value_kind:     hidden_remainder_z
      - .offset:         120
        .size:           8
        .value_kind:     hidden_global_offset_x
      - .offset:         128
        .size:           8
        .value_kind:     hidden_global_offset_y
      - .offset:         136
        .size:           8
        .value_kind:     hidden_global_offset_z
      - .offset:         144
        .size:           2
        .value_kind:     hidden_grid_dims
    .group_segment_fixed_size: 128
    .kernarg_segment_align: 8
    .kernarg_segment_size: 336
    .language:       OpenCL C
    .language_version:
      - 2
      - 0
    .max_flat_workgroup_size: 512
    .name:           _ZL23rocblas_dot_kernel_inc1ILb0ELi512ELi8ELb1E16rocblas_bfloat16PKS0_fEviT4_llS3_lliPT5_PT3_
    .private_segment_fixed_size: 0
    .sgpr_count:     26
    .sgpr_spill_count: 0
    .symbol:         _ZL23rocblas_dot_kernel_inc1ILb0ELi512ELi8ELb1E16rocblas_bfloat16PKS0_fEviT4_llS3_lliPT5_PT3_.kd
    .uniform_work_group_size: 1
    .uses_dynamic_stack: false
    .vgpr_count:     9
    .vgpr_spill_count: 0
    .wavefront_size: 32
    .workgroup_processor_mode: 1
  - .args:
      - .offset:         0
        .size:           4
        .value_kind:     by_value
      - .actual_access:  read_only
        .address_space:  global
        .offset:         8
        .size:           8
        .value_kind:     global_buffer
      - .offset:         16
        .size:           8
        .value_kind:     by_value
      - .offset:         24
        .size:           4
        .value_kind:     by_value
      - .offset:         32
        .size:           8
        .value_kind:     by_value
      - .actual_access:  read_only
        .address_space:  global
        .offset:         40
        .size:           8
        .value_kind:     global_buffer
      - .offset:         48
        .size:           8
        .value_kind:     by_value
      - .offset:         56
        .size:           4
        .value_kind:     by_value
      - .offset:         64
        .size:           8
        .value_kind:     by_value
      - .offset:         72
        .size:           4
        .value_kind:     by_value
      - .actual_access:  write_only
        .address_space:  global
        .offset:         80
        .size:           8
        .value_kind:     global_buffer
      - .actual_access:  write_only
        .address_space:  global
        .offset:         88
        .size:           8
        .value_kind:     global_buffer
      - .offset:         96
        .size:           4
        .value_kind:     hidden_block_count_x
      - .offset:         100
        .size:           4
        .value_kind:     hidden_block_count_y
      - .offset:         104
        .size:           4
        .value_kind:     hidden_block_count_z
      - .offset:         108
        .size:           2
        .value_kind:     hidden_group_size_x
      - .offset:         110
        .size:           2
        .value_kind:     hidden_group_size_y
      - .offset:         112
        .size:           2
        .value_kind:     hidden_group_size_z
      - .offset:         114
        .size:           2
        .value_kind:     hidden_remainder_x
      - .offset:         116
        .size:           2
        .value_kind:     hidden_remainder_y
      - .offset:         118
        .size:           2
        .value_kind:     hidden_remainder_z
      - .offset:         136
        .size:           8
        .value_kind:     hidden_global_offset_x
      - .offset:         144
        .size:           8
        .value_kind:     hidden_global_offset_y
      - .offset:         152
        .size:           8
        .value_kind:     hidden_global_offset_z
      - .offset:         160
        .size:           2
        .value_kind:     hidden_grid_dims
    .group_segment_fixed_size: 128
    .kernarg_segment_align: 8
    .kernarg_segment_size: 352
    .language:       OpenCL C
    .language_version:
      - 2
      - 0
    .max_flat_workgroup_size: 512
    .name:           _ZL18rocblas_dot_kernelIiLb0ELi512ELi8ELb1E16rocblas_bfloat16PKS0_fEviT5_lT_lS3_lS4_liPT6_PT4_
    .private_segment_fixed_size: 0
    .sgpr_count:     30
    .sgpr_spill_count: 0
    .symbol:         _ZL18rocblas_dot_kernelIiLb0ELi512ELi8ELb1E16rocblas_bfloat16PKS0_fEviT5_lT_lS3_lS4_liPT6_PT4_.kd
    .uniform_work_group_size: 1
    .uses_dynamic_stack: false
    .vgpr_count:     10
    .vgpr_spill_count: 0
    .wavefront_size: 32
    .workgroup_processor_mode: 1
  - .args:
      - .offset:         0
        .size:           4
        .value_kind:     by_value
      - .actual_access:  read_only
        .address_space:  global
        .offset:         8
        .size:           8
        .value_kind:     global_buffer
      - .offset:         16
        .size:           8
        .value_kind:     by_value
      - .offset:         24
        .size:           4
        .value_kind:     by_value
      - .offset:         32
        .size:           8
        .value_kind:     by_value
      - .offset:         40
        .size:           4
        .value_kind:     by_value
      - .actual_access:  write_only
        .address_space:  global
        .offset:         48
        .size:           8
        .value_kind:     global_buffer
      - .actual_access:  write_only
        .address_space:  global
        .offset:         56
        .size:           8
        .value_kind:     global_buffer
      - .offset:         64
        .size:           4
        .value_kind:     hidden_block_count_x
      - .offset:         68
        .size:           4
        .value_kind:     hidden_block_count_y
      - .offset:         72
        .size:           4
        .value_kind:     hidden_block_count_z
      - .offset:         76
        .size:           2
        .value_kind:     hidden_group_size_x
      - .offset:         78
        .size:           2
        .value_kind:     hidden_group_size_y
      - .offset:         80
        .size:           2
        .value_kind:     hidden_group_size_z
      - .offset:         82
        .size:           2
        .value_kind:     hidden_remainder_x
      - .offset:         84
        .size:           2
        .value_kind:     hidden_remainder_y
      - .offset:         86
        .size:           2
        .value_kind:     hidden_remainder_z
      - .offset:         104
        .size:           8
        .value_kind:     hidden_global_offset_x
      - .offset:         112
        .size:           8
        .value_kind:     hidden_global_offset_y
      - .offset:         120
        .size:           8
        .value_kind:     hidden_global_offset_z
      - .offset:         128
        .size:           2
        .value_kind:     hidden_grid_dims
    .group_segment_fixed_size: 128
    .kernarg_segment_align: 8
    .kernarg_segment_size: 320
    .language:       OpenCL C
    .language_version:
      - 2
      - 0
    .max_flat_workgroup_size: 512
    .name:           _ZL24rocblas_dot_kernel_magsqIiLb0ELi512ELi8ELb1E16rocblas_bfloat16PKS0_fEviT5_lT_liPT6_PT4_
    .private_segment_fixed_size: 0
    .sgpr_count:     24
    .sgpr_spill_count: 0
    .symbol:         _ZL24rocblas_dot_kernel_magsqIiLb0ELi512ELi8ELb1E16rocblas_bfloat16PKS0_fEviT5_lT_liPT6_PT4_.kd
    .uniform_work_group_size: 1
    .uses_dynamic_stack: false
    .vgpr_count:     9
    .vgpr_spill_count: 0
    .wavefront_size: 32
    .workgroup_processor_mode: 1
  - .args:
      - .offset:         0
        .size:           4
        .value_kind:     by_value
      - .actual_access:  read_only
        .address_space:  global
        .offset:         8
        .size:           8
        .value_kind:     global_buffer
      - .offset:         16
        .size:           8
        .value_kind:     by_value
      - .offset:         24
        .size:           4
        .value_kind:     by_value
      - .offset:         32
        .size:           8
        .value_kind:     by_value
      - .actual_access:  read_only
        .address_space:  global
        .offset:         40
        .size:           8
        .value_kind:     global_buffer
      - .offset:         48
        .size:           8
        .value_kind:     by_value
      - .offset:         56
        .size:           4
        .value_kind:     by_value
      - .offset:         64
        .size:           8
        .value_kind:     by_value
      - .offset:         72
        .size:           4
        .value_kind:     by_value
      - .actual_access:  write_only
        .address_space:  global
        .offset:         80
        .size:           8
        .value_kind:     global_buffer
    .group_segment_fixed_size: 0
    .kernarg_segment_align: 8
    .kernarg_segment_size: 88
    .language:       OpenCL C
    .language_version:
      - 2
      - 0
    .max_flat_workgroup_size: 128
    .name:           _ZL28rocblas_dot_batched_4_kernelIiLi32ELi4ELb1EffPK16rocblas_bfloat16EviT5_lT_lS3_lS4_liPT4_
    .private_segment_fixed_size: 0
    .sgpr_count:     22
    .sgpr_spill_count: 0
    .symbol:         _ZL28rocblas_dot_batched_4_kernelIiLi32ELi4ELb1EffPK16rocblas_bfloat16EviT5_lT_lS3_lS4_liPT4_.kd
    .uniform_work_group_size: 1
    .uses_dynamic_stack: false
    .vgpr_count:     14
    .vgpr_spill_count: 0
    .wavefront_size: 32
    .workgroup_processor_mode: 1
  - .args:
      - .offset:         0
        .size:           4
        .value_kind:     by_value
      - .actual_access:  read_only
        .address_space:  global
        .offset:         8
        .size:           8
        .value_kind:     global_buffer
      - .offset:         16
        .size:           8
        .value_kind:     by_value
      - .offset:         24
        .size:           4
        .value_kind:     by_value
      - .offset:         32
        .size:           8
        .value_kind:     by_value
      - .actual_access:  read_only
        .address_space:  global
        .offset:         40
        .size:           8
        .value_kind:     global_buffer
      - .offset:         48
        .size:           8
        .value_kind:     by_value
      - .offset:         56
        .size:           4
        .value_kind:     by_value
      - .offset:         64
        .size:           8
        .value_kind:     by_value
      - .offset:         72
        .size:           4
        .value_kind:     by_value
      - .actual_access:  write_only
        .address_space:  global
        .offset:         80
        .size:           8
        .value_kind:     global_buffer
    .group_segment_fixed_size: 0
    .kernarg_segment_align: 8
    .kernarg_segment_size: 88
    .language:       OpenCL C
    .language_version:
      - 2
      - 0
    .max_flat_workgroup_size: 256
    .name:           _ZL28rocblas_dot_batched_4_kernelIiLi64ELi4ELb1EffPK16rocblas_bfloat16EviT5_lT_lS3_lS4_liPT4_
    .private_segment_fixed_size: 0
    .sgpr_count:     22
    .sgpr_spill_count: 0
    .symbol:         _ZL28rocblas_dot_batched_4_kernelIiLi64ELi4ELb1EffPK16rocblas_bfloat16EviT5_lT_lS3_lS4_liPT4_.kd
    .uniform_work_group_size: 1
    .uses_dynamic_stack: false
    .vgpr_count:     14
    .vgpr_spill_count: 0
    .wavefront_size: 32
    .workgroup_processor_mode: 1
  - .args:
      - .offset:         0
        .size:           4
        .value_kind:     by_value
      - .actual_access:  read_only
        .address_space:  global
        .offset:         8
        .size:           8
        .value_kind:     global_buffer
      - .offset:         16
        .size:           8
        .value_kind:     by_value
      - .offset:         24
        .size:           4
        .value_kind:     by_value
      - .offset:         32
        .size:           8
        .value_kind:     by_value
      - .actual_access:  read_only
        .address_space:  global
        .offset:         40
        .size:           8
        .value_kind:     global_buffer
      - .offset:         48
        .size:           8
        .value_kind:     by_value
      - .offset:         56
        .size:           4
        .value_kind:     by_value
      - .offset:         64
        .size:           8
        .value_kind:     by_value
      - .offset:         72
        .size:           4
        .value_kind:     by_value
      - .actual_access:  read_only
        .address_space:  global
        .offset:         80
        .size:           8
        .value_kind:     global_buffer
      - .actual_access:  write_only
        .address_space:  global
        .offset:         88
        .size:           8
        .value_kind:     global_buffer
      - .offset:         96
        .size:           4
        .value_kind:     hidden_block_count_x
      - .offset:         100
        .size:           4
        .value_kind:     hidden_block_count_y
      - .offset:         104
        .size:           4
        .value_kind:     hidden_block_count_z
      - .offset:         108
        .size:           2
        .value_kind:     hidden_group_size_x
      - .offset:         110
        .size:           2
        .value_kind:     hidden_group_size_y
      - .offset:         112
        .size:           2
        .value_kind:     hidden_group_size_z
      - .offset:         114
        .size:           2
        .value_kind:     hidden_remainder_x
      - .offset:         116
        .size:           2
        .value_kind:     hidden_remainder_y
      - .offset:         118
        .size:           2
        .value_kind:     hidden_remainder_z
      - .offset:         136
        .size:           8
        .value_kind:     hidden_global_offset_x
      - .offset:         144
        .size:           8
        .value_kind:     hidden_global_offset_y
      - .offset:         152
        .size:           8
        .value_kind:     hidden_global_offset_z
      - .offset:         160
        .size:           2
        .value_kind:     hidden_grid_dims
    .group_segment_fixed_size: 128
    .kernarg_segment_align: 8
    .kernarg_segment_size: 352
    .language:       OpenCL C
    .language_version:
      - 2
      - 0
    .max_flat_workgroup_size: 1024
    .name:           _ZL18rocblas_dot_kernelIiLb1ELi1024ELi32ELb1EfPK16rocblas_bfloat16fEviT5_lT_lS3_lS4_liPT6_PT4_
    .private_segment_fixed_size: 0
    .sgpr_count:     27
    .sgpr_spill_count: 0
    .symbol:         _ZL18rocblas_dot_kernelIiLb1ELi1024ELi32ELb1EfPK16rocblas_bfloat16fEviT5_lT_lS3_lS4_liPT6_PT4_.kd
    .uniform_work_group_size: 1
    .uses_dynamic_stack: false
    .vgpr_count:     10
    .vgpr_spill_count: 0
    .wavefront_size: 32
    .workgroup_processor_mode: 1
  - .args:
      - .offset:         0
        .size:           4
        .value_kind:     by_value
      - .actual_access:  read_only
        .address_space:  global
        .offset:         8
        .size:           8
        .value_kind:     global_buffer
      - .offset:         16
        .size:           8
        .value_kind:     by_value
      - .offset:         24
        .size:           4
        .value_kind:     by_value
      - .offset:         32
        .size:           8
        .value_kind:     by_value
      - .offset:         40
        .size:           4
        .value_kind:     by_value
      - .actual_access:  read_only
        .address_space:  global
        .offset:         48
        .size:           8
        .value_kind:     global_buffer
      - .actual_access:  write_only
        .address_space:  global
        .offset:         56
        .size:           8
        .value_kind:     global_buffer
      - .offset:         64
        .size:           4
        .value_kind:     hidden_block_count_x
      - .offset:         68
        .size:           4
        .value_kind:     hidden_block_count_y
      - .offset:         72
        .size:           4
        .value_kind:     hidden_block_count_z
      - .offset:         76
        .size:           2
        .value_kind:     hidden_group_size_x
      - .offset:         78
        .size:           2
        .value_kind:     hidden_group_size_y
      - .offset:         80
        .size:           2
        .value_kind:     hidden_group_size_z
      - .offset:         82
        .size:           2
        .value_kind:     hidden_remainder_x
      - .offset:         84
        .size:           2
        .value_kind:     hidden_remainder_y
      - .offset:         86
        .size:           2
        .value_kind:     hidden_remainder_z
      - .offset:         104
        .size:           8
        .value_kind:     hidden_global_offset_x
      - .offset:         112
        .size:           8
        .value_kind:     hidden_global_offset_y
      - .offset:         120
        .size:           8
        .value_kind:     hidden_global_offset_z
      - .offset:         128
        .size:           2
        .value_kind:     hidden_grid_dims
    .group_segment_fixed_size: 128
    .kernarg_segment_align: 8
    .kernarg_segment_size: 320
    .language:       OpenCL C
    .language_version:
      - 2
      - 0
    .max_flat_workgroup_size: 1024
    .name:           _ZL24rocblas_dot_kernel_magsqIiLb1ELi1024ELi32ELb1EfPK16rocblas_bfloat16fEviT5_lT_liPT6_PT4_
    .private_segment_fixed_size: 0
    .sgpr_count:     19
    .sgpr_spill_count: 0
    .symbol:         _ZL24rocblas_dot_kernel_magsqIiLb1ELi1024ELi32ELb1EfPK16rocblas_bfloat16fEviT5_lT_liPT6_PT4_.kd
    .uniform_work_group_size: 1
    .uses_dynamic_stack: false
    .vgpr_count:     10
    .vgpr_spill_count: 0
    .wavefront_size: 32
    .workgroup_processor_mode: 1
  - .args:
      - .offset:         0
        .size:           4
        .value_kind:     by_value
      - .actual_access:  read_only
        .address_space:  global
        .offset:         8
        .size:           8
        .value_kind:     global_buffer
      - .offset:         16
        .size:           8
        .value_kind:     by_value
      - .offset:         24
        .size:           4
        .value_kind:     by_value
      - .offset:         32
        .size:           8
        .value_kind:     by_value
      - .actual_access:  read_only
        .address_space:  global
        .offset:         40
        .size:           8
        .value_kind:     global_buffer
      - .offset:         48
        .size:           8
        .value_kind:     by_value
      - .offset:         56
        .size:           4
        .value_kind:     by_value
      - .offset:         64
        .size:           8
        .value_kind:     by_value
      - .offset:         72
        .size:           4
        .value_kind:     by_value
      - .actual_access:  write_only
        .address_space:  global
        .offset:         80
        .size:           8
        .value_kind:     global_buffer
      - .actual_access:  write_only
        .address_space:  global
        .offset:         88
        .size:           8
        .value_kind:     global_buffer
      - .offset:         96
        .size:           4
        .value_kind:     hidden_block_count_x
      - .offset:         100
        .size:           4
        .value_kind:     hidden_block_count_y
      - .offset:         104
        .size:           4
        .value_kind:     hidden_block_count_z
      - .offset:         108
        .size:           2
        .value_kind:     hidden_group_size_x
      - .offset:         110
        .size:           2
        .value_kind:     hidden_group_size_y
      - .offset:         112
        .size:           2
        .value_kind:     hidden_group_size_z
      - .offset:         114
        .size:           2
        .value_kind:     hidden_remainder_x
      - .offset:         116
        .size:           2
        .value_kind:     hidden_remainder_y
      - .offset:         118
        .size:           2
        .value_kind:     hidden_remainder_z
      - .offset:         136
        .size:           8
        .value_kind:     hidden_global_offset_x
      - .offset:         144
        .size:           8
        .value_kind:     hidden_global_offset_y
      - .offset:         152
        .size:           8
        .value_kind:     hidden_global_offset_z
      - .offset:         160
        .size:           2
        .value_kind:     hidden_grid_dims
    .group_segment_fixed_size: 128
    .kernarg_segment_align: 8
    .kernarg_segment_size: 352
    .language:       OpenCL C
    .language_version:
      - 2
      - 0
    .max_flat_workgroup_size: 512
    .name:           _ZL18rocblas_dot_kernelIiLb0ELi512ELi4ELb1EfPK16rocblas_bfloat16fEviT5_lT_lS3_lS4_liPT6_PT4_
    .private_segment_fixed_size: 0
    .sgpr_count:     30
    .sgpr_spill_count: 0
    .symbol:         _ZL18rocblas_dot_kernelIiLb0ELi512ELi4ELb1EfPK16rocblas_bfloat16fEviT5_lT_lS3_lS4_liPT6_PT4_.kd
    .uniform_work_group_size: 1
    .uses_dynamic_stack: false
    .vgpr_count:     10
    .vgpr_spill_count: 0
    .wavefront_size: 32
    .workgroup_processor_mode: 1
  - .args:
      - .offset:         0
        .size:           4
        .value_kind:     by_value
      - .actual_access:  read_only
        .address_space:  global
        .offset:         8
        .size:           8
        .value_kind:     global_buffer
      - .offset:         16
        .size:           8
        .value_kind:     by_value
      - .offset:         24
        .size:           4
        .value_kind:     by_value
      - .offset:         32
        .size:           8
        .value_kind:     by_value
      - .offset:         40
        .size:           4
        .value_kind:     by_value
      - .actual_access:  write_only
        .address_space:  global
        .offset:         48
        .size:           8
        .value_kind:     global_buffer
      - .actual_access:  write_only
        .address_space:  global
        .offset:         56
        .size:           8
        .value_kind:     global_buffer
      - .offset:         64
        .size:           4
        .value_kind:     hidden_block_count_x
      - .offset:         68
        .size:           4
        .value_kind:     hidden_block_count_y
      - .offset:         72
        .size:           4
        .value_kind:     hidden_block_count_z
      - .offset:         76
        .size:           2
        .value_kind:     hidden_group_size_x
      - .offset:         78
        .size:           2
        .value_kind:     hidden_group_size_y
      - .offset:         80
        .size:           2
        .value_kind:     hidden_group_size_z
      - .offset:         82
        .size:           2
        .value_kind:     hidden_remainder_x
      - .offset:         84
        .size:           2
        .value_kind:     hidden_remainder_y
      - .offset:         86
        .size:           2
        .value_kind:     hidden_remainder_z
      - .offset:         104
        .size:           8
        .value_kind:     hidden_global_offset_x
      - .offset:         112
        .size:           8
        .value_kind:     hidden_global_offset_y
      - .offset:         120
        .size:           8
        .value_kind:     hidden_global_offset_z
      - .offset:         128
        .size:           2
        .value_kind:     hidden_grid_dims
    .group_segment_fixed_size: 128
    .kernarg_segment_align: 8
    .kernarg_segment_size: 320
    .language:       OpenCL C
    .language_version:
      - 2
      - 0
    .max_flat_workgroup_size: 512
    .name:           _ZL24rocblas_dot_kernel_magsqIiLb0ELi512ELi4ELb1EfPK16rocblas_bfloat16fEviT5_lT_liPT6_PT4_
    .private_segment_fixed_size: 0
    .sgpr_count:     24
    .sgpr_spill_count: 0
    .symbol:         _ZL24rocblas_dot_kernel_magsqIiLb0ELi512ELi4ELb1EfPK16rocblas_bfloat16fEviT5_lT_liPT6_PT4_.kd
    .uniform_work_group_size: 1
    .uses_dynamic_stack: false
    .vgpr_count:     9
    .vgpr_spill_count: 0
    .wavefront_size: 32
    .workgroup_processor_mode: 1
  - .args:
      - .offset:         0
        .size:           4
        .value_kind:     by_value
      - .actual_access:  read_only
        .address_space:  global
        .offset:         8
        .size:           8
        .value_kind:     global_buffer
      - .actual_access:  write_only
        .address_space:  global
        .offset:         16
        .size:           8
        .value_kind:     global_buffer
    .group_segment_fixed_size: 128
    .kernarg_segment_align: 8
    .kernarg_segment_size: 24
    .language:       OpenCL C
    .language_version:
      - 2
      - 0
    .max_flat_workgroup_size: 512
    .name:           _ZL30rocblas_reduction_kernel_part2ILi512ELi8E25rocblas_finalize_identityf16rocblas_bfloat16EviPT2_PT3_
    .private_segment_fixed_size: 0
    .sgpr_count:     18
    .sgpr_spill_count: 0
    .symbol:         _ZL30rocblas_reduction_kernel_part2ILi512ELi8E25rocblas_finalize_identityf16rocblas_bfloat16EviPT2_PT3_.kd
    .uniform_work_group_size: 1
    .uses_dynamic_stack: false
    .vgpr_count:     13
    .vgpr_spill_count: 0
    .wavefront_size: 32
    .workgroup_processor_mode: 1
  - .args:
      - .offset:         0
        .size:           4
        .value_kind:     by_value
      - .actual_access:  read_only
        .address_space:  global
        .offset:         8
        .size:           8
        .value_kind:     global_buffer
      - .offset:         16
        .size:           8
        .value_kind:     by_value
      - .offset:         24
        .size:           8
        .value_kind:     by_value
      - .offset:         32
        .size:           8
        .value_kind:     by_value
      - .actual_access:  read_only
        .address_space:  global
        .offset:         40
        .size:           8
        .value_kind:     global_buffer
      - .offset:         48
        .size:           8
        .value_kind:     by_value
      - .offset:         56
        .size:           8
        .value_kind:     by_value
      - .offset:         64
        .size:           8
        .value_kind:     by_value
      - .offset:         72
        .size:           4
        .value_kind:     by_value
      - .actual_access:  write_only
        .address_space:  global
        .offset:         80
        .size:           8
        .value_kind:     global_buffer
    .group_segment_fixed_size: 0
    .kernarg_segment_align: 8
    .kernarg_segment_size: 88
    .language:       OpenCL C
    .language_version:
      - 2
      - 0
    .max_flat_workgroup_size: 128
    .name:           _ZL28rocblas_dot_batched_4_kernelIlLi32ELi4ELb1Ef16rocblas_bfloat16PKS0_EviT5_lT_lS3_lS4_liPT4_
    .private_segment_fixed_size: 0
    .sgpr_count:     22
    .sgpr_spill_count: 0
    .symbol:         _ZL28rocblas_dot_batched_4_kernelIlLi32ELi4ELb1Ef16rocblas_bfloat16PKS0_EviT5_lT_lS3_lS4_liPT4_.kd
    .uniform_work_group_size: 1
    .uses_dynamic_stack: false
    .vgpr_count:     17
    .vgpr_spill_count: 0
    .wavefront_size: 32
    .workgroup_processor_mode: 1
  - .args:
      - .offset:         0
        .size:           4
        .value_kind:     by_value
      - .actual_access:  read_only
        .address_space:  global
        .offset:         8
        .size:           8
        .value_kind:     global_buffer
      - .offset:         16
        .size:           8
        .value_kind:     by_value
      - .offset:         24
        .size:           8
        .value_kind:     by_value
      - .offset:         32
        .size:           8
        .value_kind:     by_value
      - .actual_access:  read_only
        .address_space:  global
        .offset:         40
        .size:           8
        .value_kind:     global_buffer
      - .offset:         48
        .size:           8
        .value_kind:     by_value
      - .offset:         56
        .size:           8
        .value_kind:     by_value
      - .offset:         64
        .size:           8
        .value_kind:     by_value
      - .offset:         72
        .size:           4
        .value_kind:     by_value
      - .actual_access:  write_only
        .address_space:  global
        .offset:         80
        .size:           8
        .value_kind:     global_buffer
    .group_segment_fixed_size: 0
    .kernarg_segment_align: 8
    .kernarg_segment_size: 88
    .language:       OpenCL C
    .language_version:
      - 2
      - 0
    .max_flat_workgroup_size: 256
    .name:           _ZL28rocblas_dot_batched_4_kernelIlLi64ELi4ELb1Ef16rocblas_bfloat16PKS0_EviT5_lT_lS3_lS4_liPT4_
    .private_segment_fixed_size: 0
    .sgpr_count:     22
    .sgpr_spill_count: 0
    .symbol:         _ZL28rocblas_dot_batched_4_kernelIlLi64ELi4ELb1Ef16rocblas_bfloat16PKS0_EviT5_lT_lS3_lS4_liPT4_.kd
    .uniform_work_group_size: 1
    .uses_dynamic_stack: false
    .vgpr_count:     17
    .vgpr_spill_count: 0
    .wavefront_size: 32
    .workgroup_processor_mode: 1
  - .args:
      - .offset:         0
        .size:           4
        .value_kind:     by_value
      - .actual_access:  read_only
        .address_space:  global
        .offset:         8
        .size:           8
        .value_kind:     global_buffer
      - .offset:         16
        .size:           8
        .value_kind:     by_value
      - .offset:         24
        .size:           8
        .value_kind:     by_value
      - .offset:         32
        .size:           8
        .value_kind:     by_value
      - .actual_access:  read_only
        .address_space:  global
        .offset:         40
        .size:           8
        .value_kind:     global_buffer
      - .offset:         48
        .size:           8
        .value_kind:     by_value
      - .offset:         56
        .size:           8
        .value_kind:     by_value
      - .offset:         64
        .size:           8
        .value_kind:     by_value
      - .offset:         72
        .size:           4
        .value_kind:     by_value
      - .actual_access:  read_only
        .address_space:  global
        .offset:         80
        .size:           8
        .value_kind:     global_buffer
      - .actual_access:  write_only
        .address_space:  global
        .offset:         88
        .size:           8
        .value_kind:     global_buffer
      - .offset:         96
        .size:           4
        .value_kind:     hidden_block_count_x
      - .offset:         100
        .size:           4
        .value_kind:     hidden_block_count_y
      - .offset:         104
        .size:           4
        .value_kind:     hidden_block_count_z
      - .offset:         108
        .size:           2
        .value_kind:     hidden_group_size_x
      - .offset:         110
        .size:           2
        .value_kind:     hidden_group_size_y
      - .offset:         112
        .size:           2
        .value_kind:     hidden_group_size_z
      - .offset:         114
        .size:           2
        .value_kind:     hidden_remainder_x
      - .offset:         116
        .size:           2
        .value_kind:     hidden_remainder_y
      - .offset:         118
        .size:           2
        .value_kind:     hidden_remainder_z
      - .offset:         136
        .size:           8
        .value_kind:     hidden_global_offset_x
      - .offset:         144
        .size:           8
        .value_kind:     hidden_global_offset_y
      - .offset:         152
        .size:           8
        .value_kind:     hidden_global_offset_z
      - .offset:         160
        .size:           2
        .value_kind:     hidden_grid_dims
    .group_segment_fixed_size: 128
    .kernarg_segment_align: 8
    .kernarg_segment_size: 352
    .language:       OpenCL C
    .language_version:
      - 2
      - 0
    .max_flat_workgroup_size: 1024
    .name:           _ZL18rocblas_dot_kernelIlLb1ELi1024ELi32ELb1E16rocblas_bfloat16PKS0_fEviT5_lT_lS3_lS4_liPT6_PT4_
    .private_segment_fixed_size: 0
    .sgpr_count:     29
    .sgpr_spill_count: 0
    .symbol:         _ZL18rocblas_dot_kernelIlLb1ELi1024ELi32ELb1E16rocblas_bfloat16PKS0_fEviT5_lT_lS3_lS4_liPT6_PT4_.kd
    .uniform_work_group_size: 1
    .uses_dynamic_stack: false
    .vgpr_count:     10
    .vgpr_spill_count: 0
    .wavefront_size: 32
    .workgroup_processor_mode: 1
  - .args:
      - .offset:         0
        .size:           4
        .value_kind:     by_value
      - .actual_access:  read_only
        .address_space:  global
        .offset:         8
        .size:           8
        .value_kind:     global_buffer
      - .offset:         16
        .size:           8
        .value_kind:     by_value
      - .offset:         24
        .size:           8
        .value_kind:     by_value
      - .offset:         32
        .size:           8
        .value_kind:     by_value
      - .offset:         40
        .size:           4
        .value_kind:     by_value
      - .actual_access:  read_only
        .address_space:  global
        .offset:         48
        .size:           8
        .value_kind:     global_buffer
      - .actual_access:  write_only
        .address_space:  global
        .offset:         56
        .size:           8
        .value_kind:     global_buffer
      - .offset:         64
        .size:           4
        .value_kind:     hidden_block_count_x
      - .offset:         68
        .size:           4
        .value_kind:     hidden_block_count_y
      - .offset:         72
        .size:           4
        .value_kind:     hidden_block_count_z
      - .offset:         76
        .size:           2
        .value_kind:     hidden_group_size_x
      - .offset:         78
        .size:           2
        .value_kind:     hidden_group_size_y
      - .offset:         80
        .size:           2
        .value_kind:     hidden_group_size_z
      - .offset:         82
        .size:           2
        .value_kind:     hidden_remainder_x
      - .offset:         84
        .size:           2
        .value_kind:     hidden_remainder_y
      - .offset:         86
        .size:           2
        .value_kind:     hidden_remainder_z
      - .offset:         104
        .size:           8
        .value_kind:     hidden_global_offset_x
      - .offset:         112
        .size:           8
        .value_kind:     hidden_global_offset_y
      - .offset:         120
        .size:           8
        .value_kind:     hidden_global_offset_z
      - .offset:         128
        .size:           2
        .value_kind:     hidden_grid_dims
    .group_segment_fixed_size: 128
    .kernarg_segment_align: 8
    .kernarg_segment_size: 320
    .language:       OpenCL C
    .language_version:
      - 2
      - 0
    .max_flat_workgroup_size: 1024
    .name:           _ZL24rocblas_dot_kernel_magsqIlLb1ELi1024ELi32ELb1E16rocblas_bfloat16PKS0_fEviT5_lT_liPT6_PT4_
    .private_segment_fixed_size: 0
    .sgpr_count:     19
    .sgpr_spill_count: 0
    .symbol:         _ZL24rocblas_dot_kernel_magsqIlLb1ELi1024ELi32ELb1E16rocblas_bfloat16PKS0_fEviT5_lT_liPT6_PT4_.kd
    .uniform_work_group_size: 1
    .uses_dynamic_stack: false
    .vgpr_count:     10
    .vgpr_spill_count: 0
    .wavefront_size: 32
    .workgroup_processor_mode: 1
  - .args:
      - .offset:         0
        .size:           4
        .value_kind:     by_value
      - .actual_access:  read_only
        .address_space:  global
        .offset:         8
        .size:           8
        .value_kind:     global_buffer
      - .offset:         16
        .size:           8
        .value_kind:     by_value
      - .offset:         24
        .size:           8
        .value_kind:     by_value
      - .offset:         32
        .size:           8
        .value_kind:     by_value
      - .actual_access:  read_only
        .address_space:  global
        .offset:         40
        .size:           8
        .value_kind:     global_buffer
      - .offset:         48
        .size:           8
        .value_kind:     by_value
      - .offset:         56
        .size:           8
        .value_kind:     by_value
      - .offset:         64
        .size:           8
        .value_kind:     by_value
      - .offset:         72
        .size:           4
        .value_kind:     by_value
      - .actual_access:  write_only
        .address_space:  global
        .offset:         80
        .size:           8
        .value_kind:     global_buffer
      - .actual_access:  write_only
        .address_space:  global
        .offset:         88
        .size:           8
        .value_kind:     global_buffer
      - .offset:         96
        .size:           4
        .value_kind:     hidden_block_count_x
      - .offset:         100
        .size:           4
        .value_kind:     hidden_block_count_y
      - .offset:         104
        .size:           4
        .value_kind:     hidden_block_count_z
      - .offset:         108
        .size:           2
        .value_kind:     hidden_group_size_x
      - .offset:         110
        .size:           2
        .value_kind:     hidden_group_size_y
      - .offset:         112
        .size:           2
        .value_kind:     hidden_group_size_z
      - .offset:         114
        .size:           2
        .value_kind:     hidden_remainder_x
      - .offset:         116
        .size:           2
        .value_kind:     hidden_remainder_y
      - .offset:         118
        .size:           2
        .value_kind:     hidden_remainder_z
      - .offset:         136
        .size:           8
        .value_kind:     hidden_global_offset_x
      - .offset:         144
        .size:           8
        .value_kind:     hidden_global_offset_y
      - .offset:         152
        .size:           8
        .value_kind:     hidden_global_offset_z
      - .offset:         160
        .size:           2
        .value_kind:     hidden_grid_dims
    .group_segment_fixed_size: 128
    .kernarg_segment_align: 8
    .kernarg_segment_size: 352
    .language:       OpenCL C
    .language_version:
      - 2
      - 0
    .max_flat_workgroup_size: 512
    .name:           _ZL18rocblas_dot_kernelIlLb0ELi512ELi8ELb1E16rocblas_bfloat16PKS0_fEviT5_lT_lS3_lS4_liPT6_PT4_
    .private_segment_fixed_size: 0
    .sgpr_count:     30
    .sgpr_spill_count: 0
    .symbol:         _ZL18rocblas_dot_kernelIlLb0ELi512ELi8ELb1E16rocblas_bfloat16PKS0_fEviT5_lT_lS3_lS4_liPT6_PT4_.kd
    .uniform_work_group_size: 1
    .uses_dynamic_stack: false
    .vgpr_count:     11
    .vgpr_spill_count: 0
    .wavefront_size: 32
    .workgroup_processor_mode: 1
  - .args:
      - .offset:         0
        .size:           4
        .value_kind:     by_value
      - .actual_access:  read_only
        .address_space:  global
        .offset:         8
        .size:           8
        .value_kind:     global_buffer
      - .offset:         16
        .size:           8
        .value_kind:     by_value
      - .offset:         24
        .size:           8
        .value_kind:     by_value
      - .offset:         32
        .size:           8
        .value_kind:     by_value
      - .offset:         40
        .size:           4
        .value_kind:     by_value
      - .actual_access:  write_only
        .address_space:  global
        .offset:         48
        .size:           8
        .value_kind:     global_buffer
      - .actual_access:  write_only
        .address_space:  global
        .offset:         56
        .size:           8
        .value_kind:     global_buffer
      - .offset:         64
        .size:           4
        .value_kind:     hidden_block_count_x
      - .offset:         68
        .size:           4
        .value_kind:     hidden_block_count_y
      - .offset:         72
        .size:           4
        .value_kind:     hidden_block_count_z
      - .offset:         76
        .size:           2
        .value_kind:     hidden_group_size_x
      - .offset:         78
        .size:           2
        .value_kind:     hidden_group_size_y
      - .offset:         80
        .size:           2
        .value_kind:     hidden_group_size_z
      - .offset:         82
        .size:           2
        .value_kind:     hidden_remainder_x
      - .offset:         84
        .size:           2
        .value_kind:     hidden_remainder_y
      - .offset:         86
        .size:           2
        .value_kind:     hidden_remainder_z
      - .offset:         104
        .size:           8
        .value_kind:     hidden_global_offset_x
      - .offset:         112
        .size:           8
        .value_kind:     hidden_global_offset_y
      - .offset:         120
        .size:           8
        .value_kind:     hidden_global_offset_z
      - .offset:         128
        .size:           2
        .value_kind:     hidden_grid_dims
    .group_segment_fixed_size: 128
    .kernarg_segment_align: 8
    .kernarg_segment_size: 320
    .language:       OpenCL C
    .language_version:
      - 2
      - 0
    .max_flat_workgroup_size: 512
    .name:           _ZL24rocblas_dot_kernel_magsqIlLb0ELi512ELi8ELb1E16rocblas_bfloat16PKS0_fEviT5_lT_liPT6_PT4_
    .private_segment_fixed_size: 0
    .sgpr_count:     24
    .sgpr_spill_count: 0
    .symbol:         _ZL24rocblas_dot_kernel_magsqIlLb0ELi512ELi8ELb1E16rocblas_bfloat16PKS0_fEviT5_lT_liPT6_PT4_.kd
    .uniform_work_group_size: 1
    .uses_dynamic_stack: false
    .vgpr_count:     9
    .vgpr_spill_count: 0
    .wavefront_size: 32
    .workgroup_processor_mode: 1
  - .args:
      - .offset:         0
        .size:           4
        .value_kind:     by_value
      - .actual_access:  read_only
        .address_space:  global
        .offset:         8
        .size:           8
        .value_kind:     global_buffer
      - .offset:         16
        .size:           8
        .value_kind:     by_value
      - .offset:         24
        .size:           4
        .value_kind:     by_value
      - .offset:         32
        .size:           8
        .value_kind:     by_value
      - .actual_access:  read_only
        .address_space:  global
        .offset:         40
        .size:           8
        .value_kind:     global_buffer
      - .offset:         48
        .size:           8
        .value_kind:     by_value
      - .offset:         56
        .size:           4
        .value_kind:     by_value
      - .offset:         64
        .size:           8
        .value_kind:     by_value
      - .offset:         72
        .size:           4
        .value_kind:     by_value
      - .actual_access:  write_only
        .address_space:  global
        .offset:         80
        .size:           8
        .value_kind:     global_buffer
    .group_segment_fixed_size: 0
    .kernarg_segment_align: 8
    .kernarg_segment_size: 88
    .language:       OpenCL C
    .language_version:
      - 2
      - 0
    .max_flat_workgroup_size: 128
    .name:           _ZL28rocblas_dot_batched_4_kernelIiLi32ELi4ELb1Ef16rocblas_bfloat16PKPKS0_EviT5_lT_lS5_lS6_liPT4_
    .private_segment_fixed_size: 0
    .sgpr_count:     18
    .sgpr_spill_count: 0
    .symbol:         _ZL28rocblas_dot_batched_4_kernelIiLi32ELi4ELb1Ef16rocblas_bfloat16PKPKS0_EviT5_lT_lS5_lS6_liPT4_.kd
    .uniform_work_group_size: 1
    .uses_dynamic_stack: false
    .vgpr_count:     12
    .vgpr_spill_count: 0
    .wavefront_size: 32
    .workgroup_processor_mode: 1
  - .args:
      - .offset:         0
        .size:           4
        .value_kind:     by_value
      - .actual_access:  read_only
        .address_space:  global
        .offset:         8
        .size:           8
        .value_kind:     global_buffer
      - .offset:         16
        .size:           8
        .value_kind:     by_value
      - .offset:         24
        .size:           4
        .value_kind:     by_value
      - .offset:         32
        .size:           8
        .value_kind:     by_value
      - .actual_access:  read_only
        .address_space:  global
        .offset:         40
        .size:           8
        .value_kind:     global_buffer
      - .offset:         48
        .size:           8
        .value_kind:     by_value
      - .offset:         56
        .size:           4
        .value_kind:     by_value
      - .offset:         64
        .size:           8
        .value_kind:     by_value
      - .offset:         72
        .size:           4
        .value_kind:     by_value
      - .actual_access:  write_only
        .address_space:  global
        .offset:         80
        .size:           8
        .value_kind:     global_buffer
    .group_segment_fixed_size: 0
    .kernarg_segment_align: 8
    .kernarg_segment_size: 88
    .language:       OpenCL C
    .language_version:
      - 2
      - 0
    .max_flat_workgroup_size: 256
    .name:           _ZL28rocblas_dot_batched_4_kernelIiLi64ELi4ELb1Ef16rocblas_bfloat16PKPKS0_EviT5_lT_lS5_lS6_liPT4_
    .private_segment_fixed_size: 0
    .sgpr_count:     18
    .sgpr_spill_count: 0
    .symbol:         _ZL28rocblas_dot_batched_4_kernelIiLi64ELi4ELb1Ef16rocblas_bfloat16PKPKS0_EviT5_lT_lS5_lS6_liPT4_.kd
    .uniform_work_group_size: 1
    .uses_dynamic_stack: false
    .vgpr_count:     12
    .vgpr_spill_count: 0
    .wavefront_size: 32
    .workgroup_processor_mode: 1
  - .args:
      - .offset:         0
        .size:           4
        .value_kind:     by_value
      - .actual_access:  read_only
        .address_space:  global
        .offset:         8
        .size:           8
        .value_kind:     global_buffer
      - .offset:         16
        .size:           8
        .value_kind:     by_value
      - .offset:         24
        .size:           8
        .value_kind:     by_value
      - .actual_access:  read_only
        .address_space:  global
        .offset:         32
        .size:           8
        .value_kind:     global_buffer
      - .offset:         40
        .size:           8
        .value_kind:     by_value
      - .offset:         48
        .size:           8
        .value_kind:     by_value
      - .offset:         56
        .size:           4
        .value_kind:     by_value
      - .actual_access:  read_only
        .address_space:  global
        .offset:         64
        .size:           8
        .value_kind:     global_buffer
      - .actual_access:  write_only
        .address_space:  global
        .offset:         72
        .size:           8
        .value_kind:     global_buffer
    .group_segment_fixed_size: 128
    .kernarg_segment_align: 8
    .kernarg_segment_size: 80
    .language:       OpenCL C
    .language_version:
      - 2
      - 0
    .max_flat_workgroup_size: 1024
    .name:           _ZL26rocblas_dot_kernel_inc1by2ILb1ELi1024ELi32ELb1E16rocblas_bfloat16PKPKS0_fEviT4_llS5_lliPT5_PT3_
    .private_segment_fixed_size: 0
    .sgpr_count:     21
    .sgpr_spill_count: 0
    .symbol:         _ZL26rocblas_dot_kernel_inc1by2ILb1ELi1024ELi32ELb1E16rocblas_bfloat16PKPKS0_fEviT4_llS5_lliPT5_PT3_.kd
    .uniform_work_group_size: 1
    .uses_dynamic_stack: false
    .vgpr_count:     11
    .vgpr_spill_count: 0
    .wavefront_size: 32
    .workgroup_processor_mode: 1
  - .args:
      - .offset:         0
        .size:           4
        .value_kind:     by_value
      - .actual_access:  read_only
        .address_space:  global
        .offset:         8
        .size:           8
        .value_kind:     global_buffer
      - .offset:         16
        .size:           8
        .value_kind:     by_value
      - .offset:         24
        .size:           4
        .value_kind:     by_value
      - .offset:         32
        .size:           8
        .value_kind:     by_value
      - .actual_access:  read_only
        .address_space:  global
        .offset:         40
        .size:           8
        .value_kind:     global_buffer
      - .offset:         48
        .size:           8
        .value_kind:     by_value
      - .offset:         56
        .size:           4
        .value_kind:     by_value
      - .offset:         64
        .size:           8
        .value_kind:     by_value
      - .offset:         72
        .size:           4
        .value_kind:     by_value
      - .actual_access:  read_only
        .address_space:  global
        .offset:         80
        .size:           8
        .value_kind:     global_buffer
      - .actual_access:  write_only
        .address_space:  global
        .offset:         88
        .size:           8
        .value_kind:     global_buffer
      - .offset:         96
        .size:           4
        .value_kind:     hidden_block_count_x
      - .offset:         100
        .size:           4
        .value_kind:     hidden_block_count_y
      - .offset:         104
        .size:           4
        .value_kind:     hidden_block_count_z
      - .offset:         108
        .size:           2
        .value_kind:     hidden_group_size_x
      - .offset:         110
        .size:           2
        .value_kind:     hidden_group_size_y
      - .offset:         112
        .size:           2
        .value_kind:     hidden_group_size_z
      - .offset:         114
        .size:           2
        .value_kind:     hidden_remainder_x
      - .offset:         116
        .size:           2
        .value_kind:     hidden_remainder_y
      - .offset:         118
        .size:           2
        .value_kind:     hidden_remainder_z
      - .offset:         136
        .size:           8
        .value_kind:     hidden_global_offset_x
      - .offset:         144
        .size:           8
        .value_kind:     hidden_global_offset_y
      - .offset:         152
        .size:           8
        .value_kind:     hidden_global_offset_z
      - .offset:         160
        .size:           2
        .value_kind:     hidden_grid_dims
    .group_segment_fixed_size: 128
    .kernarg_segment_align: 8
    .kernarg_segment_size: 352
    .language:       OpenCL C
    .language_version:
      - 2
      - 0
    .max_flat_workgroup_size: 1024
    .name:           _ZL18rocblas_dot_kernelIiLb1ELi1024ELi32ELb1E16rocblas_bfloat16PKPKS0_fEviT5_lT_lS5_lS6_liPT6_PT4_
    .private_segment_fixed_size: 0
    .sgpr_count:     23
    .sgpr_spill_count: 0
    .symbol:         _ZL18rocblas_dot_kernelIiLb1ELi1024ELi32ELb1E16rocblas_bfloat16PKPKS0_fEviT5_lT_lS5_lS6_liPT6_PT4_.kd
    .uniform_work_group_size: 1
    .uses_dynamic_stack: false
    .vgpr_count:     10
    .vgpr_spill_count: 0
    .wavefront_size: 32
    .workgroup_processor_mode: 1
  - .args:
      - .offset:         0
        .size:           4
        .value_kind:     by_value
      - .actual_access:  read_only
        .address_space:  global
        .offset:         8
        .size:           8
        .value_kind:     global_buffer
      - .offset:         16
        .size:           8
        .value_kind:     by_value
      - .offset:         24
        .size:           4
        .value_kind:     by_value
      - .offset:         32
        .size:           8
        .value_kind:     by_value
      - .offset:         40
        .size:           4
        .value_kind:     by_value
      - .actual_access:  read_only
        .address_space:  global
        .offset:         48
        .size:           8
        .value_kind:     global_buffer
      - .actual_access:  write_only
        .address_space:  global
        .offset:         56
        .size:           8
        .value_kind:     global_buffer
      - .offset:         64
        .size:           4
        .value_kind:     hidden_block_count_x
      - .offset:         68
        .size:           4
        .value_kind:     hidden_block_count_y
      - .offset:         72
        .size:           4
        .value_kind:     hidden_block_count_z
      - .offset:         76
        .size:           2
        .value_kind:     hidden_group_size_x
      - .offset:         78
        .size:           2
        .value_kind:     hidden_group_size_y
      - .offset:         80
        .size:           2
        .value_kind:     hidden_group_size_z
      - .offset:         82
        .size:           2
        .value_kind:     hidden_remainder_x
      - .offset:         84
        .size:           2
        .value_kind:     hidden_remainder_y
      - .offset:         86
        .size:           2
        .value_kind:     hidden_remainder_z
      - .offset:         104
        .size:           8
        .value_kind:     hidden_global_offset_x
      - .offset:         112
        .size:           8
        .value_kind:     hidden_global_offset_y
      - .offset:         120
        .size:           8
        .value_kind:     hidden_global_offset_z
      - .offset:         128
        .size:           2
        .value_kind:     hidden_grid_dims
    .group_segment_fixed_size: 128
    .kernarg_segment_align: 8
    .kernarg_segment_size: 320
    .language:       OpenCL C
    .language_version:
      - 2
      - 0
    .max_flat_workgroup_size: 1024
    .name:           _ZL24rocblas_dot_kernel_magsqIiLb1ELi1024ELi32ELb1E16rocblas_bfloat16PKPKS0_fEviT5_lT_liPT6_PT4_
    .private_segment_fixed_size: 0
    .sgpr_count:     19
    .sgpr_spill_count: 0
    .symbol:         _ZL24rocblas_dot_kernel_magsqIiLb1ELi1024ELi32ELb1E16rocblas_bfloat16PKPKS0_fEviT5_lT_liPT6_PT4_.kd
    .uniform_work_group_size: 1
    .uses_dynamic_stack: false
    .vgpr_count:     10
    .vgpr_spill_count: 0
    .wavefront_size: 32
    .workgroup_processor_mode: 1
  - .args:
      - .offset:         0
        .size:           4
        .value_kind:     by_value
      - .actual_access:  read_only
        .address_space:  global
        .offset:         8
        .size:           8
        .value_kind:     global_buffer
      - .offset:         16
        .size:           8
        .value_kind:     by_value
      - .offset:         24
        .size:           8
        .value_kind:     by_value
      - .actual_access:  read_only
        .address_space:  global
        .offset:         32
        .size:           8
        .value_kind:     global_buffer
      - .offset:         40
        .size:           8
        .value_kind:     by_value
      - .offset:         48
        .size:           8
        .value_kind:     by_value
      - .offset:         56
        .size:           4
        .value_kind:     by_value
      - .actual_access:  write_only
        .address_space:  global
        .offset:         64
        .size:           8
        .value_kind:     global_buffer
      - .actual_access:  write_only
        .address_space:  global
        .offset:         72
        .size:           8
        .value_kind:     global_buffer
      - .offset:         80
        .size:           4
        .value_kind:     hidden_block_count_x
      - .offset:         84
        .size:           4
        .value_kind:     hidden_block_count_y
      - .offset:         88
        .size:           4
        .value_kind:     hidden_block_count_z
      - .offset:         92
        .size:           2
        .value_kind:     hidden_group_size_x
      - .offset:         94
        .size:           2
        .value_kind:     hidden_group_size_y
      - .offset:         96
        .size:           2
        .value_kind:     hidden_group_size_z
      - .offset:         98
        .size:           2
        .value_kind:     hidden_remainder_x
      - .offset:         100
        .size:           2
        .value_kind:     hidden_remainder_y
      - .offset:         102
        .size:           2
        .value_kind:     hidden_remainder_z
      - .offset:         120
        .size:           8
        .value_kind:     hidden_global_offset_x
      - .offset:         128
        .size:           8
        .value_kind:     hidden_global_offset_y
      - .offset:         136
        .size:           8
        .value_kind:     hidden_global_offset_z
      - .offset:         144
        .size:           2
        .value_kind:     hidden_grid_dims
    .group_segment_fixed_size: 128
    .kernarg_segment_align: 8
    .kernarg_segment_size: 336
    .language:       OpenCL C
    .language_version:
      - 2
      - 0
    .max_flat_workgroup_size: 512
    .name:           _ZL23rocblas_dot_kernel_inc1ILb0ELi512ELi8ELb1E16rocblas_bfloat16PKPKS0_fEviT4_llS5_lliPT5_PT3_
    .private_segment_fixed_size: 0
    .sgpr_count:     26
    .sgpr_spill_count: 0
    .symbol:         _ZL23rocblas_dot_kernel_inc1ILb0ELi512ELi8ELb1E16rocblas_bfloat16PKPKS0_fEviT4_llS5_lliPT5_PT3_.kd
    .uniform_work_group_size: 1
    .uses_dynamic_stack: false
    .vgpr_count:     10
    .vgpr_spill_count: 0
    .wavefront_size: 32
    .workgroup_processor_mode: 1
  - .args:
      - .offset:         0
        .size:           4
        .value_kind:     by_value
      - .actual_access:  read_only
        .address_space:  global
        .offset:         8
        .size:           8
        .value_kind:     global_buffer
      - .offset:         16
        .size:           8
        .value_kind:     by_value
      - .offset:         24
        .size:           4
        .value_kind:     by_value
      - .offset:         32
        .size:           8
        .value_kind:     by_value
      - .actual_access:  read_only
        .address_space:  global
        .offset:         40
        .size:           8
        .value_kind:     global_buffer
      - .offset:         48
        .size:           8
        .value_kind:     by_value
      - .offset:         56
        .size:           4
        .value_kind:     by_value
      - .offset:         64
        .size:           8
        .value_kind:     by_value
      - .offset:         72
        .size:           4
        .value_kind:     by_value
      - .actual_access:  write_only
        .address_space:  global
        .offset:         80
        .size:           8
        .value_kind:     global_buffer
      - .actual_access:  write_only
        .address_space:  global
        .offset:         88
        .size:           8
        .value_kind:     global_buffer
      - .offset:         96
        .size:           4
        .value_kind:     hidden_block_count_x
      - .offset:         100
        .size:           4
        .value_kind:     hidden_block_count_y
      - .offset:         104
        .size:           4
        .value_kind:     hidden_block_count_z
      - .offset:         108
        .size:           2
        .value_kind:     hidden_group_size_x
      - .offset:         110
        .size:           2
        .value_kind:     hidden_group_size_y
      - .offset:         112
        .size:           2
        .value_kind:     hidden_group_size_z
      - .offset:         114
        .size:           2
        .value_kind:     hidden_remainder_x
      - .offset:         116
        .size:           2
        .value_kind:     hidden_remainder_y
      - .offset:         118
        .size:           2
        .value_kind:     hidden_remainder_z
      - .offset:         136
        .size:           8
        .value_kind:     hidden_global_offset_x
      - .offset:         144
        .size:           8
        .value_kind:     hidden_global_offset_y
      - .offset:         152
        .size:           8
        .value_kind:     hidden_global_offset_z
      - .offset:         160
        .size:           2
        .value_kind:     hidden_grid_dims
    .group_segment_fixed_size: 128
    .kernarg_segment_align: 8
    .kernarg_segment_size: 352
    .language:       OpenCL C
    .language_version:
      - 2
      - 0
    .max_flat_workgroup_size: 512
    .name:           _ZL18rocblas_dot_kernelIiLb0ELi512ELi8ELb1E16rocblas_bfloat16PKPKS0_fEviT5_lT_lS5_lS6_liPT6_PT4_
    .private_segment_fixed_size: 0
    .sgpr_count:     27
    .sgpr_spill_count: 0
    .symbol:         _ZL18rocblas_dot_kernelIiLb0ELi512ELi8ELb1E16rocblas_bfloat16PKPKS0_fEviT5_lT_lS5_lS6_liPT6_PT4_.kd
    .uniform_work_group_size: 1
    .uses_dynamic_stack: false
    .vgpr_count:     9
    .vgpr_spill_count: 0
    .wavefront_size: 32
    .workgroup_processor_mode: 1
  - .args:
      - .offset:         0
        .size:           4
        .value_kind:     by_value
      - .actual_access:  read_only
        .address_space:  global
        .offset:         8
        .size:           8
        .value_kind:     global_buffer
      - .offset:         16
        .size:           8
        .value_kind:     by_value
      - .offset:         24
        .size:           4
        .value_kind:     by_value
      - .offset:         32
        .size:           8
        .value_kind:     by_value
      - .offset:         40
        .size:           4
        .value_kind:     by_value
      - .actual_access:  write_only
        .address_space:  global
        .offset:         48
        .size:           8
        .value_kind:     global_buffer
      - .actual_access:  write_only
        .address_space:  global
        .offset:         56
        .size:           8
        .value_kind:     global_buffer
      - .offset:         64
        .size:           4
        .value_kind:     hidden_block_count_x
      - .offset:         68
        .size:           4
        .value_kind:     hidden_block_count_y
      - .offset:         72
        .size:           4
        .value_kind:     hidden_block_count_z
      - .offset:         76
        .size:           2
        .value_kind:     hidden_group_size_x
      - .offset:         78
        .size:           2
        .value_kind:     hidden_group_size_y
      - .offset:         80
        .size:           2
        .value_kind:     hidden_group_size_z
      - .offset:         82
        .size:           2
        .value_kind:     hidden_remainder_x
      - .offset:         84
        .size:           2
        .value_kind:     hidden_remainder_y
      - .offset:         86
        .size:           2
        .value_kind:     hidden_remainder_z
      - .offset:         104
        .size:           8
        .value_kind:     hidden_global_offset_x
      - .offset:         112
        .size:           8
        .value_kind:     hidden_global_offset_y
      - .offset:         120
        .size:           8
        .value_kind:     hidden_global_offset_z
      - .offset:         128
        .size:           2
        .value_kind:     hidden_grid_dims
    .group_segment_fixed_size: 128
    .kernarg_segment_align: 8
    .kernarg_segment_size: 320
    .language:       OpenCL C
    .language_version:
      - 2
      - 0
    .max_flat_workgroup_size: 512
    .name:           _ZL24rocblas_dot_kernel_magsqIiLb0ELi512ELi8ELb1E16rocblas_bfloat16PKPKS0_fEviT5_lT_liPT6_PT4_
    .private_segment_fixed_size: 0
    .sgpr_count:     22
    .sgpr_spill_count: 0
    .symbol:         _ZL24rocblas_dot_kernel_magsqIiLb0ELi512ELi8ELb1E16rocblas_bfloat16PKPKS0_fEviT5_lT_liPT6_PT4_.kd
    .uniform_work_group_size: 1
    .uses_dynamic_stack: false
    .vgpr_count:     9
    .vgpr_spill_count: 0
    .wavefront_size: 32
    .workgroup_processor_mode: 1
  - .args:
      - .offset:         0
        .size:           4
        .value_kind:     by_value
      - .actual_access:  read_only
        .address_space:  global
        .offset:         8
        .size:           8
        .value_kind:     global_buffer
      - .offset:         16
        .size:           8
        .value_kind:     by_value
      - .offset:         24
        .size:           4
        .value_kind:     by_value
      - .offset:         32
        .size:           8
        .value_kind:     by_value
      - .actual_access:  read_only
        .address_space:  global
        .offset:         40
        .size:           8
        .value_kind:     global_buffer
      - .offset:         48
        .size:           8
        .value_kind:     by_value
      - .offset:         56
        .size:           4
        .value_kind:     by_value
      - .offset:         64
        .size:           8
        .value_kind:     by_value
      - .offset:         72
        .size:           4
        .value_kind:     by_value
      - .actual_access:  write_only
        .address_space:  global
        .offset:         80
        .size:           8
        .value_kind:     global_buffer
    .group_segment_fixed_size: 0
    .kernarg_segment_align: 8
    .kernarg_segment_size: 88
    .language:       OpenCL C
    .language_version:
      - 2
      - 0
    .max_flat_workgroup_size: 128
    .name:           _ZL28rocblas_dot_batched_4_kernelIiLi32ELi4ELb1EffPKPK16rocblas_bfloat16EviT5_lT_lS5_lS6_liPT4_
    .private_segment_fixed_size: 0
    .sgpr_count:     18
    .sgpr_spill_count: 0
    .symbol:         _ZL28rocblas_dot_batched_4_kernelIiLi32ELi4ELb1EffPKPK16rocblas_bfloat16EviT5_lT_lS5_lS6_liPT4_.kd
    .uniform_work_group_size: 1
    .uses_dynamic_stack: false
    .vgpr_count:     12
    .vgpr_spill_count: 0
    .wavefront_size: 32
    .workgroup_processor_mode: 1
  - .args:
      - .offset:         0
        .size:           4
        .value_kind:     by_value
      - .actual_access:  read_only
        .address_space:  global
        .offset:         8
        .size:           8
        .value_kind:     global_buffer
      - .offset:         16
        .size:           8
        .value_kind:     by_value
      - .offset:         24
        .size:           4
        .value_kind:     by_value
      - .offset:         32
        .size:           8
        .value_kind:     by_value
      - .actual_access:  read_only
        .address_space:  global
        .offset:         40
        .size:           8
        .value_kind:     global_buffer
      - .offset:         48
        .size:           8
        .value_kind:     by_value
      - .offset:         56
        .size:           4
        .value_kind:     by_value
      - .offset:         64
        .size:           8
        .value_kind:     by_value
      - .offset:         72
        .size:           4
        .value_kind:     by_value
      - .actual_access:  write_only
        .address_space:  global
        .offset:         80
        .size:           8
        .value_kind:     global_buffer
    .group_segment_fixed_size: 0
    .kernarg_segment_align: 8
    .kernarg_segment_size: 88
    .language:       OpenCL C
    .language_version:
      - 2
      - 0
    .max_flat_workgroup_size: 256
    .name:           _ZL28rocblas_dot_batched_4_kernelIiLi64ELi4ELb1EffPKPK16rocblas_bfloat16EviT5_lT_lS5_lS6_liPT4_
    .private_segment_fixed_size: 0
    .sgpr_count:     18
    .sgpr_spill_count: 0
    .symbol:         _ZL28rocblas_dot_batched_4_kernelIiLi64ELi4ELb1EffPKPK16rocblas_bfloat16EviT5_lT_lS5_lS6_liPT4_.kd
    .uniform_work_group_size: 1
    .uses_dynamic_stack: false
    .vgpr_count:     12
    .vgpr_spill_count: 0
    .wavefront_size: 32
    .workgroup_processor_mode: 1
  - .args:
      - .offset:         0
        .size:           4
        .value_kind:     by_value
      - .actual_access:  read_only
        .address_space:  global
        .offset:         8
        .size:           8
        .value_kind:     global_buffer
      - .offset:         16
        .size:           8
        .value_kind:     by_value
      - .offset:         24
        .size:           4
        .value_kind:     by_value
      - .offset:         32
        .size:           8
        .value_kind:     by_value
      - .actual_access:  read_only
        .address_space:  global
        .offset:         40
        .size:           8
        .value_kind:     global_buffer
      - .offset:         48
        .size:           8
        .value_kind:     by_value
      - .offset:         56
        .size:           4
        .value_kind:     by_value
      - .offset:         64
        .size:           8
        .value_kind:     by_value
      - .offset:         72
        .size:           4
        .value_kind:     by_value
      - .actual_access:  read_only
        .address_space:  global
        .offset:         80
        .size:           8
        .value_kind:     global_buffer
      - .actual_access:  write_only
        .address_space:  global
        .offset:         88
        .size:           8
        .value_kind:     global_buffer
      - .offset:         96
        .size:           4
        .value_kind:     hidden_block_count_x
      - .offset:         100
        .size:           4
        .value_kind:     hidden_block_count_y
      - .offset:         104
        .size:           4
        .value_kind:     hidden_block_count_z
      - .offset:         108
        .size:           2
        .value_kind:     hidden_group_size_x
      - .offset:         110
        .size:           2
        .value_kind:     hidden_group_size_y
      - .offset:         112
        .size:           2
        .value_kind:     hidden_group_size_z
      - .offset:         114
        .size:           2
        .value_kind:     hidden_remainder_x
      - .offset:         116
        .size:           2
        .value_kind:     hidden_remainder_y
      - .offset:         118
        .size:           2
        .value_kind:     hidden_remainder_z
      - .offset:         136
        .size:           8
        .value_kind:     hidden_global_offset_x
      - .offset:         144
        .size:           8
        .value_kind:     hidden_global_offset_y
      - .offset:         152
        .size:           8
        .value_kind:     hidden_global_offset_z
      - .offset:         160
        .size:           2
        .value_kind:     hidden_grid_dims
    .group_segment_fixed_size: 128
    .kernarg_segment_align: 8
    .kernarg_segment_size: 352
    .language:       OpenCL C
    .language_version:
      - 2
      - 0
    .max_flat_workgroup_size: 1024
    .name:           _ZL18rocblas_dot_kernelIiLb1ELi1024ELi32ELb1EfPKPK16rocblas_bfloat16fEviT5_lT_lS5_lS6_liPT6_PT4_
    .private_segment_fixed_size: 0
    .sgpr_count:     23
    .sgpr_spill_count: 0
    .symbol:         _ZL18rocblas_dot_kernelIiLb1ELi1024ELi32ELb1EfPKPK16rocblas_bfloat16fEviT5_lT_lS5_lS6_liPT6_PT4_.kd
    .uniform_work_group_size: 1
    .uses_dynamic_stack: false
    .vgpr_count:     10
    .vgpr_spill_count: 0
    .wavefront_size: 32
    .workgroup_processor_mode: 1
  - .args:
      - .offset:         0
        .size:           4
        .value_kind:     by_value
      - .actual_access:  read_only
        .address_space:  global
        .offset:         8
        .size:           8
        .value_kind:     global_buffer
      - .offset:         16
        .size:           8
        .value_kind:     by_value
      - .offset:         24
        .size:           4
        .value_kind:     by_value
      - .offset:         32
        .size:           8
        .value_kind:     by_value
      - .offset:         40
        .size:           4
        .value_kind:     by_value
      - .actual_access:  read_only
        .address_space:  global
        .offset:         48
        .size:           8
        .value_kind:     global_buffer
      - .actual_access:  write_only
        .address_space:  global
        .offset:         56
        .size:           8
        .value_kind:     global_buffer
      - .offset:         64
        .size:           4
        .value_kind:     hidden_block_count_x
      - .offset:         68
        .size:           4
        .value_kind:     hidden_block_count_y
      - .offset:         72
        .size:           4
        .value_kind:     hidden_block_count_z
      - .offset:         76
        .size:           2
        .value_kind:     hidden_group_size_x
      - .offset:         78
        .size:           2
        .value_kind:     hidden_group_size_y
      - .offset:         80
        .size:           2
        .value_kind:     hidden_group_size_z
      - .offset:         82
        .size:           2
        .value_kind:     hidden_remainder_x
      - .offset:         84
        .size:           2
        .value_kind:     hidden_remainder_y
      - .offset:         86
        .size:           2
        .value_kind:     hidden_remainder_z
      - .offset:         104
        .size:           8
        .value_kind:     hidden_global_offset_x
      - .offset:         112
        .size:           8
        .value_kind:     hidden_global_offset_y
      - .offset:         120
        .size:           8
        .value_kind:     hidden_global_offset_z
      - .offset:         128
        .size:           2
        .value_kind:     hidden_grid_dims
    .group_segment_fixed_size: 128
    .kernarg_segment_align: 8
    .kernarg_segment_size: 320
    .language:       OpenCL C
    .language_version:
      - 2
      - 0
    .max_flat_workgroup_size: 1024
    .name:           _ZL24rocblas_dot_kernel_magsqIiLb1ELi1024ELi32ELb1EfPKPK16rocblas_bfloat16fEviT5_lT_liPT6_PT4_
    .private_segment_fixed_size: 0
    .sgpr_count:     19
    .sgpr_spill_count: 0
    .symbol:         _ZL24rocblas_dot_kernel_magsqIiLb1ELi1024ELi32ELb1EfPKPK16rocblas_bfloat16fEviT5_lT_liPT6_PT4_.kd
    .uniform_work_group_size: 1
    .uses_dynamic_stack: false
    .vgpr_count:     10
    .vgpr_spill_count: 0
    .wavefront_size: 32
    .workgroup_processor_mode: 1
  - .args:
      - .offset:         0
        .size:           4
        .value_kind:     by_value
      - .actual_access:  read_only
        .address_space:  global
        .offset:         8
        .size:           8
        .value_kind:     global_buffer
      - .offset:         16
        .size:           8
        .value_kind:     by_value
      - .offset:         24
        .size:           4
        .value_kind:     by_value
      - .offset:         32
        .size:           8
        .value_kind:     by_value
      - .actual_access:  read_only
        .address_space:  global
        .offset:         40
        .size:           8
        .value_kind:     global_buffer
      - .offset:         48
        .size:           8
        .value_kind:     by_value
      - .offset:         56
        .size:           4
        .value_kind:     by_value
      - .offset:         64
        .size:           8
        .value_kind:     by_value
      - .offset:         72
        .size:           4
        .value_kind:     by_value
      - .actual_access:  write_only
        .address_space:  global
        .offset:         80
        .size:           8
        .value_kind:     global_buffer
      - .actual_access:  write_only
        .address_space:  global
        .offset:         88
        .size:           8
        .value_kind:     global_buffer
      - .offset:         96
        .size:           4
        .value_kind:     hidden_block_count_x
      - .offset:         100
        .size:           4
        .value_kind:     hidden_block_count_y
      - .offset:         104
        .size:           4
        .value_kind:     hidden_block_count_z
      - .offset:         108
        .size:           2
        .value_kind:     hidden_group_size_x
      - .offset:         110
        .size:           2
        .value_kind:     hidden_group_size_y
      - .offset:         112
        .size:           2
        .value_kind:     hidden_group_size_z
      - .offset:         114
        .size:           2
        .value_kind:     hidden_remainder_x
      - .offset:         116
        .size:           2
        .value_kind:     hidden_remainder_y
      - .offset:         118
        .size:           2
        .value_kind:     hidden_remainder_z
      - .offset:         136
        .size:           8
        .value_kind:     hidden_global_offset_x
      - .offset:         144
        .size:           8
        .value_kind:     hidden_global_offset_y
      - .offset:         152
        .size:           8
        .value_kind:     hidden_global_offset_z
      - .offset:         160
        .size:           2
        .value_kind:     hidden_grid_dims
    .group_segment_fixed_size: 128
    .kernarg_segment_align: 8
    .kernarg_segment_size: 352
    .language:       OpenCL C
    .language_version:
      - 2
      - 0
    .max_flat_workgroup_size: 512
    .name:           _ZL18rocblas_dot_kernelIiLb0ELi512ELi4ELb1EfPKPK16rocblas_bfloat16fEviT5_lT_lS5_lS6_liPT6_PT4_
    .private_segment_fixed_size: 0
    .sgpr_count:     27
    .sgpr_spill_count: 0
    .symbol:         _ZL18rocblas_dot_kernelIiLb0ELi512ELi4ELb1EfPKPK16rocblas_bfloat16fEviT5_lT_lS5_lS6_liPT6_PT4_.kd
    .uniform_work_group_size: 1
    .uses_dynamic_stack: false
    .vgpr_count:     9
    .vgpr_spill_count: 0
    .wavefront_size: 32
    .workgroup_processor_mode: 1
  - .args:
      - .offset:         0
        .size:           4
        .value_kind:     by_value
      - .actual_access:  read_only
        .address_space:  global
        .offset:         8
        .size:           8
        .value_kind:     global_buffer
      - .offset:         16
        .size:           8
        .value_kind:     by_value
      - .offset:         24
        .size:           4
        .value_kind:     by_value
      - .offset:         32
        .size:           8
        .value_kind:     by_value
      - .offset:         40
        .size:           4
        .value_kind:     by_value
      - .actual_access:  write_only
        .address_space:  global
        .offset:         48
        .size:           8
        .value_kind:     global_buffer
      - .actual_access:  write_only
        .address_space:  global
        .offset:         56
        .size:           8
        .value_kind:     global_buffer
      - .offset:         64
        .size:           4
        .value_kind:     hidden_block_count_x
      - .offset:         68
        .size:           4
        .value_kind:     hidden_block_count_y
      - .offset:         72
        .size:           4
        .value_kind:     hidden_block_count_z
      - .offset:         76
        .size:           2
        .value_kind:     hidden_group_size_x
      - .offset:         78
        .size:           2
        .value_kind:     hidden_group_size_y
      - .offset:         80
        .size:           2
        .value_kind:     hidden_group_size_z
      - .offset:         82
        .size:           2
        .value_kind:     hidden_remainder_x
      - .offset:         84
        .size:           2
        .value_kind:     hidden_remainder_y
      - .offset:         86
        .size:           2
        .value_kind:     hidden_remainder_z
      - .offset:         104
        .size:           8
        .value_kind:     hidden_global_offset_x
      - .offset:         112
        .size:           8
        .value_kind:     hidden_global_offset_y
      - .offset:         120
        .size:           8
        .value_kind:     hidden_global_offset_z
      - .offset:         128
        .size:           2
        .value_kind:     hidden_grid_dims
    .group_segment_fixed_size: 128
    .kernarg_segment_align: 8
    .kernarg_segment_size: 320
    .language:       OpenCL C
    .language_version:
      - 2
      - 0
    .max_flat_workgroup_size: 512
    .name:           _ZL24rocblas_dot_kernel_magsqIiLb0ELi512ELi4ELb1EfPKPK16rocblas_bfloat16fEviT5_lT_liPT6_PT4_
    .private_segment_fixed_size: 0
    .sgpr_count:     22
    .sgpr_spill_count: 0
    .symbol:         _ZL24rocblas_dot_kernel_magsqIiLb0ELi512ELi4ELb1EfPKPK16rocblas_bfloat16fEviT5_lT_liPT6_PT4_.kd
    .uniform_work_group_size: 1
    .uses_dynamic_stack: false
    .vgpr_count:     9
    .vgpr_spill_count: 0
    .wavefront_size: 32
    .workgroup_processor_mode: 1
  - .args:
      - .offset:         0
        .size:           4
        .value_kind:     by_value
      - .actual_access:  read_only
        .address_space:  global
        .offset:         8
        .size:           8
        .value_kind:     global_buffer
      - .offset:         16
        .size:           8
        .value_kind:     by_value
      - .offset:         24
        .size:           8
        .value_kind:     by_value
      - .offset:         32
        .size:           8
        .value_kind:     by_value
      - .actual_access:  read_only
        .address_space:  global
        .offset:         40
        .size:           8
        .value_kind:     global_buffer
      - .offset:         48
        .size:           8
        .value_kind:     by_value
      - .offset:         56
        .size:           8
        .value_kind:     by_value
      - .offset:         64
        .size:           8
        .value_kind:     by_value
      - .offset:         72
        .size:           4
        .value_kind:     by_value
      - .actual_access:  write_only
        .address_space:  global
        .offset:         80
        .size:           8
        .value_kind:     global_buffer
    .group_segment_fixed_size: 0
    .kernarg_segment_align: 8
    .kernarg_segment_size: 88
    .language:       OpenCL C
    .language_version:
      - 2
      - 0
    .max_flat_workgroup_size: 128
    .name:           _ZL28rocblas_dot_batched_4_kernelIlLi32ELi4ELb1Ef16rocblas_bfloat16PKPKS0_EviT5_lT_lS5_lS6_liPT4_
    .private_segment_fixed_size: 0
    .sgpr_count:     18
    .sgpr_spill_count: 0
    .symbol:         _ZL28rocblas_dot_batched_4_kernelIlLi32ELi4ELb1Ef16rocblas_bfloat16PKPKS0_EviT5_lT_lS5_lS6_liPT4_.kd
    .uniform_work_group_size: 1
    .uses_dynamic_stack: false
    .vgpr_count:     14
    .vgpr_spill_count: 0
    .wavefront_size: 32
    .workgroup_processor_mode: 1
  - .args:
      - .offset:         0
        .size:           4
        .value_kind:     by_value
      - .actual_access:  read_only
        .address_space:  global
        .offset:         8
        .size:           8
        .value_kind:     global_buffer
      - .offset:         16
        .size:           8
        .value_kind:     by_value
      - .offset:         24
        .size:           8
        .value_kind:     by_value
      - .offset:         32
        .size:           8
        .value_kind:     by_value
      - .actual_access:  read_only
        .address_space:  global
        .offset:         40
        .size:           8
        .value_kind:     global_buffer
      - .offset:         48
        .size:           8
        .value_kind:     by_value
      - .offset:         56
        .size:           8
        .value_kind:     by_value
      - .offset:         64
        .size:           8
        .value_kind:     by_value
      - .offset:         72
        .size:           4
        .value_kind:     by_value
      - .actual_access:  write_only
        .address_space:  global
        .offset:         80
        .size:           8
        .value_kind:     global_buffer
    .group_segment_fixed_size: 0
    .kernarg_segment_align: 8
    .kernarg_segment_size: 88
    .language:       OpenCL C
    .language_version:
      - 2
      - 0
    .max_flat_workgroup_size: 256
    .name:           _ZL28rocblas_dot_batched_4_kernelIlLi64ELi4ELb1Ef16rocblas_bfloat16PKPKS0_EviT5_lT_lS5_lS6_liPT4_
    .private_segment_fixed_size: 0
    .sgpr_count:     18
    .sgpr_spill_count: 0
    .symbol:         _ZL28rocblas_dot_batched_4_kernelIlLi64ELi4ELb1Ef16rocblas_bfloat16PKPKS0_EviT5_lT_lS5_lS6_liPT4_.kd
    .uniform_work_group_size: 1
    .uses_dynamic_stack: false
    .vgpr_count:     14
    .vgpr_spill_count: 0
    .wavefront_size: 32
    .workgroup_processor_mode: 1
  - .args:
      - .offset:         0
        .size:           4
        .value_kind:     by_value
      - .actual_access:  read_only
        .address_space:  global
        .offset:         8
        .size:           8
        .value_kind:     global_buffer
      - .offset:         16
        .size:           8
        .value_kind:     by_value
      - .offset:         24
        .size:           8
        .value_kind:     by_value
      - .offset:         32
        .size:           8
        .value_kind:     by_value
      - .actual_access:  read_only
        .address_space:  global
        .offset:         40
        .size:           8
        .value_kind:     global_buffer
      - .offset:         48
        .size:           8
        .value_kind:     by_value
      - .offset:         56
        .size:           8
        .value_kind:     by_value
      - .offset:         64
        .size:           8
        .value_kind:     by_value
      - .offset:         72
        .size:           4
        .value_kind:     by_value
      - .actual_access:  read_only
        .address_space:  global
        .offset:         80
        .size:           8
        .value_kind:     global_buffer
      - .actual_access:  write_only
        .address_space:  global
        .offset:         88
        .size:           8
        .value_kind:     global_buffer
      - .offset:         96
        .size:           4
        .value_kind:     hidden_block_count_x
      - .offset:         100
        .size:           4
        .value_kind:     hidden_block_count_y
      - .offset:         104
        .size:           4
        .value_kind:     hidden_block_count_z
      - .offset:         108
        .size:           2
        .value_kind:     hidden_group_size_x
      - .offset:         110
        .size:           2
        .value_kind:     hidden_group_size_y
      - .offset:         112
        .size:           2
        .value_kind:     hidden_group_size_z
      - .offset:         114
        .size:           2
        .value_kind:     hidden_remainder_x
      - .offset:         116
        .size:           2
        .value_kind:     hidden_remainder_y
      - .offset:         118
        .size:           2
        .value_kind:     hidden_remainder_z
      - .offset:         136
        .size:           8
        .value_kind:     hidden_global_offset_x
      - .offset:         144
        .size:           8
        .value_kind:     hidden_global_offset_y
      - .offset:         152
        .size:           8
        .value_kind:     hidden_global_offset_z
      - .offset:         160
        .size:           2
        .value_kind:     hidden_grid_dims
    .group_segment_fixed_size: 128
    .kernarg_segment_align: 8
    .kernarg_segment_size: 352
    .language:       OpenCL C
    .language_version:
      - 2
      - 0
    .max_flat_workgroup_size: 1024
    .name:           _ZL18rocblas_dot_kernelIlLb1ELi1024ELi32ELb1E16rocblas_bfloat16PKPKS0_fEviT5_lT_lS5_lS6_liPT6_PT4_
    .private_segment_fixed_size: 0
    .sgpr_count:     27
    .sgpr_spill_count: 0
    .symbol:         _ZL18rocblas_dot_kernelIlLb1ELi1024ELi32ELb1E16rocblas_bfloat16PKPKS0_fEviT5_lT_lS5_lS6_liPT6_PT4_.kd
    .uniform_work_group_size: 1
    .uses_dynamic_stack: false
    .vgpr_count:     10
    .vgpr_spill_count: 0
    .wavefront_size: 32
    .workgroup_processor_mode: 1
  - .args:
      - .offset:         0
        .size:           4
        .value_kind:     by_value
      - .actual_access:  read_only
        .address_space:  global
        .offset:         8
        .size:           8
        .value_kind:     global_buffer
      - .offset:         16
        .size:           8
        .value_kind:     by_value
      - .offset:         24
        .size:           8
        .value_kind:     by_value
      - .offset:         32
        .size:           8
        .value_kind:     by_value
      - .offset:         40
        .size:           4
        .value_kind:     by_value
      - .actual_access:  read_only
        .address_space:  global
        .offset:         48
        .size:           8
        .value_kind:     global_buffer
      - .actual_access:  write_only
        .address_space:  global
        .offset:         56
        .size:           8
        .value_kind:     global_buffer
      - .offset:         64
        .size:           4
        .value_kind:     hidden_block_count_x
      - .offset:         68
        .size:           4
        .value_kind:     hidden_block_count_y
      - .offset:         72
        .size:           4
        .value_kind:     hidden_block_count_z
      - .offset:         76
        .size:           2
        .value_kind:     hidden_group_size_x
      - .offset:         78
        .size:           2
        .value_kind:     hidden_group_size_y
      - .offset:         80
        .size:           2
        .value_kind:     hidden_group_size_z
      - .offset:         82
        .size:           2
        .value_kind:     hidden_remainder_x
      - .offset:         84
        .size:           2
        .value_kind:     hidden_remainder_y
      - .offset:         86
        .size:           2
        .value_kind:     hidden_remainder_z
      - .offset:         104
        .size:           8
        .value_kind:     hidden_global_offset_x
      - .offset:         112
        .size:           8
        .value_kind:     hidden_global_offset_y
      - .offset:         120
        .size:           8
        .value_kind:     hidden_global_offset_z
      - .offset:         128
        .size:           2
        .value_kind:     hidden_grid_dims
    .group_segment_fixed_size: 128
    .kernarg_segment_align: 8
    .kernarg_segment_size: 320
    .language:       OpenCL C
    .language_version:
      - 2
      - 0
    .max_flat_workgroup_size: 1024
    .name:           _ZL24rocblas_dot_kernel_magsqIlLb1ELi1024ELi32ELb1E16rocblas_bfloat16PKPKS0_fEviT5_lT_liPT6_PT4_
    .private_segment_fixed_size: 0
    .sgpr_count:     19
    .sgpr_spill_count: 0
    .symbol:         _ZL24rocblas_dot_kernel_magsqIlLb1ELi1024ELi32ELb1E16rocblas_bfloat16PKPKS0_fEviT5_lT_liPT6_PT4_.kd
    .uniform_work_group_size: 1
    .uses_dynamic_stack: false
    .vgpr_count:     10
    .vgpr_spill_count: 0
    .wavefront_size: 32
    .workgroup_processor_mode: 1
  - .args:
      - .offset:         0
        .size:           4
        .value_kind:     by_value
      - .actual_access:  read_only
        .address_space:  global
        .offset:         8
        .size:           8
        .value_kind:     global_buffer
      - .offset:         16
        .size:           8
        .value_kind:     by_value
      - .offset:         24
        .size:           8
        .value_kind:     by_value
      - .offset:         32
        .size:           8
        .value_kind:     by_value
      - .actual_access:  read_only
        .address_space:  global
        .offset:         40
        .size:           8
        .value_kind:     global_buffer
      - .offset:         48
        .size:           8
        .value_kind:     by_value
      - .offset:         56
        .size:           8
        .value_kind:     by_value
      - .offset:         64
        .size:           8
        .value_kind:     by_value
      - .offset:         72
        .size:           4
        .value_kind:     by_value
      - .actual_access:  write_only
        .address_space:  global
        .offset:         80
        .size:           8
        .value_kind:     global_buffer
      - .actual_access:  write_only
        .address_space:  global
        .offset:         88
        .size:           8
        .value_kind:     global_buffer
      - .offset:         96
        .size:           4
        .value_kind:     hidden_block_count_x
      - .offset:         100
        .size:           4
        .value_kind:     hidden_block_count_y
      - .offset:         104
        .size:           4
        .value_kind:     hidden_block_count_z
      - .offset:         108
        .size:           2
        .value_kind:     hidden_group_size_x
      - .offset:         110
        .size:           2
        .value_kind:     hidden_group_size_y
      - .offset:         112
        .size:           2
        .value_kind:     hidden_group_size_z
      - .offset:         114
        .size:           2
        .value_kind:     hidden_remainder_x
      - .offset:         116
        .size:           2
        .value_kind:     hidden_remainder_y
      - .offset:         118
        .size:           2
        .value_kind:     hidden_remainder_z
      - .offset:         136
        .size:           8
        .value_kind:     hidden_global_offset_x
      - .offset:         144
        .size:           8
        .value_kind:     hidden_global_offset_y
      - .offset:         152
        .size:           8
        .value_kind:     hidden_global_offset_z
      - .offset:         160
        .size:           2
        .value_kind:     hidden_grid_dims
    .group_segment_fixed_size: 128
    .kernarg_segment_align: 8
    .kernarg_segment_size: 352
    .language:       OpenCL C
    .language_version:
      - 2
      - 0
    .max_flat_workgroup_size: 512
    .name:           _ZL18rocblas_dot_kernelIlLb0ELi512ELi8ELb1E16rocblas_bfloat16PKPKS0_fEviT5_lT_lS5_lS6_liPT6_PT4_
    .private_segment_fixed_size: 0
    .sgpr_count:     31
    .sgpr_spill_count: 0
    .symbol:         _ZL18rocblas_dot_kernelIlLb0ELi512ELi8ELb1E16rocblas_bfloat16PKPKS0_fEviT5_lT_lS5_lS6_liPT6_PT4_.kd
    .uniform_work_group_size: 1
    .uses_dynamic_stack: false
    .vgpr_count:     12
    .vgpr_spill_count: 0
    .wavefront_size: 32
    .workgroup_processor_mode: 1
  - .args:
      - .offset:         0
        .size:           4
        .value_kind:     by_value
      - .actual_access:  read_only
        .address_space:  global
        .offset:         8
        .size:           8
        .value_kind:     global_buffer
      - .offset:         16
        .size:           8
        .value_kind:     by_value
      - .offset:         24
        .size:           8
        .value_kind:     by_value
      - .offset:         32
        .size:           8
        .value_kind:     by_value
      - .offset:         40
        .size:           4
        .value_kind:     by_value
      - .actual_access:  write_only
        .address_space:  global
        .offset:         48
        .size:           8
        .value_kind:     global_buffer
      - .actual_access:  write_only
        .address_space:  global
        .offset:         56
        .size:           8
        .value_kind:     global_buffer
      - .offset:         64
        .size:           4
        .value_kind:     hidden_block_count_x
      - .offset:         68
        .size:           4
        .value_kind:     hidden_block_count_y
      - .offset:         72
        .size:           4
        .value_kind:     hidden_block_count_z
      - .offset:         76
        .size:           2
        .value_kind:     hidden_group_size_x
      - .offset:         78
        .size:           2
        .value_kind:     hidden_group_size_y
      - .offset:         80
        .size:           2
        .value_kind:     hidden_group_size_z
      - .offset:         82
        .size:           2
        .value_kind:     hidden_remainder_x
      - .offset:         84
        .size:           2
        .value_kind:     hidden_remainder_y
      - .offset:         86
        .size:           2
        .value_kind:     hidden_remainder_z
      - .offset:         104
        .size:           8
        .value_kind:     hidden_global_offset_x
      - .offset:         112
        .size:           8
        .value_kind:     hidden_global_offset_y
      - .offset:         120
        .size:           8
        .value_kind:     hidden_global_offset_z
      - .offset:         128
        .size:           2
        .value_kind:     hidden_grid_dims
    .group_segment_fixed_size: 128
    .kernarg_segment_align: 8
    .kernarg_segment_size: 320
    .language:       OpenCL C
    .language_version:
      - 2
      - 0
    .max_flat_workgroup_size: 512
    .name:           _ZL24rocblas_dot_kernel_magsqIlLb0ELi512ELi8ELb1E16rocblas_bfloat16PKPKS0_fEviT5_lT_liPT6_PT4_
    .private_segment_fixed_size: 0
    .sgpr_count:     22
    .sgpr_spill_count: 0
    .symbol:         _ZL24rocblas_dot_kernel_magsqIlLb0ELi512ELi8ELb1E16rocblas_bfloat16PKPKS0_fEviT5_lT_liPT6_PT4_.kd
    .uniform_work_group_size: 1
    .uses_dynamic_stack: false
    .vgpr_count:     9
    .vgpr_spill_count: 0
    .wavefront_size: 32
    .workgroup_processor_mode: 1
  - .args:
      - .offset:         0
        .size:           4
        .value_kind:     by_value
      - .actual_access:  read_only
        .address_space:  global
        .offset:         8
        .size:           8
        .value_kind:     global_buffer
      - .offset:         16
        .size:           8
        .value_kind:     by_value
      - .offset:         24
        .size:           4
        .value_kind:     by_value
      - .offset:         32
        .size:           8
        .value_kind:     by_value
      - .actual_access:  read_only
        .address_space:  global
        .offset:         40
        .size:           8
        .value_kind:     global_buffer
      - .offset:         48
        .size:           8
        .value_kind:     by_value
      - .offset:         56
        .size:           4
        .value_kind:     by_value
      - .offset:         64
        .size:           8
        .value_kind:     by_value
      - .offset:         72
        .size:           4
        .value_kind:     by_value
      - .actual_access:  write_only
        .address_space:  global
        .offset:         80
        .size:           8
        .value_kind:     global_buffer
    .group_segment_fixed_size: 0
    .kernarg_segment_align: 8
    .kernarg_segment_size: 88
    .language:       OpenCL C
    .language_version:
      - 2
      - 0
    .max_flat_workgroup_size: 128
    .name:           _ZL28rocblas_dot_batched_4_kernelIiLi32ELi4ELb1EddPKfEviT5_lT_lS2_lS3_liPT4_
    .private_segment_fixed_size: 0
    .sgpr_count:     22
    .sgpr_spill_count: 0
    .symbol:         _ZL28rocblas_dot_batched_4_kernelIiLi32ELi4ELb1EddPKfEviT5_lT_lS2_lS3_liPT4_.kd
    .uniform_work_group_size: 1
    .uses_dynamic_stack: false
    .vgpr_count:     15
    .vgpr_spill_count: 0
    .wavefront_size: 32
    .workgroup_processor_mode: 1
  - .args:
      - .offset:         0
        .size:           4
        .value_kind:     by_value
      - .actual_access:  read_only
        .address_space:  global
        .offset:         8
        .size:           8
        .value_kind:     global_buffer
      - .offset:         16
        .size:           8
        .value_kind:     by_value
      - .offset:         24
        .size:           4
        .value_kind:     by_value
      - .offset:         32
        .size:           8
        .value_kind:     by_value
      - .actual_access:  read_only
        .address_space:  global
        .offset:         40
        .size:           8
        .value_kind:     global_buffer
      - .offset:         48
        .size:           8
        .value_kind:     by_value
      - .offset:         56
        .size:           4
        .value_kind:     by_value
      - .offset:         64
        .size:           8
        .value_kind:     by_value
      - .offset:         72
        .size:           4
        .value_kind:     by_value
      - .actual_access:  write_only
        .address_space:  global
        .offset:         80
        .size:           8
        .value_kind:     global_buffer
    .group_segment_fixed_size: 0
    .kernarg_segment_align: 8
    .kernarg_segment_size: 88
    .language:       OpenCL C
    .language_version:
      - 2
      - 0
    .max_flat_workgroup_size: 256
    .name:           _ZL28rocblas_dot_batched_4_kernelIiLi64ELi4ELb1EddPKfEviT5_lT_lS2_lS3_liPT4_
    .private_segment_fixed_size: 0
    .sgpr_count:     22
    .sgpr_spill_count: 0
    .symbol:         _ZL28rocblas_dot_batched_4_kernelIiLi64ELi4ELb1EddPKfEviT5_lT_lS2_lS3_liPT4_.kd
    .uniform_work_group_size: 1
    .uses_dynamic_stack: false
    .vgpr_count:     15
    .vgpr_spill_count: 0
    .wavefront_size: 32
    .workgroup_processor_mode: 1
  - .args:
      - .offset:         0
        .size:           4
        .value_kind:     by_value
      - .actual_access:  read_only
        .address_space:  global
        .offset:         8
        .size:           8
        .value_kind:     global_buffer
      - .offset:         16
        .size:           8
        .value_kind:     by_value
      - .offset:         24
        .size:           8
        .value_kind:     by_value
      - .actual_access:  read_only
        .address_space:  global
        .offset:         32
        .size:           8
        .value_kind:     global_buffer
      - .offset:         40
        .size:           8
        .value_kind:     by_value
      - .offset:         48
        .size:           8
        .value_kind:     by_value
      - .offset:         56
        .size:           4
        .value_kind:     by_value
      - .actual_access:  read_only
        .address_space:  global
        .offset:         64
        .size:           8
        .value_kind:     global_buffer
      - .actual_access:  write_only
        .address_space:  global
        .offset:         72
        .size:           8
        .value_kind:     global_buffer
    .group_segment_fixed_size: 256
    .kernarg_segment_align: 8
    .kernarg_segment_size: 80
    .language:       OpenCL C
    .language_version:
      - 2
      - 0
    .max_flat_workgroup_size: 1024
    .name:           _ZL26rocblas_dot_kernel_inc1by2ILb1ELi1024ELi32ELb1EdPKfdEviT4_llS2_lliPT5_PT3_
    .private_segment_fixed_size: 0
    .sgpr_count:     21
    .sgpr_spill_count: 0
    .symbol:         _ZL26rocblas_dot_kernel_inc1by2ILb1ELi1024ELi32ELb1EdPKfdEviT4_llS2_lliPT5_PT3_.kd
    .uniform_work_group_size: 1
    .uses_dynamic_stack: false
    .vgpr_count:     12
    .vgpr_spill_count: 0
    .wavefront_size: 32
    .workgroup_processor_mode: 1
  - .args:
      - .offset:         0
        .size:           4
        .value_kind:     by_value
      - .actual_access:  read_only
        .address_space:  global
        .offset:         8
        .size:           8
        .value_kind:     global_buffer
      - .offset:         16
        .size:           8
        .value_kind:     by_value
      - .offset:         24
        .size:           4
        .value_kind:     by_value
      - .offset:         32
        .size:           8
        .value_kind:     by_value
      - .actual_access:  read_only
        .address_space:  global
        .offset:         40
        .size:           8
        .value_kind:     global_buffer
      - .offset:         48
        .size:           8
        .value_kind:     by_value
      - .offset:         56
        .size:           4
        .value_kind:     by_value
      - .offset:         64
        .size:           8
        .value_kind:     by_value
      - .offset:         72
        .size:           4
        .value_kind:     by_value
      - .actual_access:  read_only
        .address_space:  global
        .offset:         80
        .size:           8
        .value_kind:     global_buffer
      - .actual_access:  write_only
        .address_space:  global
        .offset:         88
        .size:           8
        .value_kind:     global_buffer
      - .offset:         96
        .size:           4
        .value_kind:     hidden_block_count_x
      - .offset:         100
        .size:           4
        .value_kind:     hidden_block_count_y
      - .offset:         104
        .size:           4
        .value_kind:     hidden_block_count_z
      - .offset:         108
        .size:           2
        .value_kind:     hidden_group_size_x
      - .offset:         110
        .size:           2
        .value_kind:     hidden_group_size_y
      - .offset:         112
        .size:           2
        .value_kind:     hidden_group_size_z
      - .offset:         114
        .size:           2
        .value_kind:     hidden_remainder_x
      - .offset:         116
        .size:           2
        .value_kind:     hidden_remainder_y
      - .offset:         118
        .size:           2
        .value_kind:     hidden_remainder_z
      - .offset:         136
        .size:           8
        .value_kind:     hidden_global_offset_x
      - .offset:         144
        .size:           8
        .value_kind:     hidden_global_offset_y
      - .offset:         152
        .size:           8
        .value_kind:     hidden_global_offset_z
      - .offset:         160
        .size:           2
        .value_kind:     hidden_grid_dims
    .group_segment_fixed_size: 256
    .kernarg_segment_align: 8
    .kernarg_segment_size: 352
    .language:       OpenCL C
    .language_version:
      - 2
      - 0
    .max_flat_workgroup_size: 1024
    .name:           _ZL18rocblas_dot_kernelIiLb1ELi1024ELi32ELb1EdPKfdEviT5_lT_lS2_lS3_liPT6_PT4_
    .private_segment_fixed_size: 0
    .sgpr_count:     27
    .sgpr_spill_count: 0
    .symbol:         _ZL18rocblas_dot_kernelIiLb1ELi1024ELi32ELb1EdPKfdEviT5_lT_lS2_lS3_liPT6_PT4_.kd
    .uniform_work_group_size: 1
    .uses_dynamic_stack: false
    .vgpr_count:     12
    .vgpr_spill_count: 0
    .wavefront_size: 32
    .workgroup_processor_mode: 1
  - .args:
      - .offset:         0
        .size:           4
        .value_kind:     by_value
      - .actual_access:  read_only
        .address_space:  global
        .offset:         8
        .size:           8
        .value_kind:     global_buffer
      - .offset:         16
        .size:           8
        .value_kind:     by_value
      - .offset:         24
        .size:           4
        .value_kind:     by_value
      - .offset:         32
        .size:           8
        .value_kind:     by_value
      - .offset:         40
        .size:           4
        .value_kind:     by_value
      - .actual_access:  read_only
        .address_space:  global
        .offset:         48
        .size:           8
        .value_kind:     global_buffer
      - .actual_access:  write_only
        .address_space:  global
        .offset:         56
        .size:           8
        .value_kind:     global_buffer
      - .offset:         64
        .size:           4
        .value_kind:     hidden_block_count_x
      - .offset:         68
        .size:           4
        .value_kind:     hidden_block_count_y
      - .offset:         72
        .size:           4
        .value_kind:     hidden_block_count_z
      - .offset:         76
        .size:           2
        .value_kind:     hidden_group_size_x
      - .offset:         78
        .size:           2
        .value_kind:     hidden_group_size_y
      - .offset:         80
        .size:           2
        .value_kind:     hidden_group_size_z
      - .offset:         82
        .size:           2
        .value_kind:     hidden_remainder_x
      - .offset:         84
        .size:           2
        .value_kind:     hidden_remainder_y
      - .offset:         86
        .size:           2
        .value_kind:     hidden_remainder_z
      - .offset:         104
        .size:           8
        .value_kind:     hidden_global_offset_x
      - .offset:         112
        .size:           8
        .value_kind:     hidden_global_offset_y
      - .offset:         120
        .size:           8
        .value_kind:     hidden_global_offset_z
      - .offset:         128
        .size:           2
        .value_kind:     hidden_grid_dims
    .group_segment_fixed_size: 256
    .kernarg_segment_align: 8
    .kernarg_segment_size: 320
    .language:       OpenCL C
    .language_version:
      - 2
      - 0
    .max_flat_workgroup_size: 1024
    .name:           _ZL24rocblas_dot_kernel_magsqIiLb1ELi1024ELi32ELb1EdPKfdEviT5_lT_liPT6_PT4_
    .private_segment_fixed_size: 0
    .sgpr_count:     19
    .sgpr_spill_count: 0
    .symbol:         _ZL24rocblas_dot_kernel_magsqIiLb1ELi1024ELi32ELb1EdPKfdEviT5_lT_liPT6_PT4_.kd
    .uniform_work_group_size: 1
    .uses_dynamic_stack: false
    .vgpr_count:     12
    .vgpr_spill_count: 0
    .wavefront_size: 32
    .workgroup_processor_mode: 1
  - .args:
      - .offset:         0
        .size:           4
        .value_kind:     by_value
      - .actual_access:  read_only
        .address_space:  global
        .offset:         8
        .size:           8
        .value_kind:     global_buffer
      - .offset:         16
        .size:           8
        .value_kind:     by_value
      - .offset:         24
        .size:           8
        .value_kind:     by_value
      - .actual_access:  read_only
        .address_space:  global
        .offset:         32
        .size:           8
        .value_kind:     global_buffer
      - .offset:         40
        .size:           8
        .value_kind:     by_value
      - .offset:         48
        .size:           8
        .value_kind:     by_value
      - .offset:         56
        .size:           4
        .value_kind:     by_value
      - .actual_access:  write_only
        .address_space:  global
        .offset:         64
        .size:           8
        .value_kind:     global_buffer
      - .actual_access:  write_only
        .address_space:  global
        .offset:         72
        .size:           8
        .value_kind:     global_buffer
      - .offset:         80
        .size:           4
        .value_kind:     hidden_block_count_x
      - .offset:         84
        .size:           4
        .value_kind:     hidden_block_count_y
      - .offset:         88
        .size:           4
        .value_kind:     hidden_block_count_z
      - .offset:         92
        .size:           2
        .value_kind:     hidden_group_size_x
      - .offset:         94
        .size:           2
        .value_kind:     hidden_group_size_y
      - .offset:         96
        .size:           2
        .value_kind:     hidden_group_size_z
      - .offset:         98
        .size:           2
        .value_kind:     hidden_remainder_x
      - .offset:         100
        .size:           2
        .value_kind:     hidden_remainder_y
      - .offset:         102
        .size:           2
        .value_kind:     hidden_remainder_z
      - .offset:         120
        .size:           8
        .value_kind:     hidden_global_offset_x
      - .offset:         128
        .size:           8
        .value_kind:     hidden_global_offset_y
      - .offset:         136
        .size:           8
        .value_kind:     hidden_global_offset_z
      - .offset:         144
        .size:           2
        .value_kind:     hidden_grid_dims
    .group_segment_fixed_size: 256
    .kernarg_segment_align: 8
    .kernarg_segment_size: 336
    .language:       OpenCL C
    .language_version:
      - 2
      - 0
    .max_flat_workgroup_size: 512
    .name:           _ZL23rocblas_dot_kernel_inc1ILb0ELi512ELi2ELb1EdPKfdEviT4_llS2_lliPT5_PT3_
    .private_segment_fixed_size: 0
    .sgpr_count:     24
    .sgpr_spill_count: 0
    .symbol:         _ZL23rocblas_dot_kernel_inc1ILb0ELi512ELi2ELb1EdPKfdEviT4_llS2_lliPT5_PT3_.kd
    .uniform_work_group_size: 1
    .uses_dynamic_stack: false
    .vgpr_count:     11
    .vgpr_spill_count: 0
    .wavefront_size: 32
    .workgroup_processor_mode: 1
  - .args:
      - .offset:         0
        .size:           4
        .value_kind:     by_value
      - .actual_access:  read_only
        .address_space:  global
        .offset:         8
        .size:           8
        .value_kind:     global_buffer
      - .offset:         16
        .size:           8
        .value_kind:     by_value
      - .offset:         24
        .size:           4
        .value_kind:     by_value
      - .offset:         32
        .size:           8
        .value_kind:     by_value
      - .actual_access:  read_only
        .address_space:  global
        .offset:         40
        .size:           8
        .value_kind:     global_buffer
      - .offset:         48
        .size:           8
        .value_kind:     by_value
      - .offset:         56
        .size:           4
        .value_kind:     by_value
      - .offset:         64
        .size:           8
        .value_kind:     by_value
      - .offset:         72
        .size:           4
        .value_kind:     by_value
      - .actual_access:  write_only
        .address_space:  global
        .offset:         80
        .size:           8
        .value_kind:     global_buffer
      - .actual_access:  write_only
        .address_space:  global
        .offset:         88
        .size:           8
        .value_kind:     global_buffer
      - .offset:         96
        .size:           4
        .value_kind:     hidden_block_count_x
      - .offset:         100
        .size:           4
        .value_kind:     hidden_block_count_y
      - .offset:         104
        .size:           4
        .value_kind:     hidden_block_count_z
      - .offset:         108
        .size:           2
        .value_kind:     hidden_group_size_x
      - .offset:         110
        .size:           2
        .value_kind:     hidden_group_size_y
      - .offset:         112
        .size:           2
        .value_kind:     hidden_group_size_z
      - .offset:         114
        .size:           2
        .value_kind:     hidden_remainder_x
      - .offset:         116
        .size:           2
        .value_kind:     hidden_remainder_y
      - .offset:         118
        .size:           2
        .value_kind:     hidden_remainder_z
      - .offset:         136
        .size:           8
        .value_kind:     hidden_global_offset_x
      - .offset:         144
        .size:           8
        .value_kind:     hidden_global_offset_y
      - .offset:         152
        .size:           8
        .value_kind:     hidden_global_offset_z
      - .offset:         160
        .size:           2
        .value_kind:     hidden_grid_dims
    .group_segment_fixed_size: 256
    .kernarg_segment_align: 8
    .kernarg_segment_size: 352
    .language:       OpenCL C
    .language_version:
      - 2
      - 0
    .max_flat_workgroup_size: 512
    .name:           _ZL18rocblas_dot_kernelIiLb0ELi512ELi2ELb1EdPKfdEviT5_lT_lS2_lS3_liPT6_PT4_
    .private_segment_fixed_size: 0
    .sgpr_count:     26
    .sgpr_spill_count: 0
    .symbol:         _ZL18rocblas_dot_kernelIiLb0ELi512ELi2ELb1EdPKfdEviT5_lT_lS2_lS3_liPT6_PT4_.kd
    .uniform_work_group_size: 1
    .uses_dynamic_stack: false
    .vgpr_count:     11
    .vgpr_spill_count: 0
    .wavefront_size: 32
    .workgroup_processor_mode: 1
  - .args:
      - .offset:         0
        .size:           4
        .value_kind:     by_value
      - .actual_access:  read_only
        .address_space:  global
        .offset:         8
        .size:           8
        .value_kind:     global_buffer
      - .offset:         16
        .size:           8
        .value_kind:     by_value
      - .offset:         24
        .size:           4
        .value_kind:     by_value
      - .offset:         32
        .size:           8
        .value_kind:     by_value
      - .offset:         40
        .size:           4
        .value_kind:     by_value
      - .actual_access:  write_only
        .address_space:  global
        .offset:         48
        .size:           8
        .value_kind:     global_buffer
      - .actual_access:  write_only
        .address_space:  global
        .offset:         56
        .size:           8
        .value_kind:     global_buffer
      - .offset:         64
        .size:           4
        .value_kind:     hidden_block_count_x
      - .offset:         68
        .size:           4
        .value_kind:     hidden_block_count_y
      - .offset:         72
        .size:           4
        .value_kind:     hidden_block_count_z
      - .offset:         76
        .size:           2
        .value_kind:     hidden_group_size_x
      - .offset:         78
        .size:           2
        .value_kind:     hidden_group_size_y
      - .offset:         80
        .size:           2
        .value_kind:     hidden_group_size_z
      - .offset:         82
        .size:           2
        .value_kind:     hidden_remainder_x
      - .offset:         84
        .size:           2
        .value_kind:     hidden_remainder_y
      - .offset:         86
        .size:           2
        .value_kind:     hidden_remainder_z
      - .offset:         104
        .size:           8
        .value_kind:     hidden_global_offset_x
      - .offset:         112
        .size:           8
        .value_kind:     hidden_global_offset_y
      - .offset:         120
        .size:           8
        .value_kind:     hidden_global_offset_z
      - .offset:         128
        .size:           2
        .value_kind:     hidden_grid_dims
    .group_segment_fixed_size: 256
    .kernarg_segment_align: 8
    .kernarg_segment_size: 320
    .language:       OpenCL C
    .language_version:
      - 2
      - 0
    .max_flat_workgroup_size: 512
    .name:           _ZL24rocblas_dot_kernel_magsqIiLb0ELi512ELi2ELb1EdPKfdEviT5_lT_liPT6_PT4_
    .private_segment_fixed_size: 0
    .sgpr_count:     18
    .sgpr_spill_count: 0
    .symbol:         _ZL24rocblas_dot_kernel_magsqIiLb0ELi512ELi2ELb1EdPKfdEviT5_lT_liPT6_PT4_.kd
    .uniform_work_group_size: 1
    .uses_dynamic_stack: false
    .vgpr_count:     11
    .vgpr_spill_count: 0
    .wavefront_size: 32
    .workgroup_processor_mode: 1
  - .args:
      - .offset:         0
        .size:           4
        .value_kind:     by_value
      - .actual_access:  read_only
        .address_space:  global
        .offset:         8
        .size:           8
        .value_kind:     global_buffer
      - .offset:         16
        .size:           8
        .value_kind:     by_value
      - .offset:         24
        .size:           8
        .value_kind:     by_value
      - .offset:         32
        .size:           8
        .value_kind:     by_value
      - .actual_access:  read_only
        .address_space:  global
        .offset:         40
        .size:           8
        .value_kind:     global_buffer
      - .offset:         48
        .size:           8
        .value_kind:     by_value
      - .offset:         56
        .size:           8
        .value_kind:     by_value
      - .offset:         64
        .size:           8
        .value_kind:     by_value
      - .offset:         72
        .size:           4
        .value_kind:     by_value
      - .actual_access:  write_only
        .address_space:  global
        .offset:         80
        .size:           8
        .value_kind:     global_buffer
    .group_segment_fixed_size: 0
    .kernarg_segment_align: 8
    .kernarg_segment_size: 88
    .language:       OpenCL C
    .language_version:
      - 2
      - 0
    .max_flat_workgroup_size: 128
    .name:           _ZL28rocblas_dot_batched_4_kernelIlLi32ELi4ELb1EddPKfEviT5_lT_lS2_lS3_liPT4_
    .private_segment_fixed_size: 0
    .sgpr_count:     22
    .sgpr_spill_count: 0
    .symbol:         _ZL28rocblas_dot_batched_4_kernelIlLi32ELi4ELb1EddPKfEviT5_lT_lS2_lS3_liPT4_.kd
    .uniform_work_group_size: 1
    .uses_dynamic_stack: false
    .vgpr_count:     18
    .vgpr_spill_count: 0
    .wavefront_size: 32
    .workgroup_processor_mode: 1
  - .args:
      - .offset:         0
        .size:           4
        .value_kind:     by_value
      - .actual_access:  read_only
        .address_space:  global
        .offset:         8
        .size:           8
        .value_kind:     global_buffer
      - .offset:         16
        .size:           8
        .value_kind:     by_value
      - .offset:         24
        .size:           8
        .value_kind:     by_value
      - .offset:         32
        .size:           8
        .value_kind:     by_value
      - .actual_access:  read_only
        .address_space:  global
        .offset:         40
        .size:           8
        .value_kind:     global_buffer
      - .offset:         48
        .size:           8
        .value_kind:     by_value
      - .offset:         56
        .size:           8
        .value_kind:     by_value
      - .offset:         64
        .size:           8
        .value_kind:     by_value
      - .offset:         72
        .size:           4
        .value_kind:     by_value
      - .actual_access:  write_only
        .address_space:  global
        .offset:         80
        .size:           8
        .value_kind:     global_buffer
    .group_segment_fixed_size: 0
    .kernarg_segment_align: 8
    .kernarg_segment_size: 88
    .language:       OpenCL C
    .language_version:
      - 2
      - 0
    .max_flat_workgroup_size: 256
    .name:           _ZL28rocblas_dot_batched_4_kernelIlLi64ELi4ELb1EddPKfEviT5_lT_lS2_lS3_liPT4_
    .private_segment_fixed_size: 0
    .sgpr_count:     22
    .sgpr_spill_count: 0
    .symbol:         _ZL28rocblas_dot_batched_4_kernelIlLi64ELi4ELb1EddPKfEviT5_lT_lS2_lS3_liPT4_.kd
    .uniform_work_group_size: 1
    .uses_dynamic_stack: false
    .vgpr_count:     18
    .vgpr_spill_count: 0
    .wavefront_size: 32
    .workgroup_processor_mode: 1
  - .args:
      - .offset:         0
        .size:           4
        .value_kind:     by_value
      - .actual_access:  read_only
        .address_space:  global
        .offset:         8
        .size:           8
        .value_kind:     global_buffer
      - .offset:         16
        .size:           8
        .value_kind:     by_value
      - .offset:         24
        .size:           8
        .value_kind:     by_value
      - .offset:         32
        .size:           8
        .value_kind:     by_value
      - .actual_access:  read_only
        .address_space:  global
        .offset:         40
        .size:           8
        .value_kind:     global_buffer
      - .offset:         48
        .size:           8
        .value_kind:     by_value
      - .offset:         56
        .size:           8
        .value_kind:     by_value
      - .offset:         64
        .size:           8
        .value_kind:     by_value
      - .offset:         72
        .size:           4
        .value_kind:     by_value
      - .actual_access:  read_only
        .address_space:  global
        .offset:         80
        .size:           8
        .value_kind:     global_buffer
      - .actual_access:  write_only
        .address_space:  global
        .offset:         88
        .size:           8
        .value_kind:     global_buffer
      - .offset:         96
        .size:           4
        .value_kind:     hidden_block_count_x
      - .offset:         100
        .size:           4
        .value_kind:     hidden_block_count_y
      - .offset:         104
        .size:           4
        .value_kind:     hidden_block_count_z
      - .offset:         108
        .size:           2
        .value_kind:     hidden_group_size_x
      - .offset:         110
        .size:           2
        .value_kind:     hidden_group_size_y
      - .offset:         112
        .size:           2
        .value_kind:     hidden_group_size_z
      - .offset:         114
        .size:           2
        .value_kind:     hidden_remainder_x
      - .offset:         116
        .size:           2
        .value_kind:     hidden_remainder_y
      - .offset:         118
        .size:           2
        .value_kind:     hidden_remainder_z
      - .offset:         136
        .size:           8
        .value_kind:     hidden_global_offset_x
      - .offset:         144
        .size:           8
        .value_kind:     hidden_global_offset_y
      - .offset:         152
        .size:           8
        .value_kind:     hidden_global_offset_z
      - .offset:         160
        .size:           2
        .value_kind:     hidden_grid_dims
    .group_segment_fixed_size: 256
    .kernarg_segment_align: 8
    .kernarg_segment_size: 352
    .language:       OpenCL C
    .language_version:
      - 2
      - 0
    .max_flat_workgroup_size: 1024
    .name:           _ZL18rocblas_dot_kernelIlLb1ELi1024ELi32ELb1EdPKfdEviT5_lT_lS2_lS3_liPT6_PT4_
    .private_segment_fixed_size: 0
    .sgpr_count:     30
    .sgpr_spill_count: 0
    .symbol:         _ZL18rocblas_dot_kernelIlLb1ELi1024ELi32ELb1EdPKfdEviT5_lT_lS2_lS3_liPT6_PT4_.kd
    .uniform_work_group_size: 1
    .uses_dynamic_stack: false
    .vgpr_count:     12
    .vgpr_spill_count: 0
    .wavefront_size: 32
    .workgroup_processor_mode: 1
  - .args:
      - .offset:         0
        .size:           4
        .value_kind:     by_value
      - .actual_access:  read_only
        .address_space:  global
        .offset:         8
        .size:           8
        .value_kind:     global_buffer
      - .offset:         16
        .size:           8
        .value_kind:     by_value
      - .offset:         24
        .size:           8
        .value_kind:     by_value
      - .offset:         32
        .size:           8
        .value_kind:     by_value
      - .offset:         40
        .size:           4
        .value_kind:     by_value
      - .actual_access:  read_only
        .address_space:  global
        .offset:         48
        .size:           8
        .value_kind:     global_buffer
      - .actual_access:  write_only
        .address_space:  global
        .offset:         56
        .size:           8
        .value_kind:     global_buffer
      - .offset:         64
        .size:           4
        .value_kind:     hidden_block_count_x
      - .offset:         68
        .size:           4
        .value_kind:     hidden_block_count_y
      - .offset:         72
        .size:           4
        .value_kind:     hidden_block_count_z
      - .offset:         76
        .size:           2
        .value_kind:     hidden_group_size_x
      - .offset:         78
        .size:           2
        .value_kind:     hidden_group_size_y
      - .offset:         80
        .size:           2
        .value_kind:     hidden_group_size_z
      - .offset:         82
        .size:           2
        .value_kind:     hidden_remainder_x
      - .offset:         84
        .size:           2
        .value_kind:     hidden_remainder_y
      - .offset:         86
        .size:           2
        .value_kind:     hidden_remainder_z
      - .offset:         104
        .size:           8
        .value_kind:     hidden_global_offset_x
      - .offset:         112
        .size:           8
        .value_kind:     hidden_global_offset_y
      - .offset:         120
        .size:           8
        .value_kind:     hidden_global_offset_z
      - .offset:         128
        .size:           2
        .value_kind:     hidden_grid_dims
    .group_segment_fixed_size: 256
    .kernarg_segment_align: 8
    .kernarg_segment_size: 320
    .language:       OpenCL C
    .language_version:
      - 2
      - 0
    .max_flat_workgroup_size: 1024
    .name:           _ZL24rocblas_dot_kernel_magsqIlLb1ELi1024ELi32ELb1EdPKfdEviT5_lT_liPT6_PT4_
    .private_segment_fixed_size: 0
    .sgpr_count:     19
    .sgpr_spill_count: 0
    .symbol:         _ZL24rocblas_dot_kernel_magsqIlLb1ELi1024ELi32ELb1EdPKfdEviT5_lT_liPT6_PT4_.kd
    .uniform_work_group_size: 1
    .uses_dynamic_stack: false
    .vgpr_count:     12
    .vgpr_spill_count: 0
    .wavefront_size: 32
    .workgroup_processor_mode: 1
  - .args:
      - .offset:         0
        .size:           4
        .value_kind:     by_value
      - .actual_access:  read_only
        .address_space:  global
        .offset:         8
        .size:           8
        .value_kind:     global_buffer
      - .offset:         16
        .size:           8
        .value_kind:     by_value
      - .offset:         24
        .size:           8
        .value_kind:     by_value
      - .offset:         32
        .size:           8
        .value_kind:     by_value
      - .actual_access:  read_only
        .address_space:  global
        .offset:         40
        .size:           8
        .value_kind:     global_buffer
      - .offset:         48
        .size:           8
        .value_kind:     by_value
      - .offset:         56
        .size:           8
        .value_kind:     by_value
      - .offset:         64
        .size:           8
        .value_kind:     by_value
      - .offset:         72
        .size:           4
        .value_kind:     by_value
      - .actual_access:  write_only
        .address_space:  global
        .offset:         80
        .size:           8
        .value_kind:     global_buffer
      - .actual_access:  write_only
        .address_space:  global
        .offset:         88
        .size:           8
        .value_kind:     global_buffer
      - .offset:         96
        .size:           4
        .value_kind:     hidden_block_count_x
      - .offset:         100
        .size:           4
        .value_kind:     hidden_block_count_y
      - .offset:         104
        .size:           4
        .value_kind:     hidden_block_count_z
      - .offset:         108
        .size:           2
        .value_kind:     hidden_group_size_x
      - .offset:         110
        .size:           2
        .value_kind:     hidden_group_size_y
      - .offset:         112
        .size:           2
        .value_kind:     hidden_group_size_z
      - .offset:         114
        .size:           2
        .value_kind:     hidden_remainder_x
      - .offset:         116
        .size:           2
        .value_kind:     hidden_remainder_y
      - .offset:         118
        .size:           2
        .value_kind:     hidden_remainder_z
      - .offset:         136
        .size:           8
        .value_kind:     hidden_global_offset_x
      - .offset:         144
        .size:           8
        .value_kind:     hidden_global_offset_y
      - .offset:         152
        .size:           8
        .value_kind:     hidden_global_offset_z
      - .offset:         160
        .size:           2
        .value_kind:     hidden_grid_dims
    .group_segment_fixed_size: 256
    .kernarg_segment_align: 8
    .kernarg_segment_size: 352
    .language:       OpenCL C
    .language_version:
      - 2
      - 0
    .max_flat_workgroup_size: 512
    .name:           _ZL18rocblas_dot_kernelIlLb0ELi512ELi2ELb1EdPKfdEviT5_lT_lS2_lS3_liPT6_PT4_
    .private_segment_fixed_size: 0
    .sgpr_count:     28
    .sgpr_spill_count: 0
    .symbol:         _ZL18rocblas_dot_kernelIlLb0ELi512ELi2ELb1EdPKfdEviT5_lT_lS2_lS3_liPT6_PT4_.kd
    .uniform_work_group_size: 1
    .uses_dynamic_stack: false
    .vgpr_count:     12
    .vgpr_spill_count: 0
    .wavefront_size: 32
    .workgroup_processor_mode: 1
  - .args:
      - .offset:         0
        .size:           4
        .value_kind:     by_value
      - .actual_access:  read_only
        .address_space:  global
        .offset:         8
        .size:           8
        .value_kind:     global_buffer
      - .offset:         16
        .size:           8
        .value_kind:     by_value
      - .offset:         24
        .size:           8
        .value_kind:     by_value
      - .offset:         32
        .size:           8
        .value_kind:     by_value
      - .offset:         40
        .size:           4
        .value_kind:     by_value
      - .actual_access:  write_only
        .address_space:  global
        .offset:         48
        .size:           8
        .value_kind:     global_buffer
      - .actual_access:  write_only
        .address_space:  global
        .offset:         56
        .size:           8
        .value_kind:     global_buffer
      - .offset:         64
        .size:           4
        .value_kind:     hidden_block_count_x
      - .offset:         68
        .size:           4
        .value_kind:     hidden_block_count_y
      - .offset:         72
        .size:           4
        .value_kind:     hidden_block_count_z
      - .offset:         76
        .size:           2
        .value_kind:     hidden_group_size_x
      - .offset:         78
        .size:           2
        .value_kind:     hidden_group_size_y
      - .offset:         80
        .size:           2
        .value_kind:     hidden_group_size_z
      - .offset:         82
        .size:           2
        .value_kind:     hidden_remainder_x
      - .offset:         84
        .size:           2
        .value_kind:     hidden_remainder_y
      - .offset:         86
        .size:           2
        .value_kind:     hidden_remainder_z
      - .offset:         104
        .size:           8
        .value_kind:     hidden_global_offset_x
      - .offset:         112
        .size:           8
        .value_kind:     hidden_global_offset_y
      - .offset:         120
        .size:           8
        .value_kind:     hidden_global_offset_z
      - .offset:         128
        .size:           2
        .value_kind:     hidden_grid_dims
    .group_segment_fixed_size: 256
    .kernarg_segment_align: 8
    .kernarg_segment_size: 320
    .language:       OpenCL C
    .language_version:
      - 2
      - 0
    .max_flat_workgroup_size: 512
    .name:           _ZL24rocblas_dot_kernel_magsqIlLb0ELi512ELi2ELb1EdPKfdEviT5_lT_liPT6_PT4_
    .private_segment_fixed_size: 0
    .sgpr_count:     20
    .sgpr_spill_count: 0
    .symbol:         _ZL24rocblas_dot_kernel_magsqIlLb0ELi512ELi2ELb1EdPKfdEviT5_lT_liPT6_PT4_.kd
    .uniform_work_group_size: 1
    .uses_dynamic_stack: false
    .vgpr_count:     11
    .vgpr_spill_count: 0
    .wavefront_size: 32
    .workgroup_processor_mode: 1
  - .args:
      - .offset:         0
        .size:           4
        .value_kind:     by_value
      - .actual_access:  read_only
        .address_space:  global
        .offset:         8
        .size:           8
        .value_kind:     global_buffer
      - .offset:         16
        .size:           8
        .value_kind:     by_value
      - .offset:         24
        .size:           4
        .value_kind:     by_value
      - .offset:         32
        .size:           8
        .value_kind:     by_value
      - .actual_access:  read_only
        .address_space:  global
        .offset:         40
        .size:           8
        .value_kind:     global_buffer
      - .offset:         48
        .size:           8
        .value_kind:     by_value
      - .offset:         56
        .size:           4
        .value_kind:     by_value
      - .offset:         64
        .size:           8
        .value_kind:     by_value
      - .offset:         72
        .size:           4
        .value_kind:     by_value
      - .actual_access:  write_only
        .address_space:  global
        .offset:         80
        .size:           8
        .value_kind:     global_buffer
    .group_segment_fixed_size: 0
    .kernarg_segment_align: 8
    .kernarg_segment_size: 88
    .language:       OpenCL C
    .language_version:
      - 2
      - 0
    .max_flat_workgroup_size: 128
    .name:           _ZL28rocblas_dot_batched_4_kernelIiLi32ELi4ELb1EddPKPKfEviT5_lT_lS4_lS5_liPT4_
    .private_segment_fixed_size: 0
    .sgpr_count:     18
    .sgpr_spill_count: 0
    .symbol:         _ZL28rocblas_dot_batched_4_kernelIiLi32ELi4ELb1EddPKPKfEviT5_lT_lS4_lS5_liPT4_.kd
    .uniform_work_group_size: 1
    .uses_dynamic_stack: false
    .vgpr_count:     14
    .vgpr_spill_count: 0
    .wavefront_size: 32
    .workgroup_processor_mode: 1
  - .args:
      - .offset:         0
        .size:           4
        .value_kind:     by_value
      - .actual_access:  read_only
        .address_space:  global
        .offset:         8
        .size:           8
        .value_kind:     global_buffer
      - .offset:         16
        .size:           8
        .value_kind:     by_value
      - .offset:         24
        .size:           4
        .value_kind:     by_value
      - .offset:         32
        .size:           8
        .value_kind:     by_value
      - .actual_access:  read_only
        .address_space:  global
        .offset:         40
        .size:           8
        .value_kind:     global_buffer
      - .offset:         48
        .size:           8
        .value_kind:     by_value
      - .offset:         56
        .size:           4
        .value_kind:     by_value
      - .offset:         64
        .size:           8
        .value_kind:     by_value
      - .offset:         72
        .size:           4
        .value_kind:     by_value
      - .actual_access:  write_only
        .address_space:  global
        .offset:         80
        .size:           8
        .value_kind:     global_buffer
    .group_segment_fixed_size: 0
    .kernarg_segment_align: 8
    .kernarg_segment_size: 88
    .language:       OpenCL C
    .language_version:
      - 2
      - 0
    .max_flat_workgroup_size: 256
    .name:           _ZL28rocblas_dot_batched_4_kernelIiLi64ELi4ELb1EddPKPKfEviT5_lT_lS4_lS5_liPT4_
    .private_segment_fixed_size: 0
    .sgpr_count:     18
    .sgpr_spill_count: 0
    .symbol:         _ZL28rocblas_dot_batched_4_kernelIiLi64ELi4ELb1EddPKPKfEviT5_lT_lS4_lS5_liPT4_.kd
    .uniform_work_group_size: 1
    .uses_dynamic_stack: false
    .vgpr_count:     14
    .vgpr_spill_count: 0
    .wavefront_size: 32
    .workgroup_processor_mode: 1
  - .args:
      - .offset:         0
        .size:           4
        .value_kind:     by_value
      - .actual_access:  read_only
        .address_space:  global
        .offset:         8
        .size:           8
        .value_kind:     global_buffer
      - .offset:         16
        .size:           8
        .value_kind:     by_value
      - .offset:         24
        .size:           8
        .value_kind:     by_value
      - .actual_access:  read_only
        .address_space:  global
        .offset:         32
        .size:           8
        .value_kind:     global_buffer
      - .offset:         40
        .size:           8
        .value_kind:     by_value
      - .offset:         48
        .size:           8
        .value_kind:     by_value
      - .offset:         56
        .size:           4
        .value_kind:     by_value
      - .actual_access:  read_only
        .address_space:  global
        .offset:         64
        .size:           8
        .value_kind:     global_buffer
      - .actual_access:  write_only
        .address_space:  global
        .offset:         72
        .size:           8
        .value_kind:     global_buffer
    .group_segment_fixed_size: 256
    .kernarg_segment_align: 8
    .kernarg_segment_size: 80
    .language:       OpenCL C
    .language_version:
      - 2
      - 0
    .max_flat_workgroup_size: 1024
    .name:           _ZL26rocblas_dot_kernel_inc1by2ILb1ELi1024ELi32ELb1EdPKPKfdEviT4_llS4_lliPT5_PT3_
    .private_segment_fixed_size: 0
    .sgpr_count:     18
    .sgpr_spill_count: 0
    .symbol:         _ZL26rocblas_dot_kernel_inc1by2ILb1ELi1024ELi32ELb1EdPKPKfdEviT4_llS4_lliPT5_PT3_.kd
    .uniform_work_group_size: 1
    .uses_dynamic_stack: false
    .vgpr_count:     12
    .vgpr_spill_count: 0
    .wavefront_size: 32
    .workgroup_processor_mode: 1
  - .args:
      - .offset:         0
        .size:           4
        .value_kind:     by_value
      - .actual_access:  read_only
        .address_space:  global
        .offset:         8
        .size:           8
        .value_kind:     global_buffer
      - .offset:         16
        .size:           8
        .value_kind:     by_value
      - .offset:         24
        .size:           4
        .value_kind:     by_value
      - .offset:         32
        .size:           8
        .value_kind:     by_value
      - .actual_access:  read_only
        .address_space:  global
        .offset:         40
        .size:           8
        .value_kind:     global_buffer
      - .offset:         48
        .size:           8
        .value_kind:     by_value
      - .offset:         56
        .size:           4
        .value_kind:     by_value
      - .offset:         64
        .size:           8
        .value_kind:     by_value
      - .offset:         72
        .size:           4
        .value_kind:     by_value
      - .actual_access:  read_only
        .address_space:  global
        .offset:         80
        .size:           8
        .value_kind:     global_buffer
      - .actual_access:  write_only
        .address_space:  global
        .offset:         88
        .size:           8
        .value_kind:     global_buffer
      - .offset:         96
        .size:           4
        .value_kind:     hidden_block_count_x
      - .offset:         100
        .size:           4
        .value_kind:     hidden_block_count_y
      - .offset:         104
        .size:           4
        .value_kind:     hidden_block_count_z
      - .offset:         108
        .size:           2
        .value_kind:     hidden_group_size_x
      - .offset:         110
        .size:           2
        .value_kind:     hidden_group_size_y
      - .offset:         112
        .size:           2
        .value_kind:     hidden_group_size_z
      - .offset:         114
        .size:           2
        .value_kind:     hidden_remainder_x
      - .offset:         116
        .size:           2
        .value_kind:     hidden_remainder_y
      - .offset:         118
        .size:           2
        .value_kind:     hidden_remainder_z
      - .offset:         136
        .size:           8
        .value_kind:     hidden_global_offset_x
      - .offset:         144
        .size:           8
        .value_kind:     hidden_global_offset_y
      - .offset:         152
        .size:           8
        .value_kind:     hidden_global_offset_z
      - .offset:         160
        .size:           2
        .value_kind:     hidden_grid_dims
    .group_segment_fixed_size: 256
    .kernarg_segment_align: 8
    .kernarg_segment_size: 352
    .language:       OpenCL C
    .language_version:
      - 2
      - 0
    .max_flat_workgroup_size: 1024
    .name:           _ZL18rocblas_dot_kernelIiLb1ELi1024ELi32ELb1EdPKPKfdEviT5_lT_lS4_lS5_liPT6_PT4_
    .private_segment_fixed_size: 0
    .sgpr_count:     23
    .sgpr_spill_count: 0
    .symbol:         _ZL18rocblas_dot_kernelIiLb1ELi1024ELi32ELb1EdPKPKfdEviT5_lT_lS4_lS5_liPT6_PT4_.kd
    .uniform_work_group_size: 1
    .uses_dynamic_stack: false
    .vgpr_count:     12
    .vgpr_spill_count: 0
    .wavefront_size: 32
    .workgroup_processor_mode: 1
  - .args:
      - .offset:         0
        .size:           4
        .value_kind:     by_value
      - .actual_access:  read_only
        .address_space:  global
        .offset:         8
        .size:           8
        .value_kind:     global_buffer
      - .offset:         16
        .size:           8
        .value_kind:     by_value
      - .offset:         24
        .size:           4
        .value_kind:     by_value
      - .offset:         32
        .size:           8
        .value_kind:     by_value
      - .offset:         40
        .size:           4
        .value_kind:     by_value
      - .actual_access:  read_only
        .address_space:  global
        .offset:         48
        .size:           8
        .value_kind:     global_buffer
      - .actual_access:  write_only
        .address_space:  global
        .offset:         56
        .size:           8
        .value_kind:     global_buffer
      - .offset:         64
        .size:           4
        .value_kind:     hidden_block_count_x
      - .offset:         68
        .size:           4
        .value_kind:     hidden_block_count_y
      - .offset:         72
        .size:           4
        .value_kind:     hidden_block_count_z
      - .offset:         76
        .size:           2
        .value_kind:     hidden_group_size_x
      - .offset:         78
        .size:           2
        .value_kind:     hidden_group_size_y
      - .offset:         80
        .size:           2
        .value_kind:     hidden_group_size_z
      - .offset:         82
        .size:           2
        .value_kind:     hidden_remainder_x
      - .offset:         84
        .size:           2
        .value_kind:     hidden_remainder_y
      - .offset:         86
        .size:           2
        .value_kind:     hidden_remainder_z
      - .offset:         104
        .size:           8
        .value_kind:     hidden_global_offset_x
      - .offset:         112
        .size:           8
        .value_kind:     hidden_global_offset_y
      - .offset:         120
        .size:           8
        .value_kind:     hidden_global_offset_z
      - .offset:         128
        .size:           2
        .value_kind:     hidden_grid_dims
    .group_segment_fixed_size: 256
    .kernarg_segment_align: 8
    .kernarg_segment_size: 320
    .language:       OpenCL C
    .language_version:
      - 2
      - 0
    .max_flat_workgroup_size: 1024
    .name:           _ZL24rocblas_dot_kernel_magsqIiLb1ELi1024ELi32ELb1EdPKPKfdEviT5_lT_liPT6_PT4_
    .private_segment_fixed_size: 0
    .sgpr_count:     19
    .sgpr_spill_count: 0
    .symbol:         _ZL24rocblas_dot_kernel_magsqIiLb1ELi1024ELi32ELb1EdPKPKfdEviT5_lT_liPT6_PT4_.kd
    .uniform_work_group_size: 1
    .uses_dynamic_stack: false
    .vgpr_count:     12
    .vgpr_spill_count: 0
    .wavefront_size: 32
    .workgroup_processor_mode: 1
  - .args:
      - .offset:         0
        .size:           4
        .value_kind:     by_value
      - .actual_access:  read_only
        .address_space:  global
        .offset:         8
        .size:           8
        .value_kind:     global_buffer
      - .offset:         16
        .size:           8
        .value_kind:     by_value
      - .offset:         24
        .size:           8
        .value_kind:     by_value
      - .actual_access:  read_only
        .address_space:  global
        .offset:         32
        .size:           8
        .value_kind:     global_buffer
      - .offset:         40
        .size:           8
        .value_kind:     by_value
      - .offset:         48
        .size:           8
        .value_kind:     by_value
      - .offset:         56
        .size:           4
        .value_kind:     by_value
      - .actual_access:  write_only
        .address_space:  global
        .offset:         64
        .size:           8
        .value_kind:     global_buffer
      - .actual_access:  write_only
        .address_space:  global
        .offset:         72
        .size:           8
        .value_kind:     global_buffer
      - .offset:         80
        .size:           4
        .value_kind:     hidden_block_count_x
      - .offset:         84
        .size:           4
        .value_kind:     hidden_block_count_y
      - .offset:         88
        .size:           4
        .value_kind:     hidden_block_count_z
      - .offset:         92
        .size:           2
        .value_kind:     hidden_group_size_x
      - .offset:         94
        .size:           2
        .value_kind:     hidden_group_size_y
      - .offset:         96
        .size:           2
        .value_kind:     hidden_group_size_z
      - .offset:         98
        .size:           2
        .value_kind:     hidden_remainder_x
      - .offset:         100
        .size:           2
        .value_kind:     hidden_remainder_y
      - .offset:         102
        .size:           2
        .value_kind:     hidden_remainder_z
      - .offset:         120
        .size:           8
        .value_kind:     hidden_global_offset_x
      - .offset:         128
        .size:           8
        .value_kind:     hidden_global_offset_y
      - .offset:         136
        .size:           8
        .value_kind:     hidden_global_offset_z
      - .offset:         144
        .size:           2
        .value_kind:     hidden_grid_dims
    .group_segment_fixed_size: 256
    .kernarg_segment_align: 8
    .kernarg_segment_size: 336
    .language:       OpenCL C
    .language_version:
      - 2
      - 0
    .max_flat_workgroup_size: 512
    .name:           _ZL23rocblas_dot_kernel_inc1ILb0ELi512ELi2ELb1EdPKPKfdEviT4_llS4_lliPT5_PT3_
    .private_segment_fixed_size: 0
    .sgpr_count:     22
    .sgpr_spill_count: 0
    .symbol:         _ZL23rocblas_dot_kernel_inc1ILb0ELi512ELi2ELb1EdPKPKfdEviT4_llS4_lliPT5_PT3_.kd
    .uniform_work_group_size: 1
    .uses_dynamic_stack: false
    .vgpr_count:     11
    .vgpr_spill_count: 0
    .wavefront_size: 32
    .workgroup_processor_mode: 1
  - .args:
      - .offset:         0
        .size:           4
        .value_kind:     by_value
      - .actual_access:  read_only
        .address_space:  global
        .offset:         8
        .size:           8
        .value_kind:     global_buffer
      - .offset:         16
        .size:           8
        .value_kind:     by_value
      - .offset:         24
        .size:           4
        .value_kind:     by_value
      - .offset:         32
        .size:           8
        .value_kind:     by_value
      - .actual_access:  read_only
        .address_space:  global
        .offset:         40
        .size:           8
        .value_kind:     global_buffer
      - .offset:         48
        .size:           8
        .value_kind:     by_value
      - .offset:         56
        .size:           4
        .value_kind:     by_value
      - .offset:         64
        .size:           8
        .value_kind:     by_value
      - .offset:         72
        .size:           4
        .value_kind:     by_value
      - .actual_access:  write_only
        .address_space:  global
        .offset:         80
        .size:           8
        .value_kind:     global_buffer
      - .actual_access:  write_only
        .address_space:  global
        .offset:         88
        .size:           8
        .value_kind:     global_buffer
      - .offset:         96
        .size:           4
        .value_kind:     hidden_block_count_x
      - .offset:         100
        .size:           4
        .value_kind:     hidden_block_count_y
      - .offset:         104
        .size:           4
        .value_kind:     hidden_block_count_z
      - .offset:         108
        .size:           2
        .value_kind:     hidden_group_size_x
      - .offset:         110
        .size:           2
        .value_kind:     hidden_group_size_y
      - .offset:         112
        .size:           2
        .value_kind:     hidden_group_size_z
      - .offset:         114
        .size:           2
        .value_kind:     hidden_remainder_x
      - .offset:         116
        .size:           2
        .value_kind:     hidden_remainder_y
      - .offset:         118
        .size:           2
        .value_kind:     hidden_remainder_z
      - .offset:         136
        .size:           8
        .value_kind:     hidden_global_offset_x
      - .offset:         144
        .size:           8
        .value_kind:     hidden_global_offset_y
      - .offset:         152
        .size:           8
        .value_kind:     hidden_global_offset_z
      - .offset:         160
        .size:           2
        .value_kind:     hidden_grid_dims
    .group_segment_fixed_size: 256
    .kernarg_segment_align: 8
    .kernarg_segment_size: 352
    .language:       OpenCL C
    .language_version:
      - 2
      - 0
    .max_flat_workgroup_size: 512
    .name:           _ZL18rocblas_dot_kernelIiLb0ELi512ELi2ELb1EdPKPKfdEviT5_lT_lS4_lS5_liPT6_PT4_
    .private_segment_fixed_size: 0
    .sgpr_count:     26
    .sgpr_spill_count: 0
    .symbol:         _ZL18rocblas_dot_kernelIiLb0ELi512ELi2ELb1EdPKPKfdEviT5_lT_lS4_lS5_liPT6_PT4_.kd
    .uniform_work_group_size: 1
    .uses_dynamic_stack: false
    .vgpr_count:     11
    .vgpr_spill_count: 0
    .wavefront_size: 32
    .workgroup_processor_mode: 1
  - .args:
      - .offset:         0
        .size:           4
        .value_kind:     by_value
      - .actual_access:  read_only
        .address_space:  global
        .offset:         8
        .size:           8
        .value_kind:     global_buffer
      - .offset:         16
        .size:           8
        .value_kind:     by_value
      - .offset:         24
        .size:           4
        .value_kind:     by_value
      - .offset:         32
        .size:           8
        .value_kind:     by_value
      - .offset:         40
        .size:           4
        .value_kind:     by_value
      - .actual_access:  write_only
        .address_space:  global
        .offset:         48
        .size:           8
        .value_kind:     global_buffer
      - .actual_access:  write_only
        .address_space:  global
        .offset:         56
        .size:           8
        .value_kind:     global_buffer
      - .offset:         64
        .size:           4
        .value_kind:     hidden_block_count_x
      - .offset:         68
        .size:           4
        .value_kind:     hidden_block_count_y
      - .offset:         72
        .size:           4
        .value_kind:     hidden_block_count_z
      - .offset:         76
        .size:           2
        .value_kind:     hidden_group_size_x
      - .offset:         78
        .size:           2
        .value_kind:     hidden_group_size_y
      - .offset:         80
        .size:           2
        .value_kind:     hidden_group_size_z
      - .offset:         82
        .size:           2
        .value_kind:     hidden_remainder_x
      - .offset:         84
        .size:           2
        .value_kind:     hidden_remainder_y
      - .offset:         86
        .size:           2
        .value_kind:     hidden_remainder_z
      - .offset:         104
        .size:           8
        .value_kind:     hidden_global_offset_x
      - .offset:         112
        .size:           8
        .value_kind:     hidden_global_offset_y
      - .offset:         120
        .size:           8
        .value_kind:     hidden_global_offset_z
      - .offset:         128
        .size:           2
        .value_kind:     hidden_grid_dims
    .group_segment_fixed_size: 256
    .kernarg_segment_align: 8
    .kernarg_segment_size: 320
    .language:       OpenCL C
    .language_version:
      - 2
      - 0
    .max_flat_workgroup_size: 512
    .name:           _ZL24rocblas_dot_kernel_magsqIiLb0ELi512ELi2ELb1EdPKPKfdEviT5_lT_liPT6_PT4_
    .private_segment_fixed_size: 0
    .sgpr_count:     18
    .sgpr_spill_count: 0
    .symbol:         _ZL24rocblas_dot_kernel_magsqIiLb0ELi512ELi2ELb1EdPKPKfdEviT5_lT_liPT6_PT4_.kd
    .uniform_work_group_size: 1
    .uses_dynamic_stack: false
    .vgpr_count:     11
    .vgpr_spill_count: 0
    .wavefront_size: 32
    .workgroup_processor_mode: 1
  - .args:
      - .offset:         0
        .size:           4
        .value_kind:     by_value
      - .actual_access:  read_only
        .address_space:  global
        .offset:         8
        .size:           8
        .value_kind:     global_buffer
      - .offset:         16
        .size:           8
        .value_kind:     by_value
      - .offset:         24
        .size:           8
        .value_kind:     by_value
      - .offset:         32
        .size:           8
        .value_kind:     by_value
      - .actual_access:  read_only
        .address_space:  global
        .offset:         40
        .size:           8
        .value_kind:     global_buffer
      - .offset:         48
        .size:           8
        .value_kind:     by_value
      - .offset:         56
        .size:           8
        .value_kind:     by_value
      - .offset:         64
        .size:           8
        .value_kind:     by_value
      - .offset:         72
        .size:           4
        .value_kind:     by_value
      - .actual_access:  write_only
        .address_space:  global
        .offset:         80
        .size:           8
        .value_kind:     global_buffer
    .group_segment_fixed_size: 0
    .kernarg_segment_align: 8
    .kernarg_segment_size: 88
    .language:       OpenCL C
    .language_version:
      - 2
      - 0
    .max_flat_workgroup_size: 128
    .name:           _ZL28rocblas_dot_batched_4_kernelIlLi32ELi4ELb1EddPKPKfEviT5_lT_lS4_lS5_liPT4_
    .private_segment_fixed_size: 0
    .sgpr_count:     18
    .sgpr_spill_count: 0
    .symbol:         _ZL28rocblas_dot_batched_4_kernelIlLi32ELi4ELb1EddPKPKfEviT5_lT_lS4_lS5_liPT4_.kd
    .uniform_work_group_size: 1
    .uses_dynamic_stack: false
    .vgpr_count:     15
    .vgpr_spill_count: 0
    .wavefront_size: 32
    .workgroup_processor_mode: 1
  - .args:
      - .offset:         0
        .size:           4
        .value_kind:     by_value
      - .actual_access:  read_only
        .address_space:  global
        .offset:         8
        .size:           8
        .value_kind:     global_buffer
      - .offset:         16
        .size:           8
        .value_kind:     by_value
      - .offset:         24
        .size:           8
        .value_kind:     by_value
      - .offset:         32
        .size:           8
        .value_kind:     by_value
      - .actual_access:  read_only
        .address_space:  global
        .offset:         40
        .size:           8
        .value_kind:     global_buffer
      - .offset:         48
        .size:           8
        .value_kind:     by_value
      - .offset:         56
        .size:           8
        .value_kind:     by_value
      - .offset:         64
        .size:           8
        .value_kind:     by_value
      - .offset:         72
        .size:           4
        .value_kind:     by_value
      - .actual_access:  write_only
        .address_space:  global
        .offset:         80
        .size:           8
        .value_kind:     global_buffer
    .group_segment_fixed_size: 0
    .kernarg_segment_align: 8
    .kernarg_segment_size: 88
    .language:       OpenCL C
    .language_version:
      - 2
      - 0
    .max_flat_workgroup_size: 256
    .name:           _ZL28rocblas_dot_batched_4_kernelIlLi64ELi4ELb1EddPKPKfEviT5_lT_lS4_lS5_liPT4_
    .private_segment_fixed_size: 0
    .sgpr_count:     18
    .sgpr_spill_count: 0
    .symbol:         _ZL28rocblas_dot_batched_4_kernelIlLi64ELi4ELb1EddPKPKfEviT5_lT_lS4_lS5_liPT4_.kd
    .uniform_work_group_size: 1
    .uses_dynamic_stack: false
    .vgpr_count:     15
    .vgpr_spill_count: 0
    .wavefront_size: 32
    .workgroup_processor_mode: 1
  - .args:
      - .offset:         0
        .size:           4
        .value_kind:     by_value
      - .actual_access:  read_only
        .address_space:  global
        .offset:         8
        .size:           8
        .value_kind:     global_buffer
      - .offset:         16
        .size:           8
        .value_kind:     by_value
      - .offset:         24
        .size:           8
        .value_kind:     by_value
      - .offset:         32
        .size:           8
        .value_kind:     by_value
      - .actual_access:  read_only
        .address_space:  global
        .offset:         40
        .size:           8
        .value_kind:     global_buffer
      - .offset:         48
        .size:           8
        .value_kind:     by_value
      - .offset:         56
        .size:           8
        .value_kind:     by_value
      - .offset:         64
        .size:           8
        .value_kind:     by_value
      - .offset:         72
        .size:           4
        .value_kind:     by_value
      - .actual_access:  read_only
        .address_space:  global
        .offset:         80
        .size:           8
        .value_kind:     global_buffer
      - .actual_access:  write_only
        .address_space:  global
        .offset:         88
        .size:           8
        .value_kind:     global_buffer
      - .offset:         96
        .size:           4
        .value_kind:     hidden_block_count_x
      - .offset:         100
        .size:           4
        .value_kind:     hidden_block_count_y
      - .offset:         104
        .size:           4
        .value_kind:     hidden_block_count_z
      - .offset:         108
        .size:           2
        .value_kind:     hidden_group_size_x
      - .offset:         110
        .size:           2
        .value_kind:     hidden_group_size_y
      - .offset:         112
        .size:           2
        .value_kind:     hidden_group_size_z
      - .offset:         114
        .size:           2
        .value_kind:     hidden_remainder_x
      - .offset:         116
        .size:           2
        .value_kind:     hidden_remainder_y
      - .offset:         118
        .size:           2
        .value_kind:     hidden_remainder_z
      - .offset:         136
        .size:           8
        .value_kind:     hidden_global_offset_x
      - .offset:         144
        .size:           8
        .value_kind:     hidden_global_offset_y
      - .offset:         152
        .size:           8
        .value_kind:     hidden_global_offset_z
      - .offset:         160
        .size:           2
        .value_kind:     hidden_grid_dims
    .group_segment_fixed_size: 256
    .kernarg_segment_align: 8
    .kernarg_segment_size: 352
    .language:       OpenCL C
    .language_version:
      - 2
      - 0
    .max_flat_workgroup_size: 1024
    .name:           _ZL18rocblas_dot_kernelIlLb1ELi1024ELi32ELb1EdPKPKfdEviT5_lT_lS4_lS5_liPT6_PT4_
    .private_segment_fixed_size: 0
    .sgpr_count:     27
    .sgpr_spill_count: 0
    .symbol:         _ZL18rocblas_dot_kernelIlLb1ELi1024ELi32ELb1EdPKPKfdEviT5_lT_lS4_lS5_liPT6_PT4_.kd
    .uniform_work_group_size: 1
    .uses_dynamic_stack: false
    .vgpr_count:     12
    .vgpr_spill_count: 0
    .wavefront_size: 32
    .workgroup_processor_mode: 1
  - .args:
      - .offset:         0
        .size:           4
        .value_kind:     by_value
      - .actual_access:  read_only
        .address_space:  global
        .offset:         8
        .size:           8
        .value_kind:     global_buffer
      - .offset:         16
        .size:           8
        .value_kind:     by_value
      - .offset:         24
        .size:           8
        .value_kind:     by_value
      - .offset:         32
        .size:           8
        .value_kind:     by_value
      - .offset:         40
        .size:           4
        .value_kind:     by_value
      - .actual_access:  read_only
        .address_space:  global
        .offset:         48
        .size:           8
        .value_kind:     global_buffer
      - .actual_access:  write_only
        .address_space:  global
        .offset:         56
        .size:           8
        .value_kind:     global_buffer
      - .offset:         64
        .size:           4
        .value_kind:     hidden_block_count_x
      - .offset:         68
        .size:           4
        .value_kind:     hidden_block_count_y
      - .offset:         72
        .size:           4
        .value_kind:     hidden_block_count_z
      - .offset:         76
        .size:           2
        .value_kind:     hidden_group_size_x
      - .offset:         78
        .size:           2
        .value_kind:     hidden_group_size_y
      - .offset:         80
        .size:           2
        .value_kind:     hidden_group_size_z
      - .offset:         82
        .size:           2
        .value_kind:     hidden_remainder_x
      - .offset:         84
        .size:           2
        .value_kind:     hidden_remainder_y
      - .offset:         86
        .size:           2
        .value_kind:     hidden_remainder_z
      - .offset:         104
        .size:           8
        .value_kind:     hidden_global_offset_x
      - .offset:         112
        .size:           8
        .value_kind:     hidden_global_offset_y
      - .offset:         120
        .size:           8
        .value_kind:     hidden_global_offset_z
      - .offset:         128
        .size:           2
        .value_kind:     hidden_grid_dims
    .group_segment_fixed_size: 256
    .kernarg_segment_align: 8
    .kernarg_segment_size: 320
    .language:       OpenCL C
    .language_version:
      - 2
      - 0
    .max_flat_workgroup_size: 1024
    .name:           _ZL24rocblas_dot_kernel_magsqIlLb1ELi1024ELi32ELb1EdPKPKfdEviT5_lT_liPT6_PT4_
    .private_segment_fixed_size: 0
    .sgpr_count:     19
    .sgpr_spill_count: 0
    .symbol:         _ZL24rocblas_dot_kernel_magsqIlLb1ELi1024ELi32ELb1EdPKPKfdEviT5_lT_liPT6_PT4_.kd
    .uniform_work_group_size: 1
    .uses_dynamic_stack: false
    .vgpr_count:     12
    .vgpr_spill_count: 0
    .wavefront_size: 32
    .workgroup_processor_mode: 1
  - .args:
      - .offset:         0
        .size:           4
        .value_kind:     by_value
      - .actual_access:  read_only
        .address_space:  global
        .offset:         8
        .size:           8
        .value_kind:     global_buffer
      - .offset:         16
        .size:           8
        .value_kind:     by_value
      - .offset:         24
        .size:           8
        .value_kind:     by_value
      - .offset:         32
        .size:           8
        .value_kind:     by_value
      - .actual_access:  read_only
        .address_space:  global
        .offset:         40
        .size:           8
        .value_kind:     global_buffer
      - .offset:         48
        .size:           8
        .value_kind:     by_value
      - .offset:         56
        .size:           8
        .value_kind:     by_value
      - .offset:         64
        .size:           8
        .value_kind:     by_value
      - .offset:         72
        .size:           4
        .value_kind:     by_value
      - .actual_access:  write_only
        .address_space:  global
        .offset:         80
        .size:           8
        .value_kind:     global_buffer
      - .actual_access:  write_only
        .address_space:  global
        .offset:         88
        .size:           8
        .value_kind:     global_buffer
      - .offset:         96
        .size:           4
        .value_kind:     hidden_block_count_x
      - .offset:         100
        .size:           4
        .value_kind:     hidden_block_count_y
      - .offset:         104
        .size:           4
        .value_kind:     hidden_block_count_z
      - .offset:         108
        .size:           2
        .value_kind:     hidden_group_size_x
      - .offset:         110
        .size:           2
        .value_kind:     hidden_group_size_y
      - .offset:         112
        .size:           2
        .value_kind:     hidden_group_size_z
      - .offset:         114
        .size:           2
        .value_kind:     hidden_remainder_x
      - .offset:         116
        .size:           2
        .value_kind:     hidden_remainder_y
      - .offset:         118
        .size:           2
        .value_kind:     hidden_remainder_z
      - .offset:         136
        .size:           8
        .value_kind:     hidden_global_offset_x
      - .offset:         144
        .size:           8
        .value_kind:     hidden_global_offset_y
      - .offset:         152
        .size:           8
        .value_kind:     hidden_global_offset_z
      - .offset:         160
        .size:           2
        .value_kind:     hidden_grid_dims
    .group_segment_fixed_size: 256
    .kernarg_segment_align: 8
    .kernarg_segment_size: 352
    .language:       OpenCL C
    .language_version:
      - 2
      - 0
    .max_flat_workgroup_size: 512
    .name:           _ZL18rocblas_dot_kernelIlLb0ELi512ELi2ELb1EdPKPKfdEviT5_lT_lS4_lS5_liPT6_PT4_
    .private_segment_fixed_size: 0
    .sgpr_count:     24
    .sgpr_spill_count: 0
    .symbol:         _ZL18rocblas_dot_kernelIlLb0ELi512ELi2ELb1EdPKPKfdEviT5_lT_lS4_lS5_liPT6_PT4_.kd
    .uniform_work_group_size: 1
    .uses_dynamic_stack: false
    .vgpr_count:     12
    .vgpr_spill_count: 0
    .wavefront_size: 32
    .workgroup_processor_mode: 1
  - .args:
      - .offset:         0
        .size:           4
        .value_kind:     by_value
      - .actual_access:  read_only
        .address_space:  global
        .offset:         8
        .size:           8
        .value_kind:     global_buffer
      - .offset:         16
        .size:           8
        .value_kind:     by_value
      - .offset:         24
        .size:           8
        .value_kind:     by_value
      - .offset:         32
        .size:           8
        .value_kind:     by_value
      - .offset:         40
        .size:           4
        .value_kind:     by_value
      - .actual_access:  write_only
        .address_space:  global
        .offset:         48
        .size:           8
        .value_kind:     global_buffer
      - .actual_access:  write_only
        .address_space:  global
        .offset:         56
        .size:           8
        .value_kind:     global_buffer
      - .offset:         64
        .size:           4
        .value_kind:     hidden_block_count_x
      - .offset:         68
        .size:           4
        .value_kind:     hidden_block_count_y
      - .offset:         72
        .size:           4
        .value_kind:     hidden_block_count_z
      - .offset:         76
        .size:           2
        .value_kind:     hidden_group_size_x
      - .offset:         78
        .size:           2
        .value_kind:     hidden_group_size_y
      - .offset:         80
        .size:           2
        .value_kind:     hidden_group_size_z
      - .offset:         82
        .size:           2
        .value_kind:     hidden_remainder_x
      - .offset:         84
        .size:           2
        .value_kind:     hidden_remainder_y
      - .offset:         86
        .size:           2
        .value_kind:     hidden_remainder_z
      - .offset:         104
        .size:           8
        .value_kind:     hidden_global_offset_x
      - .offset:         112
        .size:           8
        .value_kind:     hidden_global_offset_y
      - .offset:         120
        .size:           8
        .value_kind:     hidden_global_offset_z
      - .offset:         128
        .size:           2
        .value_kind:     hidden_grid_dims
    .group_segment_fixed_size: 256
    .kernarg_segment_align: 8
    .kernarg_segment_size: 320
    .language:       OpenCL C
    .language_version:
      - 2
      - 0
    .max_flat_workgroup_size: 512
    .name:           _ZL24rocblas_dot_kernel_magsqIlLb0ELi512ELi2ELb1EdPKPKfdEviT5_lT_liPT6_PT4_
    .private_segment_fixed_size: 0
    .sgpr_count:     20
    .sgpr_spill_count: 0
    .symbol:         _ZL24rocblas_dot_kernel_magsqIlLb0ELi512ELi2ELb1EdPKPKfdEviT5_lT_liPT6_PT4_.kd
    .uniform_work_group_size: 1
    .uses_dynamic_stack: false
    .vgpr_count:     11
    .vgpr_spill_count: 0
    .wavefront_size: 32
    .workgroup_processor_mode: 1
  - .args:
      - .offset:         0
        .size:           4
        .value_kind:     by_value
      - .actual_access:  read_only
        .address_space:  global
        .offset:         8
        .size:           8
        .value_kind:     global_buffer
      - .offset:         16
        .size:           8
        .value_kind:     by_value
      - .offset:         24
        .size:           4
        .value_kind:     by_value
      - .offset:         32
        .size:           8
        .value_kind:     by_value
      - .actual_access:  read_only
        .address_space:  global
        .offset:         40
        .size:           8
        .value_kind:     global_buffer
      - .offset:         48
        .size:           8
        .value_kind:     by_value
      - .offset:         56
        .size:           4
        .value_kind:     by_value
      - .offset:         64
        .size:           8
        .value_kind:     by_value
      - .offset:         72
        .size:           4
        .value_kind:     by_value
      - .actual_access:  write_only
        .address_space:  global
        .offset:         80
        .size:           8
        .value_kind:     global_buffer
    .group_segment_fixed_size: 0
    .kernarg_segment_align: 8
    .kernarg_segment_size: 88
    .language:       OpenCL C
    .language_version:
      - 2
      - 0
    .max_flat_workgroup_size: 128
    .name:           _ZL28rocblas_dot_batched_4_kernelIiLi32ELi4ELb1EffPKfEviT5_lT_lS2_lS3_liPT4_
    .private_segment_fixed_size: 0
    .sgpr_count:     22
    .sgpr_spill_count: 0
    .symbol:         _ZL28rocblas_dot_batched_4_kernelIiLi32ELi4ELb1EffPKfEviT5_lT_lS2_lS3_liPT4_.kd
    .uniform_work_group_size: 1
    .uses_dynamic_stack: false
    .vgpr_count:     14
    .vgpr_spill_count: 0
    .wavefront_size: 32
    .workgroup_processor_mode: 1
  - .args:
      - .offset:         0
        .size:           4
        .value_kind:     by_value
      - .actual_access:  read_only
        .address_space:  global
        .offset:         8
        .size:           8
        .value_kind:     global_buffer
      - .offset:         16
        .size:           8
        .value_kind:     by_value
      - .offset:         24
        .size:           4
        .value_kind:     by_value
      - .offset:         32
        .size:           8
        .value_kind:     by_value
      - .actual_access:  read_only
        .address_space:  global
        .offset:         40
        .size:           8
        .value_kind:     global_buffer
      - .offset:         48
        .size:           8
        .value_kind:     by_value
      - .offset:         56
        .size:           4
        .value_kind:     by_value
      - .offset:         64
        .size:           8
        .value_kind:     by_value
      - .offset:         72
        .size:           4
        .value_kind:     by_value
      - .actual_access:  write_only
        .address_space:  global
        .offset:         80
        .size:           8
        .value_kind:     global_buffer
    .group_segment_fixed_size: 0
    .kernarg_segment_align: 8
    .kernarg_segment_size: 88
    .language:       OpenCL C
    .language_version:
      - 2
      - 0
    .max_flat_workgroup_size: 256
    .name:           _ZL28rocblas_dot_batched_4_kernelIiLi64ELi4ELb1EffPKfEviT5_lT_lS2_lS3_liPT4_
    .private_segment_fixed_size: 0
    .sgpr_count:     22
    .sgpr_spill_count: 0
    .symbol:         _ZL28rocblas_dot_batched_4_kernelIiLi64ELi4ELb1EffPKfEviT5_lT_lS2_lS3_liPT4_.kd
    .uniform_work_group_size: 1
    .uses_dynamic_stack: false
    .vgpr_count:     14
    .vgpr_spill_count: 0
    .wavefront_size: 32
    .workgroup_processor_mode: 1
  - .args:
      - .offset:         0
        .size:           4
        .value_kind:     by_value
      - .actual_access:  read_only
        .address_space:  global
        .offset:         8
        .size:           8
        .value_kind:     global_buffer
      - .offset:         16
        .size:           8
        .value_kind:     by_value
      - .offset:         24
        .size:           8
        .value_kind:     by_value
      - .actual_access:  read_only
        .address_space:  global
        .offset:         32
        .size:           8
        .value_kind:     global_buffer
      - .offset:         40
        .size:           8
        .value_kind:     by_value
      - .offset:         48
        .size:           8
        .value_kind:     by_value
      - .offset:         56
        .size:           4
        .value_kind:     by_value
      - .actual_access:  read_only
        .address_space:  global
        .offset:         64
        .size:           8
        .value_kind:     global_buffer
      - .actual_access:  write_only
        .address_space:  global
        .offset:         72
        .size:           8
        .value_kind:     global_buffer
    .group_segment_fixed_size: 128
    .kernarg_segment_align: 8
    .kernarg_segment_size: 80
    .language:       OpenCL C
    .language_version:
      - 2
      - 0
    .max_flat_workgroup_size: 1024
    .name:           _ZL26rocblas_dot_kernel_inc1by2ILb1ELi1024ELi32ELb1EfPKffEviT4_llS2_lliPT5_PT3_
    .private_segment_fixed_size: 0
    .sgpr_count:     26
    .sgpr_spill_count: 0
    .symbol:         _ZL26rocblas_dot_kernel_inc1by2ILb1ELi1024ELi32ELb1EfPKffEviT4_llS2_lliPT5_PT3_.kd
    .uniform_work_group_size: 1
    .uses_dynamic_stack: false
    .vgpr_count:     11
    .vgpr_spill_count: 0
    .wavefront_size: 32
    .workgroup_processor_mode: 1
  - .args:
      - .offset:         0
        .size:           4
        .value_kind:     by_value
      - .actual_access:  read_only
        .address_space:  global
        .offset:         8
        .size:           8
        .value_kind:     global_buffer
      - .offset:         16
        .size:           8
        .value_kind:     by_value
      - .offset:         24
        .size:           4
        .value_kind:     by_value
      - .offset:         32
        .size:           8
        .value_kind:     by_value
      - .actual_access:  read_only
        .address_space:  global
        .offset:         40
        .size:           8
        .value_kind:     global_buffer
      - .offset:         48
        .size:           8
        .value_kind:     by_value
      - .offset:         56
        .size:           4
        .value_kind:     by_value
      - .offset:         64
        .size:           8
        .value_kind:     by_value
      - .offset:         72
        .size:           4
        .value_kind:     by_value
      - .actual_access:  read_only
        .address_space:  global
        .offset:         80
        .size:           8
        .value_kind:     global_buffer
      - .actual_access:  write_only
        .address_space:  global
        .offset:         88
        .size:           8
        .value_kind:     global_buffer
      - .offset:         96
        .size:           4
        .value_kind:     hidden_block_count_x
      - .offset:         100
        .size:           4
        .value_kind:     hidden_block_count_y
      - .offset:         104
        .size:           4
        .value_kind:     hidden_block_count_z
      - .offset:         108
        .size:           2
        .value_kind:     hidden_group_size_x
      - .offset:         110
        .size:           2
        .value_kind:     hidden_group_size_y
      - .offset:         112
        .size:           2
        .value_kind:     hidden_group_size_z
      - .offset:         114
        .size:           2
        .value_kind:     hidden_remainder_x
      - .offset:         116
        .size:           2
        .value_kind:     hidden_remainder_y
      - .offset:         118
        .size:           2
        .value_kind:     hidden_remainder_z
      - .offset:         136
        .size:           8
        .value_kind:     hidden_global_offset_x
      - .offset:         144
        .size:           8
        .value_kind:     hidden_global_offset_y
      - .offset:         152
        .size:           8
        .value_kind:     hidden_global_offset_z
      - .offset:         160
        .size:           2
        .value_kind:     hidden_grid_dims
    .group_segment_fixed_size: 128
    .kernarg_segment_align: 8
    .kernarg_segment_size: 352
    .language:       OpenCL C
    .language_version:
      - 2
      - 0
    .max_flat_workgroup_size: 1024
    .name:           _ZL18rocblas_dot_kernelIiLb1ELi1024ELi32ELb1EfPKffEviT5_lT_lS2_lS3_liPT6_PT4_
    .private_segment_fixed_size: 0
    .sgpr_count:     27
    .sgpr_spill_count: 0
    .symbol:         _ZL18rocblas_dot_kernelIiLb1ELi1024ELi32ELb1EfPKffEviT5_lT_lS2_lS3_liPT6_PT4_.kd
    .uniform_work_group_size: 1
    .uses_dynamic_stack: false
    .vgpr_count:     10
    .vgpr_spill_count: 0
    .wavefront_size: 32
    .workgroup_processor_mode: 1
  - .args:
      - .offset:         0
        .size:           4
        .value_kind:     by_value
      - .actual_access:  read_only
        .address_space:  global
        .offset:         8
        .size:           8
        .value_kind:     global_buffer
      - .offset:         16
        .size:           8
        .value_kind:     by_value
      - .offset:         24
        .size:           4
        .value_kind:     by_value
      - .offset:         32
        .size:           8
        .value_kind:     by_value
      - .offset:         40
        .size:           4
        .value_kind:     by_value
      - .actual_access:  read_only
        .address_space:  global
        .offset:         48
        .size:           8
        .value_kind:     global_buffer
      - .actual_access:  write_only
        .address_space:  global
        .offset:         56
        .size:           8
        .value_kind:     global_buffer
      - .offset:         64
        .size:           4
        .value_kind:     hidden_block_count_x
      - .offset:         68
        .size:           4
        .value_kind:     hidden_block_count_y
      - .offset:         72
        .size:           4
        .value_kind:     hidden_block_count_z
      - .offset:         76
        .size:           2
        .value_kind:     hidden_group_size_x
      - .offset:         78
        .size:           2
        .value_kind:     hidden_group_size_y
      - .offset:         80
        .size:           2
        .value_kind:     hidden_group_size_z
      - .offset:         82
        .size:           2
        .value_kind:     hidden_remainder_x
      - .offset:         84
        .size:           2
        .value_kind:     hidden_remainder_y
      - .offset:         86
        .size:           2
        .value_kind:     hidden_remainder_z
      - .offset:         104
        .size:           8
        .value_kind:     hidden_global_offset_x
      - .offset:         112
        .size:           8
        .value_kind:     hidden_global_offset_y
      - .offset:         120
        .size:           8
        .value_kind:     hidden_global_offset_z
      - .offset:         128
        .size:           2
        .value_kind:     hidden_grid_dims
    .group_segment_fixed_size: 128
    .kernarg_segment_align: 8
    .kernarg_segment_size: 320
    .language:       OpenCL C
    .language_version:
      - 2
      - 0
    .max_flat_workgroup_size: 1024
    .name:           _ZL24rocblas_dot_kernel_magsqIiLb1ELi1024ELi32ELb1EfPKffEviT5_lT_liPT6_PT4_
    .private_segment_fixed_size: 0
    .sgpr_count:     19
    .sgpr_spill_count: 0
    .symbol:         _ZL24rocblas_dot_kernel_magsqIiLb1ELi1024ELi32ELb1EfPKffEviT5_lT_liPT6_PT4_.kd
    .uniform_work_group_size: 1
    .uses_dynamic_stack: false
    .vgpr_count:     10
    .vgpr_spill_count: 0
    .wavefront_size: 32
    .workgroup_processor_mode: 1
  - .args:
      - .offset:         0
        .size:           4
        .value_kind:     by_value
      - .actual_access:  read_only
        .address_space:  global
        .offset:         8
        .size:           8
        .value_kind:     global_buffer
      - .offset:         16
        .size:           8
        .value_kind:     by_value
      - .offset:         24
        .size:           8
        .value_kind:     by_value
      - .actual_access:  read_only
        .address_space:  global
        .offset:         32
        .size:           8
        .value_kind:     global_buffer
      - .offset:         40
        .size:           8
        .value_kind:     by_value
      - .offset:         48
        .size:           8
        .value_kind:     by_value
      - .offset:         56
        .size:           4
        .value_kind:     by_value
      - .actual_access:  write_only
        .address_space:  global
        .offset:         64
        .size:           8
        .value_kind:     global_buffer
      - .actual_access:  write_only
        .address_space:  global
        .offset:         72
        .size:           8
        .value_kind:     global_buffer
      - .offset:         80
        .size:           4
        .value_kind:     hidden_block_count_x
      - .offset:         84
        .size:           4
        .value_kind:     hidden_block_count_y
      - .offset:         88
        .size:           4
        .value_kind:     hidden_block_count_z
      - .offset:         92
        .size:           2
        .value_kind:     hidden_group_size_x
      - .offset:         94
        .size:           2
        .value_kind:     hidden_group_size_y
      - .offset:         96
        .size:           2
        .value_kind:     hidden_group_size_z
      - .offset:         98
        .size:           2
        .value_kind:     hidden_remainder_x
      - .offset:         100
        .size:           2
        .value_kind:     hidden_remainder_y
      - .offset:         102
        .size:           2
        .value_kind:     hidden_remainder_z
      - .offset:         120
        .size:           8
        .value_kind:     hidden_global_offset_x
      - .offset:         128
        .size:           8
        .value_kind:     hidden_global_offset_y
      - .offset:         136
        .size:           8
        .value_kind:     hidden_global_offset_z
      - .offset:         144
        .size:           2
        .value_kind:     hidden_grid_dims
    .group_segment_fixed_size: 128
    .kernarg_segment_align: 8
    .kernarg_segment_size: 336
    .language:       OpenCL C
    .language_version:
      - 2
      - 0
    .max_flat_workgroup_size: 512
    .name:           _ZL23rocblas_dot_kernel_inc1ILb0ELi512ELi4ELb1EfPKffEviT4_llS2_lliPT5_PT3_
    .private_segment_fixed_size: 0
    .sgpr_count:     26
    .sgpr_spill_count: 0
    .symbol:         _ZL23rocblas_dot_kernel_inc1ILb0ELi512ELi4ELb1EfPKffEviT4_llS2_lliPT5_PT3_.kd
    .uniform_work_group_size: 1
    .uses_dynamic_stack: false
    .vgpr_count:     9
    .vgpr_spill_count: 0
    .wavefront_size: 32
    .workgroup_processor_mode: 1
  - .args:
      - .offset:         0
        .size:           4
        .value_kind:     by_value
      - .actual_access:  read_only
        .address_space:  global
        .offset:         8
        .size:           8
        .value_kind:     global_buffer
      - .offset:         16
        .size:           8
        .value_kind:     by_value
      - .offset:         24
        .size:           4
        .value_kind:     by_value
      - .offset:         32
        .size:           8
        .value_kind:     by_value
      - .actual_access:  read_only
        .address_space:  global
        .offset:         40
        .size:           8
        .value_kind:     global_buffer
      - .offset:         48
        .size:           8
        .value_kind:     by_value
      - .offset:         56
        .size:           4
        .value_kind:     by_value
      - .offset:         64
        .size:           8
        .value_kind:     by_value
      - .offset:         72
        .size:           4
        .value_kind:     by_value
      - .actual_access:  write_only
        .address_space:  global
        .offset:         80
        .size:           8
        .value_kind:     global_buffer
      - .actual_access:  write_only
        .address_space:  global
        .offset:         88
        .size:           8
        .value_kind:     global_buffer
      - .offset:         96
        .size:           4
        .value_kind:     hidden_block_count_x
      - .offset:         100
        .size:           4
        .value_kind:     hidden_block_count_y
      - .offset:         104
        .size:           4
        .value_kind:     hidden_block_count_z
      - .offset:         108
        .size:           2
        .value_kind:     hidden_group_size_x
      - .offset:         110
        .size:           2
        .value_kind:     hidden_group_size_y
      - .offset:         112
        .size:           2
        .value_kind:     hidden_group_size_z
      - .offset:         114
        .size:           2
        .value_kind:     hidden_remainder_x
      - .offset:         116
        .size:           2
        .value_kind:     hidden_remainder_y
      - .offset:         118
        .size:           2
        .value_kind:     hidden_remainder_z
      - .offset:         136
        .size:           8
        .value_kind:     hidden_global_offset_x
      - .offset:         144
        .size:           8
        .value_kind:     hidden_global_offset_y
      - .offset:         152
        .size:           8
        .value_kind:     hidden_global_offset_z
      - .offset:         160
        .size:           2
        .value_kind:     hidden_grid_dims
    .group_segment_fixed_size: 128
    .kernarg_segment_align: 8
    .kernarg_segment_size: 352
    .language:       OpenCL C
    .language_version:
      - 2
      - 0
    .max_flat_workgroup_size: 512
    .name:           _ZL18rocblas_dot_kernelIiLb0ELi512ELi4ELb1EfPKffEviT5_lT_lS2_lS3_liPT6_PT4_
    .private_segment_fixed_size: 0
    .sgpr_count:     30
    .sgpr_spill_count: 0
    .symbol:         _ZL18rocblas_dot_kernelIiLb0ELi512ELi4ELb1EfPKffEviT5_lT_lS2_lS3_liPT6_PT4_.kd
    .uniform_work_group_size: 1
    .uses_dynamic_stack: false
    .vgpr_count:     10
    .vgpr_spill_count: 0
    .wavefront_size: 32
    .workgroup_processor_mode: 1
  - .args:
      - .offset:         0
        .size:           4
        .value_kind:     by_value
      - .actual_access:  read_only
        .address_space:  global
        .offset:         8
        .size:           8
        .value_kind:     global_buffer
      - .offset:         16
        .size:           8
        .value_kind:     by_value
      - .offset:         24
        .size:           4
        .value_kind:     by_value
      - .offset:         32
        .size:           8
        .value_kind:     by_value
      - .offset:         40
        .size:           4
        .value_kind:     by_value
      - .actual_access:  write_only
        .address_space:  global
        .offset:         48
        .size:           8
        .value_kind:     global_buffer
      - .actual_access:  write_only
        .address_space:  global
        .offset:         56
        .size:           8
        .value_kind:     global_buffer
      - .offset:         64
        .size:           4
        .value_kind:     hidden_block_count_x
      - .offset:         68
        .size:           4
        .value_kind:     hidden_block_count_y
      - .offset:         72
        .size:           4
        .value_kind:     hidden_block_count_z
      - .offset:         76
        .size:           2
        .value_kind:     hidden_group_size_x
      - .offset:         78
        .size:           2
        .value_kind:     hidden_group_size_y
      - .offset:         80
        .size:           2
        .value_kind:     hidden_group_size_z
      - .offset:         82
        .size:           2
        .value_kind:     hidden_remainder_x
      - .offset:         84
        .size:           2
        .value_kind:     hidden_remainder_y
      - .offset:         86
        .size:           2
        .value_kind:     hidden_remainder_z
      - .offset:         104
        .size:           8
        .value_kind:     hidden_global_offset_x
      - .offset:         112
        .size:           8
        .value_kind:     hidden_global_offset_y
      - .offset:         120
        .size:           8
        .value_kind:     hidden_global_offset_z
      - .offset:         128
        .size:           2
        .value_kind:     hidden_grid_dims
    .group_segment_fixed_size: 128
    .kernarg_segment_align: 8
    .kernarg_segment_size: 320
    .language:       OpenCL C
    .language_version:
      - 2
      - 0
    .max_flat_workgroup_size: 512
    .name:           _ZL24rocblas_dot_kernel_magsqIiLb0ELi512ELi4ELb1EfPKffEviT5_lT_liPT6_PT4_
    .private_segment_fixed_size: 0
    .sgpr_count:     24
    .sgpr_spill_count: 0
    .symbol:         _ZL24rocblas_dot_kernel_magsqIiLb0ELi512ELi4ELb1EfPKffEviT5_lT_liPT6_PT4_.kd
    .uniform_work_group_size: 1
    .uses_dynamic_stack: false
    .vgpr_count:     9
    .vgpr_spill_count: 0
    .wavefront_size: 32
    .workgroup_processor_mode: 1
  - .args:
      - .offset:         0
        .size:           4
        .value_kind:     by_value
      - .actual_access:  read_only
        .address_space:  global
        .offset:         8
        .size:           8
        .value_kind:     global_buffer
      - .offset:         16
        .size:           8
        .value_kind:     by_value
      - .offset:         24
        .size:           8
        .value_kind:     by_value
      - .offset:         32
        .size:           8
        .value_kind:     by_value
      - .actual_access:  read_only
        .address_space:  global
        .offset:         40
        .size:           8
        .value_kind:     global_buffer
      - .offset:         48
        .size:           8
        .value_kind:     by_value
      - .offset:         56
        .size:           8
        .value_kind:     by_value
      - .offset:         64
        .size:           8
        .value_kind:     by_value
      - .offset:         72
        .size:           4
        .value_kind:     by_value
      - .actual_access:  write_only
        .address_space:  global
        .offset:         80
        .size:           8
        .value_kind:     global_buffer
    .group_segment_fixed_size: 0
    .kernarg_segment_align: 8
    .kernarg_segment_size: 88
    .language:       OpenCL C
    .language_version:
      - 2
      - 0
    .max_flat_workgroup_size: 128
    .name:           _ZL28rocblas_dot_batched_4_kernelIlLi32ELi4ELb1EffPKfEviT5_lT_lS2_lS3_liPT4_
    .private_segment_fixed_size: 0
    .sgpr_count:     22
    .sgpr_spill_count: 0
    .symbol:         _ZL28rocblas_dot_batched_4_kernelIlLi32ELi4ELb1EffPKfEviT5_lT_lS2_lS3_liPT4_.kd
    .uniform_work_group_size: 1
    .uses_dynamic_stack: false
    .vgpr_count:     17
    .vgpr_spill_count: 0
    .wavefront_size: 32
    .workgroup_processor_mode: 1
  - .args:
      - .offset:         0
        .size:           4
        .value_kind:     by_value
      - .actual_access:  read_only
        .address_space:  global
        .offset:         8
        .size:           8
        .value_kind:     global_buffer
      - .offset:         16
        .size:           8
        .value_kind:     by_value
      - .offset:         24
        .size:           8
        .value_kind:     by_value
      - .offset:         32
        .size:           8
        .value_kind:     by_value
      - .actual_access:  read_only
        .address_space:  global
        .offset:         40
        .size:           8
        .value_kind:     global_buffer
      - .offset:         48
        .size:           8
        .value_kind:     by_value
      - .offset:         56
        .size:           8
        .value_kind:     by_value
      - .offset:         64
        .size:           8
        .value_kind:     by_value
      - .offset:         72
        .size:           4
        .value_kind:     by_value
      - .actual_access:  write_only
        .address_space:  global
        .offset:         80
        .size:           8
        .value_kind:     global_buffer
    .group_segment_fixed_size: 0
    .kernarg_segment_align: 8
    .kernarg_segment_size: 88
    .language:       OpenCL C
    .language_version:
      - 2
      - 0
    .max_flat_workgroup_size: 256
    .name:           _ZL28rocblas_dot_batched_4_kernelIlLi64ELi4ELb1EffPKfEviT5_lT_lS2_lS3_liPT4_
    .private_segment_fixed_size: 0
    .sgpr_count:     22
    .sgpr_spill_count: 0
    .symbol:         _ZL28rocblas_dot_batched_4_kernelIlLi64ELi4ELb1EffPKfEviT5_lT_lS2_lS3_liPT4_.kd
    .uniform_work_group_size: 1
    .uses_dynamic_stack: false
    .vgpr_count:     17
    .vgpr_spill_count: 0
    .wavefront_size: 32
    .workgroup_processor_mode: 1
  - .args:
      - .offset:         0
        .size:           4
        .value_kind:     by_value
      - .actual_access:  read_only
        .address_space:  global
        .offset:         8
        .size:           8
        .value_kind:     global_buffer
      - .offset:         16
        .size:           8
        .value_kind:     by_value
      - .offset:         24
        .size:           8
        .value_kind:     by_value
      - .offset:         32
        .size:           8
        .value_kind:     by_value
      - .actual_access:  read_only
        .address_space:  global
        .offset:         40
        .size:           8
        .value_kind:     global_buffer
      - .offset:         48
        .size:           8
        .value_kind:     by_value
      - .offset:         56
        .size:           8
        .value_kind:     by_value
      - .offset:         64
        .size:           8
        .value_kind:     by_value
      - .offset:         72
        .size:           4
        .value_kind:     by_value
      - .actual_access:  read_only
        .address_space:  global
        .offset:         80
        .size:           8
        .value_kind:     global_buffer
      - .actual_access:  write_only
        .address_space:  global
        .offset:         88
        .size:           8
        .value_kind:     global_buffer
      - .offset:         96
        .size:           4
        .value_kind:     hidden_block_count_x
      - .offset:         100
        .size:           4
        .value_kind:     hidden_block_count_y
      - .offset:         104
        .size:           4
        .value_kind:     hidden_block_count_z
      - .offset:         108
        .size:           2
        .value_kind:     hidden_group_size_x
      - .offset:         110
        .size:           2
        .value_kind:     hidden_group_size_y
      - .offset:         112
        .size:           2
        .value_kind:     hidden_group_size_z
      - .offset:         114
        .size:           2
        .value_kind:     hidden_remainder_x
      - .offset:         116
        .size:           2
        .value_kind:     hidden_remainder_y
      - .offset:         118
        .size:           2
        .value_kind:     hidden_remainder_z
      - .offset:         136
        .size:           8
        .value_kind:     hidden_global_offset_x
      - .offset:         144
        .size:           8
        .value_kind:     hidden_global_offset_y
      - .offset:         152
        .size:           8
        .value_kind:     hidden_global_offset_z
      - .offset:         160
        .size:           2
        .value_kind:     hidden_grid_dims
    .group_segment_fixed_size: 128
    .kernarg_segment_align: 8
    .kernarg_segment_size: 352
    .language:       OpenCL C
    .language_version:
      - 2
      - 0
    .max_flat_workgroup_size: 1024
    .name:           _ZL18rocblas_dot_kernelIlLb1ELi1024ELi32ELb1EfPKffEviT5_lT_lS2_lS3_liPT6_PT4_
    .private_segment_fixed_size: 0
    .sgpr_count:     29
    .sgpr_spill_count: 0
    .symbol:         _ZL18rocblas_dot_kernelIlLb1ELi1024ELi32ELb1EfPKffEviT5_lT_lS2_lS3_liPT6_PT4_.kd
    .uniform_work_group_size: 1
    .uses_dynamic_stack: false
    .vgpr_count:     11
    .vgpr_spill_count: 0
    .wavefront_size: 32
    .workgroup_processor_mode: 1
  - .args:
      - .offset:         0
        .size:           4
        .value_kind:     by_value
      - .actual_access:  read_only
        .address_space:  global
        .offset:         8
        .size:           8
        .value_kind:     global_buffer
      - .offset:         16
        .size:           8
        .value_kind:     by_value
      - .offset:         24
        .size:           8
        .value_kind:     by_value
      - .offset:         32
        .size:           8
        .value_kind:     by_value
      - .offset:         40
        .size:           4
        .value_kind:     by_value
      - .actual_access:  read_only
        .address_space:  global
        .offset:         48
        .size:           8
        .value_kind:     global_buffer
      - .actual_access:  write_only
        .address_space:  global
        .offset:         56
        .size:           8
        .value_kind:     global_buffer
      - .offset:         64
        .size:           4
        .value_kind:     hidden_block_count_x
      - .offset:         68
        .size:           4
        .value_kind:     hidden_block_count_y
      - .offset:         72
        .size:           4
        .value_kind:     hidden_block_count_z
      - .offset:         76
        .size:           2
        .value_kind:     hidden_group_size_x
      - .offset:         78
        .size:           2
        .value_kind:     hidden_group_size_y
      - .offset:         80
        .size:           2
        .value_kind:     hidden_group_size_z
      - .offset:         82
        .size:           2
        .value_kind:     hidden_remainder_x
      - .offset:         84
        .size:           2
        .value_kind:     hidden_remainder_y
      - .offset:         86
        .size:           2
        .value_kind:     hidden_remainder_z
      - .offset:         104
        .size:           8
        .value_kind:     hidden_global_offset_x
      - .offset:         112
        .size:           8
        .value_kind:     hidden_global_offset_y
      - .offset:         120
        .size:           8
        .value_kind:     hidden_global_offset_z
      - .offset:         128
        .size:           2
        .value_kind:     hidden_grid_dims
    .group_segment_fixed_size: 128
    .kernarg_segment_align: 8
    .kernarg_segment_size: 320
    .language:       OpenCL C
    .language_version:
      - 2
      - 0
    .max_flat_workgroup_size: 1024
    .name:           _ZL24rocblas_dot_kernel_magsqIlLb1ELi1024ELi32ELb1EfPKffEviT5_lT_liPT6_PT4_
    .private_segment_fixed_size: 0
    .sgpr_count:     19
    .sgpr_spill_count: 0
    .symbol:         _ZL24rocblas_dot_kernel_magsqIlLb1ELi1024ELi32ELb1EfPKffEviT5_lT_liPT6_PT4_.kd
    .uniform_work_group_size: 1
    .uses_dynamic_stack: false
    .vgpr_count:     10
    .vgpr_spill_count: 0
    .wavefront_size: 32
    .workgroup_processor_mode: 1
  - .args:
      - .offset:         0
        .size:           4
        .value_kind:     by_value
      - .actual_access:  read_only
        .address_space:  global
        .offset:         8
        .size:           8
        .value_kind:     global_buffer
      - .offset:         16
        .size:           8
        .value_kind:     by_value
      - .offset:         24
        .size:           8
        .value_kind:     by_value
      - .offset:         32
        .size:           8
        .value_kind:     by_value
      - .actual_access:  read_only
        .address_space:  global
        .offset:         40
        .size:           8
        .value_kind:     global_buffer
      - .offset:         48
        .size:           8
        .value_kind:     by_value
      - .offset:         56
        .size:           8
        .value_kind:     by_value
      - .offset:         64
        .size:           8
        .value_kind:     by_value
      - .offset:         72
        .size:           4
        .value_kind:     by_value
      - .actual_access:  write_only
        .address_space:  global
        .offset:         80
        .size:           8
        .value_kind:     global_buffer
      - .actual_access:  write_only
        .address_space:  global
        .offset:         88
        .size:           8
        .value_kind:     global_buffer
      - .offset:         96
        .size:           4
        .value_kind:     hidden_block_count_x
      - .offset:         100
        .size:           4
        .value_kind:     hidden_block_count_y
      - .offset:         104
        .size:           4
        .value_kind:     hidden_block_count_z
      - .offset:         108
        .size:           2
        .value_kind:     hidden_group_size_x
      - .offset:         110
        .size:           2
        .value_kind:     hidden_group_size_y
      - .offset:         112
        .size:           2
        .value_kind:     hidden_group_size_z
      - .offset:         114
        .size:           2
        .value_kind:     hidden_remainder_x
      - .offset:         116
        .size:           2
        .value_kind:     hidden_remainder_y
      - .offset:         118
        .size:           2
        .value_kind:     hidden_remainder_z
      - .offset:         136
        .size:           8
        .value_kind:     hidden_global_offset_x
      - .offset:         144
        .size:           8
        .value_kind:     hidden_global_offset_y
      - .offset:         152
        .size:           8
        .value_kind:     hidden_global_offset_z
      - .offset:         160
        .size:           2
        .value_kind:     hidden_grid_dims
    .group_segment_fixed_size: 128
    .kernarg_segment_align: 8
    .kernarg_segment_size: 352
    .language:       OpenCL C
    .language_version:
      - 2
      - 0
    .max_flat_workgroup_size: 512
    .name:           _ZL18rocblas_dot_kernelIlLb0ELi512ELi4ELb1EfPKffEviT5_lT_lS2_lS3_liPT6_PT4_
    .private_segment_fixed_size: 0
    .sgpr_count:     30
    .sgpr_spill_count: 0
    .symbol:         _ZL18rocblas_dot_kernelIlLb0ELi512ELi4ELb1EfPKffEviT5_lT_lS2_lS3_liPT6_PT4_.kd
    .uniform_work_group_size: 1
    .uses_dynamic_stack: false
    .vgpr_count:     11
    .vgpr_spill_count: 0
    .wavefront_size: 32
    .workgroup_processor_mode: 1
  - .args:
      - .offset:         0
        .size:           4
        .value_kind:     by_value
      - .actual_access:  read_only
        .address_space:  global
        .offset:         8
        .size:           8
        .value_kind:     global_buffer
      - .offset:         16
        .size:           8
        .value_kind:     by_value
      - .offset:         24
        .size:           8
        .value_kind:     by_value
      - .offset:         32
        .size:           8
        .value_kind:     by_value
      - .offset:         40
        .size:           4
        .value_kind:     by_value
      - .actual_access:  write_only
        .address_space:  global
        .offset:         48
        .size:           8
        .value_kind:     global_buffer
      - .actual_access:  write_only
        .address_space:  global
        .offset:         56
        .size:           8
        .value_kind:     global_buffer
      - .offset:         64
        .size:           4
        .value_kind:     hidden_block_count_x
      - .offset:         68
        .size:           4
        .value_kind:     hidden_block_count_y
      - .offset:         72
        .size:           4
        .value_kind:     hidden_block_count_z
      - .offset:         76
        .size:           2
        .value_kind:     hidden_group_size_x
      - .offset:         78
        .size:           2
        .value_kind:     hidden_group_size_y
      - .offset:         80
        .size:           2
        .value_kind:     hidden_group_size_z
      - .offset:         82
        .size:           2
        .value_kind:     hidden_remainder_x
      - .offset:         84
        .size:           2
        .value_kind:     hidden_remainder_y
      - .offset:         86
        .size:           2
        .value_kind:     hidden_remainder_z
      - .offset:         104
        .size:           8
        .value_kind:     hidden_global_offset_x
      - .offset:         112
        .size:           8
        .value_kind:     hidden_global_offset_y
      - .offset:         120
        .size:           8
        .value_kind:     hidden_global_offset_z
      - .offset:         128
        .size:           2
        .value_kind:     hidden_grid_dims
    .group_segment_fixed_size: 128
    .kernarg_segment_align: 8
    .kernarg_segment_size: 320
    .language:       OpenCL C
    .language_version:
      - 2
      - 0
    .max_flat_workgroup_size: 512
    .name:           _ZL24rocblas_dot_kernel_magsqIlLb0ELi512ELi4ELb1EfPKffEviT5_lT_liPT6_PT4_
    .private_segment_fixed_size: 0
    .sgpr_count:     24
    .sgpr_spill_count: 0
    .symbol:         _ZL24rocblas_dot_kernel_magsqIlLb0ELi512ELi4ELb1EfPKffEviT5_lT_liPT6_PT4_.kd
    .uniform_work_group_size: 1
    .uses_dynamic_stack: false
    .vgpr_count:     9
    .vgpr_spill_count: 0
    .wavefront_size: 32
    .workgroup_processor_mode: 1
  - .args:
      - .offset:         0
        .size:           4
        .value_kind:     by_value
      - .actual_access:  read_only
        .address_space:  global
        .offset:         8
        .size:           8
        .value_kind:     global_buffer
      - .offset:         16
        .size:           8
        .value_kind:     by_value
      - .offset:         24
        .size:           4
        .value_kind:     by_value
      - .offset:         32
        .size:           8
        .value_kind:     by_value
      - .actual_access:  read_only
        .address_space:  global
        .offset:         40
        .size:           8
        .value_kind:     global_buffer
      - .offset:         48
        .size:           8
        .value_kind:     by_value
      - .offset:         56
        .size:           4
        .value_kind:     by_value
      - .offset:         64
        .size:           8
        .value_kind:     by_value
      - .offset:         72
        .size:           4
        .value_kind:     by_value
      - .actual_access:  write_only
        .address_space:  global
        .offset:         80
        .size:           8
        .value_kind:     global_buffer
    .group_segment_fixed_size: 0
    .kernarg_segment_align: 8
    .kernarg_segment_size: 88
    .language:       OpenCL C
    .language_version:
      - 2
      - 0
    .max_flat_workgroup_size: 128
    .name:           _ZL28rocblas_dot_batched_4_kernelIiLi32ELi4ELb1EffPKPKfEviT5_lT_lS4_lS5_liPT4_
    .private_segment_fixed_size: 0
    .sgpr_count:     18
    .sgpr_spill_count: 0
    .symbol:         _ZL28rocblas_dot_batched_4_kernelIiLi32ELi4ELb1EffPKPKfEviT5_lT_lS4_lS5_liPT4_.kd
    .uniform_work_group_size: 1
    .uses_dynamic_stack: false
    .vgpr_count:     12
    .vgpr_spill_count: 0
    .wavefront_size: 32
    .workgroup_processor_mode: 1
  - .args:
      - .offset:         0
        .size:           4
        .value_kind:     by_value
      - .actual_access:  read_only
        .address_space:  global
        .offset:         8
        .size:           8
        .value_kind:     global_buffer
      - .offset:         16
        .size:           8
        .value_kind:     by_value
      - .offset:         24
        .size:           4
        .value_kind:     by_value
      - .offset:         32
        .size:           8
        .value_kind:     by_value
      - .actual_access:  read_only
        .address_space:  global
        .offset:         40
        .size:           8
        .value_kind:     global_buffer
      - .offset:         48
        .size:           8
        .value_kind:     by_value
      - .offset:         56
        .size:           4
        .value_kind:     by_value
      - .offset:         64
        .size:           8
        .value_kind:     by_value
      - .offset:         72
        .size:           4
        .value_kind:     by_value
      - .actual_access:  write_only
        .address_space:  global
        .offset:         80
        .size:           8
        .value_kind:     global_buffer
    .group_segment_fixed_size: 0
    .kernarg_segment_align: 8
    .kernarg_segment_size: 88
    .language:       OpenCL C
    .language_version:
      - 2
      - 0
    .max_flat_workgroup_size: 256
    .name:           _ZL28rocblas_dot_batched_4_kernelIiLi64ELi4ELb1EffPKPKfEviT5_lT_lS4_lS5_liPT4_
    .private_segment_fixed_size: 0
    .sgpr_count:     18
    .sgpr_spill_count: 0
    .symbol:         _ZL28rocblas_dot_batched_4_kernelIiLi64ELi4ELb1EffPKPKfEviT5_lT_lS4_lS5_liPT4_.kd
    .uniform_work_group_size: 1
    .uses_dynamic_stack: false
    .vgpr_count:     12
    .vgpr_spill_count: 0
    .wavefront_size: 32
    .workgroup_processor_mode: 1
  - .args:
      - .offset:         0
        .size:           4
        .value_kind:     by_value
      - .actual_access:  read_only
        .address_space:  global
        .offset:         8
        .size:           8
        .value_kind:     global_buffer
      - .offset:         16
        .size:           8
        .value_kind:     by_value
      - .offset:         24
        .size:           8
        .value_kind:     by_value
      - .actual_access:  read_only
        .address_space:  global
        .offset:         32
        .size:           8
        .value_kind:     global_buffer
      - .offset:         40
        .size:           8
        .value_kind:     by_value
      - .offset:         48
        .size:           8
        .value_kind:     by_value
      - .offset:         56
        .size:           4
        .value_kind:     by_value
      - .actual_access:  read_only
        .address_space:  global
        .offset:         64
        .size:           8
        .value_kind:     global_buffer
      - .actual_access:  write_only
        .address_space:  global
        .offset:         72
        .size:           8
        .value_kind:     global_buffer
    .group_segment_fixed_size: 128
    .kernarg_segment_align: 8
    .kernarg_segment_size: 80
    .language:       OpenCL C
    .language_version:
      - 2
      - 0
    .max_flat_workgroup_size: 1024
    .name:           _ZL26rocblas_dot_kernel_inc1by2ILb1ELi1024ELi32ELb1EfPKPKffEviT4_llS4_lliPT5_PT3_
    .private_segment_fixed_size: 0
    .sgpr_count:     21
    .sgpr_spill_count: 0
    .symbol:         _ZL26rocblas_dot_kernel_inc1by2ILb1ELi1024ELi32ELb1EfPKPKffEviT4_llS4_lliPT5_PT3_.kd
    .uniform_work_group_size: 1
    .uses_dynamic_stack: false
    .vgpr_count:     11
    .vgpr_spill_count: 0
    .wavefront_size: 32
    .workgroup_processor_mode: 1
  - .args:
      - .offset:         0
        .size:           4
        .value_kind:     by_value
      - .actual_access:  read_only
        .address_space:  global
        .offset:         8
        .size:           8
        .value_kind:     global_buffer
      - .offset:         16
        .size:           8
        .value_kind:     by_value
      - .offset:         24
        .size:           4
        .value_kind:     by_value
      - .offset:         32
        .size:           8
        .value_kind:     by_value
      - .actual_access:  read_only
        .address_space:  global
        .offset:         40
        .size:           8
        .value_kind:     global_buffer
      - .offset:         48
        .size:           8
        .value_kind:     by_value
      - .offset:         56
        .size:           4
        .value_kind:     by_value
      - .offset:         64
        .size:           8
        .value_kind:     by_value
      - .offset:         72
        .size:           4
        .value_kind:     by_value
      - .actual_access:  read_only
        .address_space:  global
        .offset:         80
        .size:           8
        .value_kind:     global_buffer
      - .actual_access:  write_only
        .address_space:  global
        .offset:         88
        .size:           8
        .value_kind:     global_buffer
      - .offset:         96
        .size:           4
        .value_kind:     hidden_block_count_x
      - .offset:         100
        .size:           4
        .value_kind:     hidden_block_count_y
      - .offset:         104
        .size:           4
        .value_kind:     hidden_block_count_z
      - .offset:         108
        .size:           2
        .value_kind:     hidden_group_size_x
      - .offset:         110
        .size:           2
        .value_kind:     hidden_group_size_y
      - .offset:         112
        .size:           2
        .value_kind:     hidden_group_size_z
      - .offset:         114
        .size:           2
        .value_kind:     hidden_remainder_x
      - .offset:         116
        .size:           2
        .value_kind:     hidden_remainder_y
      - .offset:         118
        .size:           2
        .value_kind:     hidden_remainder_z
      - .offset:         136
        .size:           8
        .value_kind:     hidden_global_offset_x
      - .offset:         144
        .size:           8
        .value_kind:     hidden_global_offset_y
      - .offset:         152
        .size:           8
        .value_kind:     hidden_global_offset_z
      - .offset:         160
        .size:           2
        .value_kind:     hidden_grid_dims
    .group_segment_fixed_size: 128
    .kernarg_segment_align: 8
    .kernarg_segment_size: 352
    .language:       OpenCL C
    .language_version:
      - 2
      - 0
    .max_flat_workgroup_size: 1024
    .name:           _ZL18rocblas_dot_kernelIiLb1ELi1024ELi32ELb1EfPKPKffEviT5_lT_lS4_lS5_liPT6_PT4_
    .private_segment_fixed_size: 0
    .sgpr_count:     23
    .sgpr_spill_count: 0
    .symbol:         _ZL18rocblas_dot_kernelIiLb1ELi1024ELi32ELb1EfPKPKffEviT5_lT_lS4_lS5_liPT6_PT4_.kd
    .uniform_work_group_size: 1
    .uses_dynamic_stack: false
    .vgpr_count:     10
    .vgpr_spill_count: 0
    .wavefront_size: 32
    .workgroup_processor_mode: 1
  - .args:
      - .offset:         0
        .size:           4
        .value_kind:     by_value
      - .actual_access:  read_only
        .address_space:  global
        .offset:         8
        .size:           8
        .value_kind:     global_buffer
      - .offset:         16
        .size:           8
        .value_kind:     by_value
      - .offset:         24
        .size:           4
        .value_kind:     by_value
      - .offset:         32
        .size:           8
        .value_kind:     by_value
      - .offset:         40
        .size:           4
        .value_kind:     by_value
      - .actual_access:  read_only
        .address_space:  global
        .offset:         48
        .size:           8
        .value_kind:     global_buffer
      - .actual_access:  write_only
        .address_space:  global
        .offset:         56
        .size:           8
        .value_kind:     global_buffer
      - .offset:         64
        .size:           4
        .value_kind:     hidden_block_count_x
      - .offset:         68
        .size:           4
        .value_kind:     hidden_block_count_y
      - .offset:         72
        .size:           4
        .value_kind:     hidden_block_count_z
      - .offset:         76
        .size:           2
        .value_kind:     hidden_group_size_x
      - .offset:         78
        .size:           2
        .value_kind:     hidden_group_size_y
      - .offset:         80
        .size:           2
        .value_kind:     hidden_group_size_z
      - .offset:         82
        .size:           2
        .value_kind:     hidden_remainder_x
      - .offset:         84
        .size:           2
        .value_kind:     hidden_remainder_y
      - .offset:         86
        .size:           2
        .value_kind:     hidden_remainder_z
      - .offset:         104
        .size:           8
        .value_kind:     hidden_global_offset_x
      - .offset:         112
        .size:           8
        .value_kind:     hidden_global_offset_y
      - .offset:         120
        .size:           8
        .value_kind:     hidden_global_offset_z
      - .offset:         128
        .size:           2
        .value_kind:     hidden_grid_dims
    .group_segment_fixed_size: 128
    .kernarg_segment_align: 8
    .kernarg_segment_size: 320
    .language:       OpenCL C
    .language_version:
      - 2
      - 0
    .max_flat_workgroup_size: 1024
    .name:           _ZL24rocblas_dot_kernel_magsqIiLb1ELi1024ELi32ELb1EfPKPKffEviT5_lT_liPT6_PT4_
    .private_segment_fixed_size: 0
    .sgpr_count:     19
    .sgpr_spill_count: 0
    .symbol:         _ZL24rocblas_dot_kernel_magsqIiLb1ELi1024ELi32ELb1EfPKPKffEviT5_lT_liPT6_PT4_.kd
    .uniform_work_group_size: 1
    .uses_dynamic_stack: false
    .vgpr_count:     10
    .vgpr_spill_count: 0
    .wavefront_size: 32
    .workgroup_processor_mode: 1
  - .args:
      - .offset:         0
        .size:           4
        .value_kind:     by_value
      - .actual_access:  read_only
        .address_space:  global
        .offset:         8
        .size:           8
        .value_kind:     global_buffer
      - .offset:         16
        .size:           8
        .value_kind:     by_value
      - .offset:         24
        .size:           8
        .value_kind:     by_value
      - .actual_access:  read_only
        .address_space:  global
        .offset:         32
        .size:           8
        .value_kind:     global_buffer
      - .offset:         40
        .size:           8
        .value_kind:     by_value
      - .offset:         48
        .size:           8
        .value_kind:     by_value
      - .offset:         56
        .size:           4
        .value_kind:     by_value
      - .actual_access:  write_only
        .address_space:  global
        .offset:         64
        .size:           8
        .value_kind:     global_buffer
      - .actual_access:  write_only
        .address_space:  global
        .offset:         72
        .size:           8
        .value_kind:     global_buffer
      - .offset:         80
        .size:           4
        .value_kind:     hidden_block_count_x
      - .offset:         84
        .size:           4
        .value_kind:     hidden_block_count_y
      - .offset:         88
        .size:           4
        .value_kind:     hidden_block_count_z
      - .offset:         92
        .size:           2
        .value_kind:     hidden_group_size_x
      - .offset:         94
        .size:           2
        .value_kind:     hidden_group_size_y
      - .offset:         96
        .size:           2
        .value_kind:     hidden_group_size_z
      - .offset:         98
        .size:           2
        .value_kind:     hidden_remainder_x
      - .offset:         100
        .size:           2
        .value_kind:     hidden_remainder_y
      - .offset:         102
        .size:           2
        .value_kind:     hidden_remainder_z
      - .offset:         120
        .size:           8
        .value_kind:     hidden_global_offset_x
      - .offset:         128
        .size:           8
        .value_kind:     hidden_global_offset_y
      - .offset:         136
        .size:           8
        .value_kind:     hidden_global_offset_z
      - .offset:         144
        .size:           2
        .value_kind:     hidden_grid_dims
    .group_segment_fixed_size: 128
    .kernarg_segment_align: 8
    .kernarg_segment_size: 336
    .language:       OpenCL C
    .language_version:
      - 2
      - 0
    .max_flat_workgroup_size: 512
    .name:           _ZL23rocblas_dot_kernel_inc1ILb0ELi512ELi4ELb1EfPKPKffEviT4_llS4_lliPT5_PT3_
    .private_segment_fixed_size: 0
    .sgpr_count:     26
    .sgpr_spill_count: 0
    .symbol:         _ZL23rocblas_dot_kernel_inc1ILb0ELi512ELi4ELb1EfPKPKffEviT4_llS4_lliPT5_PT3_.kd
    .uniform_work_group_size: 1
    .uses_dynamic_stack: false
    .vgpr_count:     10
    .vgpr_spill_count: 0
    .wavefront_size: 32
    .workgroup_processor_mode: 1
  - .args:
      - .offset:         0
        .size:           4
        .value_kind:     by_value
      - .actual_access:  read_only
        .address_space:  global
        .offset:         8
        .size:           8
        .value_kind:     global_buffer
      - .offset:         16
        .size:           8
        .value_kind:     by_value
      - .offset:         24
        .size:           4
        .value_kind:     by_value
      - .offset:         32
        .size:           8
        .value_kind:     by_value
      - .actual_access:  read_only
        .address_space:  global
        .offset:         40
        .size:           8
        .value_kind:     global_buffer
      - .offset:         48
        .size:           8
        .value_kind:     by_value
      - .offset:         56
        .size:           4
        .value_kind:     by_value
      - .offset:         64
        .size:           8
        .value_kind:     by_value
      - .offset:         72
        .size:           4
        .value_kind:     by_value
      - .actual_access:  write_only
        .address_space:  global
        .offset:         80
        .size:           8
        .value_kind:     global_buffer
      - .actual_access:  write_only
        .address_space:  global
        .offset:         88
        .size:           8
        .value_kind:     global_buffer
      - .offset:         96
        .size:           4
        .value_kind:     hidden_block_count_x
      - .offset:         100
        .size:           4
        .value_kind:     hidden_block_count_y
      - .offset:         104
        .size:           4
        .value_kind:     hidden_block_count_z
      - .offset:         108
        .size:           2
        .value_kind:     hidden_group_size_x
      - .offset:         110
        .size:           2
        .value_kind:     hidden_group_size_y
      - .offset:         112
        .size:           2
        .value_kind:     hidden_group_size_z
      - .offset:         114
        .size:           2
        .value_kind:     hidden_remainder_x
      - .offset:         116
        .size:           2
        .value_kind:     hidden_remainder_y
      - .offset:         118
        .size:           2
        .value_kind:     hidden_remainder_z
      - .offset:         136
        .size:           8
        .value_kind:     hidden_global_offset_x
      - .offset:         144
        .size:           8
        .value_kind:     hidden_global_offset_y
      - .offset:         152
        .size:           8
        .value_kind:     hidden_global_offset_z
      - .offset:         160
        .size:           2
        .value_kind:     hidden_grid_dims
    .group_segment_fixed_size: 128
    .kernarg_segment_align: 8
    .kernarg_segment_size: 352
    .language:       OpenCL C
    .language_version:
      - 2
      - 0
    .max_flat_workgroup_size: 512
    .name:           _ZL18rocblas_dot_kernelIiLb0ELi512ELi4ELb1EfPKPKffEviT5_lT_lS4_lS5_liPT6_PT4_
    .private_segment_fixed_size: 0
    .sgpr_count:     27
    .sgpr_spill_count: 0
    .symbol:         _ZL18rocblas_dot_kernelIiLb0ELi512ELi4ELb1EfPKPKffEviT5_lT_lS4_lS5_liPT6_PT4_.kd
    .uniform_work_group_size: 1
    .uses_dynamic_stack: false
    .vgpr_count:     9
    .vgpr_spill_count: 0
    .wavefront_size: 32
    .workgroup_processor_mode: 1
  - .args:
      - .offset:         0
        .size:           4
        .value_kind:     by_value
      - .actual_access:  read_only
        .address_space:  global
        .offset:         8
        .size:           8
        .value_kind:     global_buffer
      - .offset:         16
        .size:           8
        .value_kind:     by_value
      - .offset:         24
        .size:           4
        .value_kind:     by_value
      - .offset:         32
        .size:           8
        .value_kind:     by_value
      - .offset:         40
        .size:           4
        .value_kind:     by_value
      - .actual_access:  write_only
        .address_space:  global
        .offset:         48
        .size:           8
        .value_kind:     global_buffer
      - .actual_access:  write_only
        .address_space:  global
        .offset:         56
        .size:           8
        .value_kind:     global_buffer
      - .offset:         64
        .size:           4
        .value_kind:     hidden_block_count_x
      - .offset:         68
        .size:           4
        .value_kind:     hidden_block_count_y
      - .offset:         72
        .size:           4
        .value_kind:     hidden_block_count_z
      - .offset:         76
        .size:           2
        .value_kind:     hidden_group_size_x
      - .offset:         78
        .size:           2
        .value_kind:     hidden_group_size_y
      - .offset:         80
        .size:           2
        .value_kind:     hidden_group_size_z
      - .offset:         82
        .size:           2
        .value_kind:     hidden_remainder_x
      - .offset:         84
        .size:           2
        .value_kind:     hidden_remainder_y
      - .offset:         86
        .size:           2
        .value_kind:     hidden_remainder_z
      - .offset:         104
        .size:           8
        .value_kind:     hidden_global_offset_x
      - .offset:         112
        .size:           8
        .value_kind:     hidden_global_offset_y
      - .offset:         120
        .size:           8
        .value_kind:     hidden_global_offset_z
      - .offset:         128
        .size:           2
        .value_kind:     hidden_grid_dims
    .group_segment_fixed_size: 128
    .kernarg_segment_align: 8
    .kernarg_segment_size: 320
    .language:       OpenCL C
    .language_version:
      - 2
      - 0
    .max_flat_workgroup_size: 512
    .name:           _ZL24rocblas_dot_kernel_magsqIiLb0ELi512ELi4ELb1EfPKPKffEviT5_lT_liPT6_PT4_
    .private_segment_fixed_size: 0
    .sgpr_count:     22
    .sgpr_spill_count: 0
    .symbol:         _ZL24rocblas_dot_kernel_magsqIiLb0ELi512ELi4ELb1EfPKPKffEviT5_lT_liPT6_PT4_.kd
    .uniform_work_group_size: 1
    .uses_dynamic_stack: false
    .vgpr_count:     9
    .vgpr_spill_count: 0
    .wavefront_size: 32
    .workgroup_processor_mode: 1
  - .args:
      - .offset:         0
        .size:           4
        .value_kind:     by_value
      - .actual_access:  read_only
        .address_space:  global
        .offset:         8
        .size:           8
        .value_kind:     global_buffer
      - .offset:         16
        .size:           8
        .value_kind:     by_value
      - .offset:         24
        .size:           8
        .value_kind:     by_value
      - .offset:         32
        .size:           8
        .value_kind:     by_value
      - .actual_access:  read_only
        .address_space:  global
        .offset:         40
        .size:           8
        .value_kind:     global_buffer
      - .offset:         48
        .size:           8
        .value_kind:     by_value
      - .offset:         56
        .size:           8
        .value_kind:     by_value
      - .offset:         64
        .size:           8
        .value_kind:     by_value
      - .offset:         72
        .size:           4
        .value_kind:     by_value
      - .actual_access:  write_only
        .address_space:  global
        .offset:         80
        .size:           8
        .value_kind:     global_buffer
    .group_segment_fixed_size: 0
    .kernarg_segment_align: 8
    .kernarg_segment_size: 88
    .language:       OpenCL C
    .language_version:
      - 2
      - 0
    .max_flat_workgroup_size: 128
    .name:           _ZL28rocblas_dot_batched_4_kernelIlLi32ELi4ELb1EffPKPKfEviT5_lT_lS4_lS5_liPT4_
    .private_segment_fixed_size: 0
    .sgpr_count:     18
    .sgpr_spill_count: 0
    .symbol:         _ZL28rocblas_dot_batched_4_kernelIlLi32ELi4ELb1EffPKPKfEviT5_lT_lS4_lS5_liPT4_.kd
    .uniform_work_group_size: 1
    .uses_dynamic_stack: false
    .vgpr_count:     14
    .vgpr_spill_count: 0
    .wavefront_size: 32
    .workgroup_processor_mode: 1
  - .args:
      - .offset:         0
        .size:           4
        .value_kind:     by_value
      - .actual_access:  read_only
        .address_space:  global
        .offset:         8
        .size:           8
        .value_kind:     global_buffer
      - .offset:         16
        .size:           8
        .value_kind:     by_value
      - .offset:         24
        .size:           8
        .value_kind:     by_value
      - .offset:         32
        .size:           8
        .value_kind:     by_value
      - .actual_access:  read_only
        .address_space:  global
        .offset:         40
        .size:           8
        .value_kind:     global_buffer
      - .offset:         48
        .size:           8
        .value_kind:     by_value
      - .offset:         56
        .size:           8
        .value_kind:     by_value
      - .offset:         64
        .size:           8
        .value_kind:     by_value
      - .offset:         72
        .size:           4
        .value_kind:     by_value
      - .actual_access:  write_only
        .address_space:  global
        .offset:         80
        .size:           8
        .value_kind:     global_buffer
    .group_segment_fixed_size: 0
    .kernarg_segment_align: 8
    .kernarg_segment_size: 88
    .language:       OpenCL C
    .language_version:
      - 2
      - 0
    .max_flat_workgroup_size: 256
    .name:           _ZL28rocblas_dot_batched_4_kernelIlLi64ELi4ELb1EffPKPKfEviT5_lT_lS4_lS5_liPT4_
    .private_segment_fixed_size: 0
    .sgpr_count:     18
    .sgpr_spill_count: 0
    .symbol:         _ZL28rocblas_dot_batched_4_kernelIlLi64ELi4ELb1EffPKPKfEviT5_lT_lS4_lS5_liPT4_.kd
    .uniform_work_group_size: 1
    .uses_dynamic_stack: false
    .vgpr_count:     14
    .vgpr_spill_count: 0
    .wavefront_size: 32
    .workgroup_processor_mode: 1
  - .args:
      - .offset:         0
        .size:           4
        .value_kind:     by_value
      - .actual_access:  read_only
        .address_space:  global
        .offset:         8
        .size:           8
        .value_kind:     global_buffer
      - .offset:         16
        .size:           8
        .value_kind:     by_value
      - .offset:         24
        .size:           8
        .value_kind:     by_value
      - .offset:         32
        .size:           8
        .value_kind:     by_value
      - .actual_access:  read_only
        .address_space:  global
        .offset:         40
        .size:           8
        .value_kind:     global_buffer
      - .offset:         48
        .size:           8
        .value_kind:     by_value
      - .offset:         56
        .size:           8
        .value_kind:     by_value
      - .offset:         64
        .size:           8
        .value_kind:     by_value
      - .offset:         72
        .size:           4
        .value_kind:     by_value
      - .actual_access:  read_only
        .address_space:  global
        .offset:         80
        .size:           8
        .value_kind:     global_buffer
      - .actual_access:  write_only
        .address_space:  global
        .offset:         88
        .size:           8
        .value_kind:     global_buffer
      - .offset:         96
        .size:           4
        .value_kind:     hidden_block_count_x
      - .offset:         100
        .size:           4
        .value_kind:     hidden_block_count_y
      - .offset:         104
        .size:           4
        .value_kind:     hidden_block_count_z
      - .offset:         108
        .size:           2
        .value_kind:     hidden_group_size_x
      - .offset:         110
        .size:           2
        .value_kind:     hidden_group_size_y
      - .offset:         112
        .size:           2
        .value_kind:     hidden_group_size_z
      - .offset:         114
        .size:           2
        .value_kind:     hidden_remainder_x
      - .offset:         116
        .size:           2
        .value_kind:     hidden_remainder_y
      - .offset:         118
        .size:           2
        .value_kind:     hidden_remainder_z
      - .offset:         136
        .size:           8
        .value_kind:     hidden_global_offset_x
      - .offset:         144
        .size:           8
        .value_kind:     hidden_global_offset_y
      - .offset:         152
        .size:           8
        .value_kind:     hidden_global_offset_z
      - .offset:         160
        .size:           2
        .value_kind:     hidden_grid_dims
    .group_segment_fixed_size: 128
    .kernarg_segment_align: 8
    .kernarg_segment_size: 352
    .language:       OpenCL C
    .language_version:
      - 2
      - 0
    .max_flat_workgroup_size: 1024
    .name:           _ZL18rocblas_dot_kernelIlLb1ELi1024ELi32ELb1EfPKPKffEviT5_lT_lS4_lS5_liPT6_PT4_
    .private_segment_fixed_size: 0
    .sgpr_count:     27
    .sgpr_spill_count: 0
    .symbol:         _ZL18rocblas_dot_kernelIlLb1ELi1024ELi32ELb1EfPKPKffEviT5_lT_lS4_lS5_liPT6_PT4_.kd
    .uniform_work_group_size: 1
    .uses_dynamic_stack: false
    .vgpr_count:     10
    .vgpr_spill_count: 0
    .wavefront_size: 32
    .workgroup_processor_mode: 1
  - .args:
      - .offset:         0
        .size:           4
        .value_kind:     by_value
      - .actual_access:  read_only
        .address_space:  global
        .offset:         8
        .size:           8
        .value_kind:     global_buffer
      - .offset:         16
        .size:           8
        .value_kind:     by_value
      - .offset:         24
        .size:           8
        .value_kind:     by_value
      - .offset:         32
        .size:           8
        .value_kind:     by_value
      - .offset:         40
        .size:           4
        .value_kind:     by_value
      - .actual_access:  read_only
        .address_space:  global
        .offset:         48
        .size:           8
        .value_kind:     global_buffer
      - .actual_access:  write_only
        .address_space:  global
        .offset:         56
        .size:           8
        .value_kind:     global_buffer
      - .offset:         64
        .size:           4
        .value_kind:     hidden_block_count_x
      - .offset:         68
        .size:           4
        .value_kind:     hidden_block_count_y
      - .offset:         72
        .size:           4
        .value_kind:     hidden_block_count_z
      - .offset:         76
        .size:           2
        .value_kind:     hidden_group_size_x
      - .offset:         78
        .size:           2
        .value_kind:     hidden_group_size_y
      - .offset:         80
        .size:           2
        .value_kind:     hidden_group_size_z
      - .offset:         82
        .size:           2
        .value_kind:     hidden_remainder_x
      - .offset:         84
        .size:           2
        .value_kind:     hidden_remainder_y
      - .offset:         86
        .size:           2
        .value_kind:     hidden_remainder_z
      - .offset:         104
        .size:           8
        .value_kind:     hidden_global_offset_x
      - .offset:         112
        .size:           8
        .value_kind:     hidden_global_offset_y
      - .offset:         120
        .size:           8
        .value_kind:     hidden_global_offset_z
      - .offset:         128
        .size:           2
        .value_kind:     hidden_grid_dims
    .group_segment_fixed_size: 128
    .kernarg_segment_align: 8
    .kernarg_segment_size: 320
    .language:       OpenCL C
    .language_version:
      - 2
      - 0
    .max_flat_workgroup_size: 1024
    .name:           _ZL24rocblas_dot_kernel_magsqIlLb1ELi1024ELi32ELb1EfPKPKffEviT5_lT_liPT6_PT4_
    .private_segment_fixed_size: 0
    .sgpr_count:     19
    .sgpr_spill_count: 0
    .symbol:         _ZL24rocblas_dot_kernel_magsqIlLb1ELi1024ELi32ELb1EfPKPKffEviT5_lT_liPT6_PT4_.kd
    .uniform_work_group_size: 1
    .uses_dynamic_stack: false
    .vgpr_count:     10
    .vgpr_spill_count: 0
    .wavefront_size: 32
    .workgroup_processor_mode: 1
  - .args:
      - .offset:         0
        .size:           4
        .value_kind:     by_value
      - .actual_access:  read_only
        .address_space:  global
        .offset:         8
        .size:           8
        .value_kind:     global_buffer
      - .offset:         16
        .size:           8
        .value_kind:     by_value
      - .offset:         24
        .size:           8
        .value_kind:     by_value
      - .offset:         32
        .size:           8
        .value_kind:     by_value
      - .actual_access:  read_only
        .address_space:  global
        .offset:         40
        .size:           8
        .value_kind:     global_buffer
      - .offset:         48
        .size:           8
        .value_kind:     by_value
      - .offset:         56
        .size:           8
        .value_kind:     by_value
      - .offset:         64
        .size:           8
        .value_kind:     by_value
      - .offset:         72
        .size:           4
        .value_kind:     by_value
      - .actual_access:  write_only
        .address_space:  global
        .offset:         80
        .size:           8
        .value_kind:     global_buffer
      - .actual_access:  write_only
        .address_space:  global
        .offset:         88
        .size:           8
        .value_kind:     global_buffer
      - .offset:         96
        .size:           4
        .value_kind:     hidden_block_count_x
      - .offset:         100
        .size:           4
        .value_kind:     hidden_block_count_y
      - .offset:         104
        .size:           4
        .value_kind:     hidden_block_count_z
      - .offset:         108
        .size:           2
        .value_kind:     hidden_group_size_x
      - .offset:         110
        .size:           2
        .value_kind:     hidden_group_size_y
      - .offset:         112
        .size:           2
        .value_kind:     hidden_group_size_z
      - .offset:         114
        .size:           2
        .value_kind:     hidden_remainder_x
      - .offset:         116
        .size:           2
        .value_kind:     hidden_remainder_y
      - .offset:         118
        .size:           2
        .value_kind:     hidden_remainder_z
      - .offset:         136
        .size:           8
        .value_kind:     hidden_global_offset_x
      - .offset:         144
        .size:           8
        .value_kind:     hidden_global_offset_y
      - .offset:         152
        .size:           8
        .value_kind:     hidden_global_offset_z
      - .offset:         160
        .size:           2
        .value_kind:     hidden_grid_dims
    .group_segment_fixed_size: 128
    .kernarg_segment_align: 8
    .kernarg_segment_size: 352
    .language:       OpenCL C
    .language_version:
      - 2
      - 0
    .max_flat_workgroup_size: 512
    .name:           _ZL18rocblas_dot_kernelIlLb0ELi512ELi4ELb1EfPKPKffEviT5_lT_lS4_lS5_liPT6_PT4_
    .private_segment_fixed_size: 0
    .sgpr_count:     31
    .sgpr_spill_count: 0
    .symbol:         _ZL18rocblas_dot_kernelIlLb0ELi512ELi4ELb1EfPKPKffEviT5_lT_lS4_lS5_liPT6_PT4_.kd
    .uniform_work_group_size: 1
    .uses_dynamic_stack: false
    .vgpr_count:     12
    .vgpr_spill_count: 0
    .wavefront_size: 32
    .workgroup_processor_mode: 1
  - .args:
      - .offset:         0
        .size:           4
        .value_kind:     by_value
      - .actual_access:  read_only
        .address_space:  global
        .offset:         8
        .size:           8
        .value_kind:     global_buffer
      - .offset:         16
        .size:           8
        .value_kind:     by_value
      - .offset:         24
        .size:           8
        .value_kind:     by_value
      - .offset:         32
        .size:           8
        .value_kind:     by_value
      - .offset:         40
        .size:           4
        .value_kind:     by_value
      - .actual_access:  write_only
        .address_space:  global
        .offset:         48
        .size:           8
        .value_kind:     global_buffer
      - .actual_access:  write_only
        .address_space:  global
        .offset:         56
        .size:           8
        .value_kind:     global_buffer
      - .offset:         64
        .size:           4
        .value_kind:     hidden_block_count_x
      - .offset:         68
        .size:           4
        .value_kind:     hidden_block_count_y
      - .offset:         72
        .size:           4
        .value_kind:     hidden_block_count_z
      - .offset:         76
        .size:           2
        .value_kind:     hidden_group_size_x
      - .offset:         78
        .size:           2
        .value_kind:     hidden_group_size_y
      - .offset:         80
        .size:           2
        .value_kind:     hidden_group_size_z
      - .offset:         82
        .size:           2
        .value_kind:     hidden_remainder_x
      - .offset:         84
        .size:           2
        .value_kind:     hidden_remainder_y
      - .offset:         86
        .size:           2
        .value_kind:     hidden_remainder_z
      - .offset:         104
        .size:           8
        .value_kind:     hidden_global_offset_x
      - .offset:         112
        .size:           8
        .value_kind:     hidden_global_offset_y
      - .offset:         120
        .size:           8
        .value_kind:     hidden_global_offset_z
      - .offset:         128
        .size:           2
        .value_kind:     hidden_grid_dims
    .group_segment_fixed_size: 128
    .kernarg_segment_align: 8
    .kernarg_segment_size: 320
    .language:       OpenCL C
    .language_version:
      - 2
      - 0
    .max_flat_workgroup_size: 512
    .name:           _ZL24rocblas_dot_kernel_magsqIlLb0ELi512ELi4ELb1EfPKPKffEviT5_lT_liPT6_PT4_
    .private_segment_fixed_size: 0
    .sgpr_count:     22
    .sgpr_spill_count: 0
    .symbol:         _ZL24rocblas_dot_kernel_magsqIlLb0ELi512ELi4ELb1EfPKPKffEviT5_lT_liPT6_PT4_.kd
    .uniform_work_group_size: 1
    .uses_dynamic_stack: false
    .vgpr_count:     9
    .vgpr_spill_count: 0
    .wavefront_size: 32
    .workgroup_processor_mode: 1
  - .args:
      - .offset:         0
        .size:           4
        .value_kind:     by_value
      - .actual_access:  read_only
        .address_space:  global
        .offset:         8
        .size:           8
        .value_kind:     global_buffer
      - .offset:         16
        .size:           8
        .value_kind:     by_value
      - .offset:         24
        .size:           4
        .value_kind:     by_value
      - .offset:         32
        .size:           8
        .value_kind:     by_value
      - .actual_access:  read_only
        .address_space:  global
        .offset:         40
        .size:           8
        .value_kind:     global_buffer
      - .offset:         48
        .size:           8
        .value_kind:     by_value
      - .offset:         56
        .size:           4
        .value_kind:     by_value
      - .offset:         64
        .size:           8
        .value_kind:     by_value
      - .offset:         72
        .size:           4
        .value_kind:     by_value
      - .actual_access:  write_only
        .address_space:  global
        .offset:         80
        .size:           8
        .value_kind:     global_buffer
    .group_segment_fixed_size: 0
    .kernarg_segment_align: 8
    .kernarg_segment_size: 88
    .language:       OpenCL C
    .language_version:
      - 2
      - 0
    .max_flat_workgroup_size: 128
    .name:           _ZL28rocblas_dot_batched_4_kernelIiLi32ELi4ELb1EddPKdEviT5_lT_lS2_lS3_liPT4_
    .private_segment_fixed_size: 0
    .sgpr_count:     22
    .sgpr_spill_count: 0
    .symbol:         _ZL28rocblas_dot_batched_4_kernelIiLi32ELi4ELb1EddPKdEviT5_lT_lS2_lS3_liPT4_.kd
    .uniform_work_group_size: 1
    .uses_dynamic_stack: false
    .vgpr_count:     15
    .vgpr_spill_count: 0
    .wavefront_size: 32
    .workgroup_processor_mode: 1
  - .args:
      - .offset:         0
        .size:           4
        .value_kind:     by_value
      - .actual_access:  read_only
        .address_space:  global
        .offset:         8
        .size:           8
        .value_kind:     global_buffer
      - .offset:         16
        .size:           8
        .value_kind:     by_value
      - .offset:         24
        .size:           4
        .value_kind:     by_value
      - .offset:         32
        .size:           8
        .value_kind:     by_value
      - .actual_access:  read_only
        .address_space:  global
        .offset:         40
        .size:           8
        .value_kind:     global_buffer
      - .offset:         48
        .size:           8
        .value_kind:     by_value
      - .offset:         56
        .size:           4
        .value_kind:     by_value
      - .offset:         64
        .size:           8
        .value_kind:     by_value
      - .offset:         72
        .size:           4
        .value_kind:     by_value
      - .actual_access:  write_only
        .address_space:  global
        .offset:         80
        .size:           8
        .value_kind:     global_buffer
    .group_segment_fixed_size: 0
    .kernarg_segment_align: 8
    .kernarg_segment_size: 88
    .language:       OpenCL C
    .language_version:
      - 2
      - 0
    .max_flat_workgroup_size: 256
    .name:           _ZL28rocblas_dot_batched_4_kernelIiLi64ELi4ELb1EddPKdEviT5_lT_lS2_lS3_liPT4_
    .private_segment_fixed_size: 0
    .sgpr_count:     22
    .sgpr_spill_count: 0
    .symbol:         _ZL28rocblas_dot_batched_4_kernelIiLi64ELi4ELb1EddPKdEviT5_lT_lS2_lS3_liPT4_.kd
    .uniform_work_group_size: 1
    .uses_dynamic_stack: false
    .vgpr_count:     15
    .vgpr_spill_count: 0
    .wavefront_size: 32
    .workgroup_processor_mode: 1
  - .args:
      - .offset:         0
        .size:           4
        .value_kind:     by_value
      - .actual_access:  read_only
        .address_space:  global
        .offset:         8
        .size:           8
        .value_kind:     global_buffer
      - .offset:         16
        .size:           8
        .value_kind:     by_value
      - .offset:         24
        .size:           8
        .value_kind:     by_value
      - .actual_access:  read_only
        .address_space:  global
        .offset:         32
        .size:           8
        .value_kind:     global_buffer
      - .offset:         40
        .size:           8
        .value_kind:     by_value
      - .offset:         48
        .size:           8
        .value_kind:     by_value
      - .offset:         56
        .size:           4
        .value_kind:     by_value
      - .actual_access:  read_only
        .address_space:  global
        .offset:         64
        .size:           8
        .value_kind:     global_buffer
      - .actual_access:  write_only
        .address_space:  global
        .offset:         72
        .size:           8
        .value_kind:     global_buffer
    .group_segment_fixed_size: 256
    .kernarg_segment_align: 8
    .kernarg_segment_size: 80
    .language:       OpenCL C
    .language_version:
      - 2
      - 0
    .max_flat_workgroup_size: 1024
    .name:           _ZL26rocblas_dot_kernel_inc1by2ILb1ELi1024ELi32ELb1EdPKddEviT4_llS2_lliPT5_PT3_
    .private_segment_fixed_size: 0
    .sgpr_count:     21
    .sgpr_spill_count: 0
    .symbol:         _ZL26rocblas_dot_kernel_inc1by2ILb1ELi1024ELi32ELb1EdPKddEviT4_llS2_lliPT5_PT3_.kd
    .uniform_work_group_size: 1
    .uses_dynamic_stack: false
    .vgpr_count:     12
    .vgpr_spill_count: 0
    .wavefront_size: 32
    .workgroup_processor_mode: 1
  - .args:
      - .offset:         0
        .size:           4
        .value_kind:     by_value
      - .actual_access:  read_only
        .address_space:  global
        .offset:         8
        .size:           8
        .value_kind:     global_buffer
      - .offset:         16
        .size:           8
        .value_kind:     by_value
      - .offset:         24
        .size:           4
        .value_kind:     by_value
      - .offset:         32
        .size:           8
        .value_kind:     by_value
      - .actual_access:  read_only
        .address_space:  global
        .offset:         40
        .size:           8
        .value_kind:     global_buffer
      - .offset:         48
        .size:           8
        .value_kind:     by_value
      - .offset:         56
        .size:           4
        .value_kind:     by_value
      - .offset:         64
        .size:           8
        .value_kind:     by_value
      - .offset:         72
        .size:           4
        .value_kind:     by_value
      - .actual_access:  read_only
        .address_space:  global
        .offset:         80
        .size:           8
        .value_kind:     global_buffer
      - .actual_access:  write_only
        .address_space:  global
        .offset:         88
        .size:           8
        .value_kind:     global_buffer
      - .offset:         96
        .size:           4
        .value_kind:     hidden_block_count_x
      - .offset:         100
        .size:           4
        .value_kind:     hidden_block_count_y
      - .offset:         104
        .size:           4
        .value_kind:     hidden_block_count_z
      - .offset:         108
        .size:           2
        .value_kind:     hidden_group_size_x
      - .offset:         110
        .size:           2
        .value_kind:     hidden_group_size_y
      - .offset:         112
        .size:           2
        .value_kind:     hidden_group_size_z
      - .offset:         114
        .size:           2
        .value_kind:     hidden_remainder_x
      - .offset:         116
        .size:           2
        .value_kind:     hidden_remainder_y
      - .offset:         118
        .size:           2
        .value_kind:     hidden_remainder_z
      - .offset:         136
        .size:           8
        .value_kind:     hidden_global_offset_x
      - .offset:         144
        .size:           8
        .value_kind:     hidden_global_offset_y
      - .offset:         152
        .size:           8
        .value_kind:     hidden_global_offset_z
      - .offset:         160
        .size:           2
        .value_kind:     hidden_grid_dims
    .group_segment_fixed_size: 256
    .kernarg_segment_align: 8
    .kernarg_segment_size: 352
    .language:       OpenCL C
    .language_version:
      - 2
      - 0
    .max_flat_workgroup_size: 1024
    .name:           _ZL18rocblas_dot_kernelIiLb1ELi1024ELi32ELb1EdPKddEviT5_lT_lS2_lS3_liPT6_PT4_
    .private_segment_fixed_size: 0
    .sgpr_count:     27
    .sgpr_spill_count: 0
    .symbol:         _ZL18rocblas_dot_kernelIiLb1ELi1024ELi32ELb1EdPKddEviT5_lT_lS2_lS3_liPT6_PT4_.kd
    .uniform_work_group_size: 1
    .uses_dynamic_stack: false
    .vgpr_count:     12
    .vgpr_spill_count: 0
    .wavefront_size: 32
    .workgroup_processor_mode: 1
  - .args:
      - .offset:         0
        .size:           4
        .value_kind:     by_value
      - .actual_access:  read_only
        .address_space:  global
        .offset:         8
        .size:           8
        .value_kind:     global_buffer
      - .offset:         16
        .size:           8
        .value_kind:     by_value
      - .offset:         24
        .size:           4
        .value_kind:     by_value
      - .offset:         32
        .size:           8
        .value_kind:     by_value
      - .offset:         40
        .size:           4
        .value_kind:     by_value
      - .actual_access:  read_only
        .address_space:  global
        .offset:         48
        .size:           8
        .value_kind:     global_buffer
      - .actual_access:  write_only
        .address_space:  global
        .offset:         56
        .size:           8
        .value_kind:     global_buffer
      - .offset:         64
        .size:           4
        .value_kind:     hidden_block_count_x
      - .offset:         68
        .size:           4
        .value_kind:     hidden_block_count_y
      - .offset:         72
        .size:           4
        .value_kind:     hidden_block_count_z
      - .offset:         76
        .size:           2
        .value_kind:     hidden_group_size_x
      - .offset:         78
        .size:           2
        .value_kind:     hidden_group_size_y
      - .offset:         80
        .size:           2
        .value_kind:     hidden_group_size_z
      - .offset:         82
        .size:           2
        .value_kind:     hidden_remainder_x
      - .offset:         84
        .size:           2
        .value_kind:     hidden_remainder_y
      - .offset:         86
        .size:           2
        .value_kind:     hidden_remainder_z
      - .offset:         104
        .size:           8
        .value_kind:     hidden_global_offset_x
      - .offset:         112
        .size:           8
        .value_kind:     hidden_global_offset_y
      - .offset:         120
        .size:           8
        .value_kind:     hidden_global_offset_z
      - .offset:         128
        .size:           2
        .value_kind:     hidden_grid_dims
    .group_segment_fixed_size: 256
    .kernarg_segment_align: 8
    .kernarg_segment_size: 320
    .language:       OpenCL C
    .language_version:
      - 2
      - 0
    .max_flat_workgroup_size: 1024
    .name:           _ZL24rocblas_dot_kernel_magsqIiLb1ELi1024ELi32ELb1EdPKddEviT5_lT_liPT6_PT4_
    .private_segment_fixed_size: 0
    .sgpr_count:     19
    .sgpr_spill_count: 0
    .symbol:         _ZL24rocblas_dot_kernel_magsqIiLb1ELi1024ELi32ELb1EdPKddEviT5_lT_liPT6_PT4_.kd
    .uniform_work_group_size: 1
    .uses_dynamic_stack: false
    .vgpr_count:     12
    .vgpr_spill_count: 0
    .wavefront_size: 32
    .workgroup_processor_mode: 1
  - .args:
      - .offset:         0
        .size:           4
        .value_kind:     by_value
      - .actual_access:  read_only
        .address_space:  global
        .offset:         8
        .size:           8
        .value_kind:     global_buffer
      - .offset:         16
        .size:           8
        .value_kind:     by_value
      - .offset:         24
        .size:           8
        .value_kind:     by_value
      - .actual_access:  read_only
        .address_space:  global
        .offset:         32
        .size:           8
        .value_kind:     global_buffer
      - .offset:         40
        .size:           8
        .value_kind:     by_value
      - .offset:         48
        .size:           8
        .value_kind:     by_value
      - .offset:         56
        .size:           4
        .value_kind:     by_value
      - .actual_access:  write_only
        .address_space:  global
        .offset:         64
        .size:           8
        .value_kind:     global_buffer
      - .actual_access:  write_only
        .address_space:  global
        .offset:         72
        .size:           8
        .value_kind:     global_buffer
      - .offset:         80
        .size:           4
        .value_kind:     hidden_block_count_x
      - .offset:         84
        .size:           4
        .value_kind:     hidden_block_count_y
      - .offset:         88
        .size:           4
        .value_kind:     hidden_block_count_z
      - .offset:         92
        .size:           2
        .value_kind:     hidden_group_size_x
      - .offset:         94
        .size:           2
        .value_kind:     hidden_group_size_y
      - .offset:         96
        .size:           2
        .value_kind:     hidden_group_size_z
      - .offset:         98
        .size:           2
        .value_kind:     hidden_remainder_x
      - .offset:         100
        .size:           2
        .value_kind:     hidden_remainder_y
      - .offset:         102
        .size:           2
        .value_kind:     hidden_remainder_z
      - .offset:         120
        .size:           8
        .value_kind:     hidden_global_offset_x
      - .offset:         128
        .size:           8
        .value_kind:     hidden_global_offset_y
      - .offset:         136
        .size:           8
        .value_kind:     hidden_global_offset_z
      - .offset:         144
        .size:           2
        .value_kind:     hidden_grid_dims
    .group_segment_fixed_size: 256
    .kernarg_segment_align: 8
    .kernarg_segment_size: 336
    .language:       OpenCL C
    .language_version:
      - 2
      - 0
    .max_flat_workgroup_size: 512
    .name:           _ZL23rocblas_dot_kernel_inc1ILb0ELi512ELi2ELb1EdPKddEviT4_llS2_lliPT5_PT3_
    .private_segment_fixed_size: 0
    .sgpr_count:     24
    .sgpr_spill_count: 0
    .symbol:         _ZL23rocblas_dot_kernel_inc1ILb0ELi512ELi2ELb1EdPKddEviT4_llS2_lliPT5_PT3_.kd
    .uniform_work_group_size: 1
    .uses_dynamic_stack: false
    .vgpr_count:     11
    .vgpr_spill_count: 0
    .wavefront_size: 32
    .workgroup_processor_mode: 1
  - .args:
      - .offset:         0
        .size:           4
        .value_kind:     by_value
      - .actual_access:  read_only
        .address_space:  global
        .offset:         8
        .size:           8
        .value_kind:     global_buffer
      - .offset:         16
        .size:           8
        .value_kind:     by_value
      - .offset:         24
        .size:           4
        .value_kind:     by_value
      - .offset:         32
        .size:           8
        .value_kind:     by_value
      - .actual_access:  read_only
        .address_space:  global
        .offset:         40
        .size:           8
        .value_kind:     global_buffer
      - .offset:         48
        .size:           8
        .value_kind:     by_value
      - .offset:         56
        .size:           4
        .value_kind:     by_value
      - .offset:         64
        .size:           8
        .value_kind:     by_value
      - .offset:         72
        .size:           4
        .value_kind:     by_value
      - .actual_access:  write_only
        .address_space:  global
        .offset:         80
        .size:           8
        .value_kind:     global_buffer
      - .actual_access:  write_only
        .address_space:  global
        .offset:         88
        .size:           8
        .value_kind:     global_buffer
      - .offset:         96
        .size:           4
        .value_kind:     hidden_block_count_x
      - .offset:         100
        .size:           4
        .value_kind:     hidden_block_count_y
      - .offset:         104
        .size:           4
        .value_kind:     hidden_block_count_z
      - .offset:         108
        .size:           2
        .value_kind:     hidden_group_size_x
      - .offset:         110
        .size:           2
        .value_kind:     hidden_group_size_y
      - .offset:         112
        .size:           2
        .value_kind:     hidden_group_size_z
      - .offset:         114
        .size:           2
        .value_kind:     hidden_remainder_x
      - .offset:         116
        .size:           2
        .value_kind:     hidden_remainder_y
      - .offset:         118
        .size:           2
        .value_kind:     hidden_remainder_z
      - .offset:         136
        .size:           8
        .value_kind:     hidden_global_offset_x
      - .offset:         144
        .size:           8
        .value_kind:     hidden_global_offset_y
      - .offset:         152
        .size:           8
        .value_kind:     hidden_global_offset_z
      - .offset:         160
        .size:           2
        .value_kind:     hidden_grid_dims
    .group_segment_fixed_size: 256
    .kernarg_segment_align: 8
    .kernarg_segment_size: 352
    .language:       OpenCL C
    .language_version:
      - 2
      - 0
    .max_flat_workgroup_size: 512
    .name:           _ZL18rocblas_dot_kernelIiLb0ELi512ELi2ELb1EdPKddEviT5_lT_lS2_lS3_liPT6_PT4_
    .private_segment_fixed_size: 0
    .sgpr_count:     26
    .sgpr_spill_count: 0
    .symbol:         _ZL18rocblas_dot_kernelIiLb0ELi512ELi2ELb1EdPKddEviT5_lT_lS2_lS3_liPT6_PT4_.kd
    .uniform_work_group_size: 1
    .uses_dynamic_stack: false
    .vgpr_count:     11
    .vgpr_spill_count: 0
    .wavefront_size: 32
    .workgroup_processor_mode: 1
  - .args:
      - .offset:         0
        .size:           4
        .value_kind:     by_value
      - .actual_access:  read_only
        .address_space:  global
        .offset:         8
        .size:           8
        .value_kind:     global_buffer
      - .offset:         16
        .size:           8
        .value_kind:     by_value
      - .offset:         24
        .size:           4
        .value_kind:     by_value
      - .offset:         32
        .size:           8
        .value_kind:     by_value
      - .offset:         40
        .size:           4
        .value_kind:     by_value
      - .actual_access:  write_only
        .address_space:  global
        .offset:         48
        .size:           8
        .value_kind:     global_buffer
      - .actual_access:  write_only
        .address_space:  global
        .offset:         56
        .size:           8
        .value_kind:     global_buffer
      - .offset:         64
        .size:           4
        .value_kind:     hidden_block_count_x
      - .offset:         68
        .size:           4
        .value_kind:     hidden_block_count_y
      - .offset:         72
        .size:           4
        .value_kind:     hidden_block_count_z
      - .offset:         76
        .size:           2
        .value_kind:     hidden_group_size_x
      - .offset:         78
        .size:           2
        .value_kind:     hidden_group_size_y
      - .offset:         80
        .size:           2
        .value_kind:     hidden_group_size_z
      - .offset:         82
        .size:           2
        .value_kind:     hidden_remainder_x
      - .offset:         84
        .size:           2
        .value_kind:     hidden_remainder_y
      - .offset:         86
        .size:           2
        .value_kind:     hidden_remainder_z
      - .offset:         104
        .size:           8
        .value_kind:     hidden_global_offset_x
      - .offset:         112
        .size:           8
        .value_kind:     hidden_global_offset_y
      - .offset:         120
        .size:           8
        .value_kind:     hidden_global_offset_z
      - .offset:         128
        .size:           2
        .value_kind:     hidden_grid_dims
    .group_segment_fixed_size: 256
    .kernarg_segment_align: 8
    .kernarg_segment_size: 320
    .language:       OpenCL C
    .language_version:
      - 2
      - 0
    .max_flat_workgroup_size: 512
    .name:           _ZL24rocblas_dot_kernel_magsqIiLb0ELi512ELi2ELb1EdPKddEviT5_lT_liPT6_PT4_
    .private_segment_fixed_size: 0
    .sgpr_count:     18
    .sgpr_spill_count: 0
    .symbol:         _ZL24rocblas_dot_kernel_magsqIiLb0ELi512ELi2ELb1EdPKddEviT5_lT_liPT6_PT4_.kd
    .uniform_work_group_size: 1
    .uses_dynamic_stack: false
    .vgpr_count:     11
    .vgpr_spill_count: 0
    .wavefront_size: 32
    .workgroup_processor_mode: 1
  - .args:
      - .offset:         0
        .size:           4
        .value_kind:     by_value
      - .actual_access:  read_only
        .address_space:  global
        .offset:         8
        .size:           8
        .value_kind:     global_buffer
      - .offset:         16
        .size:           8
        .value_kind:     by_value
      - .offset:         24
        .size:           8
        .value_kind:     by_value
      - .offset:         32
        .size:           8
        .value_kind:     by_value
      - .actual_access:  read_only
        .address_space:  global
        .offset:         40
        .size:           8
        .value_kind:     global_buffer
      - .offset:         48
        .size:           8
        .value_kind:     by_value
      - .offset:         56
        .size:           8
        .value_kind:     by_value
      - .offset:         64
        .size:           8
        .value_kind:     by_value
      - .offset:         72
        .size:           4
        .value_kind:     by_value
      - .actual_access:  write_only
        .address_space:  global
        .offset:         80
        .size:           8
        .value_kind:     global_buffer
    .group_segment_fixed_size: 0
    .kernarg_segment_align: 8
    .kernarg_segment_size: 88
    .language:       OpenCL C
    .language_version:
      - 2
      - 0
    .max_flat_workgroup_size: 128
    .name:           _ZL28rocblas_dot_batched_4_kernelIlLi32ELi4ELb1EddPKdEviT5_lT_lS2_lS3_liPT4_
    .private_segment_fixed_size: 0
    .sgpr_count:     22
    .sgpr_spill_count: 0
    .symbol:         _ZL28rocblas_dot_batched_4_kernelIlLi32ELi4ELb1EddPKdEviT5_lT_lS2_lS3_liPT4_.kd
    .uniform_work_group_size: 1
    .uses_dynamic_stack: false
    .vgpr_count:     18
    .vgpr_spill_count: 0
    .wavefront_size: 32
    .workgroup_processor_mode: 1
  - .args:
      - .offset:         0
        .size:           4
        .value_kind:     by_value
      - .actual_access:  read_only
        .address_space:  global
        .offset:         8
        .size:           8
        .value_kind:     global_buffer
      - .offset:         16
        .size:           8
        .value_kind:     by_value
      - .offset:         24
        .size:           8
        .value_kind:     by_value
      - .offset:         32
        .size:           8
        .value_kind:     by_value
      - .actual_access:  read_only
        .address_space:  global
        .offset:         40
        .size:           8
        .value_kind:     global_buffer
      - .offset:         48
        .size:           8
        .value_kind:     by_value
      - .offset:         56
        .size:           8
        .value_kind:     by_value
      - .offset:         64
        .size:           8
        .value_kind:     by_value
      - .offset:         72
        .size:           4
        .value_kind:     by_value
      - .actual_access:  write_only
        .address_space:  global
        .offset:         80
        .size:           8
        .value_kind:     global_buffer
    .group_segment_fixed_size: 0
    .kernarg_segment_align: 8
    .kernarg_segment_size: 88
    .language:       OpenCL C
    .language_version:
      - 2
      - 0
    .max_flat_workgroup_size: 256
    .name:           _ZL28rocblas_dot_batched_4_kernelIlLi64ELi4ELb1EddPKdEviT5_lT_lS2_lS3_liPT4_
    .private_segment_fixed_size: 0
    .sgpr_count:     22
    .sgpr_spill_count: 0
    .symbol:         _ZL28rocblas_dot_batched_4_kernelIlLi64ELi4ELb1EddPKdEviT5_lT_lS2_lS3_liPT4_.kd
    .uniform_work_group_size: 1
    .uses_dynamic_stack: false
    .vgpr_count:     18
    .vgpr_spill_count: 0
    .wavefront_size: 32
    .workgroup_processor_mode: 1
  - .args:
      - .offset:         0
        .size:           4
        .value_kind:     by_value
      - .actual_access:  read_only
        .address_space:  global
        .offset:         8
        .size:           8
        .value_kind:     global_buffer
      - .offset:         16
        .size:           8
        .value_kind:     by_value
      - .offset:         24
        .size:           8
        .value_kind:     by_value
      - .offset:         32
        .size:           8
        .value_kind:     by_value
      - .actual_access:  read_only
        .address_space:  global
        .offset:         40
        .size:           8
        .value_kind:     global_buffer
      - .offset:         48
        .size:           8
        .value_kind:     by_value
      - .offset:         56
        .size:           8
        .value_kind:     by_value
      - .offset:         64
        .size:           8
        .value_kind:     by_value
      - .offset:         72
        .size:           4
        .value_kind:     by_value
      - .actual_access:  read_only
        .address_space:  global
        .offset:         80
        .size:           8
        .value_kind:     global_buffer
      - .actual_access:  write_only
        .address_space:  global
        .offset:         88
        .size:           8
        .value_kind:     global_buffer
      - .offset:         96
        .size:           4
        .value_kind:     hidden_block_count_x
      - .offset:         100
        .size:           4
        .value_kind:     hidden_block_count_y
      - .offset:         104
        .size:           4
        .value_kind:     hidden_block_count_z
      - .offset:         108
        .size:           2
        .value_kind:     hidden_group_size_x
      - .offset:         110
        .size:           2
        .value_kind:     hidden_group_size_y
      - .offset:         112
        .size:           2
        .value_kind:     hidden_group_size_z
      - .offset:         114
        .size:           2
        .value_kind:     hidden_remainder_x
      - .offset:         116
        .size:           2
        .value_kind:     hidden_remainder_y
      - .offset:         118
        .size:           2
        .value_kind:     hidden_remainder_z
      - .offset:         136
        .size:           8
        .value_kind:     hidden_global_offset_x
      - .offset:         144
        .size:           8
        .value_kind:     hidden_global_offset_y
      - .offset:         152
        .size:           8
        .value_kind:     hidden_global_offset_z
      - .offset:         160
        .size:           2
        .value_kind:     hidden_grid_dims
    .group_segment_fixed_size: 256
    .kernarg_segment_align: 8
    .kernarg_segment_size: 352
    .language:       OpenCL C
    .language_version:
      - 2
      - 0
    .max_flat_workgroup_size: 1024
    .name:           _ZL18rocblas_dot_kernelIlLb1ELi1024ELi32ELb1EdPKddEviT5_lT_lS2_lS3_liPT6_PT4_
    .private_segment_fixed_size: 0
    .sgpr_count:     30
    .sgpr_spill_count: 0
    .symbol:         _ZL18rocblas_dot_kernelIlLb1ELi1024ELi32ELb1EdPKddEviT5_lT_lS2_lS3_liPT6_PT4_.kd
    .uniform_work_group_size: 1
    .uses_dynamic_stack: false
    .vgpr_count:     12
    .vgpr_spill_count: 0
    .wavefront_size: 32
    .workgroup_processor_mode: 1
  - .args:
      - .offset:         0
        .size:           4
        .value_kind:     by_value
      - .actual_access:  read_only
        .address_space:  global
        .offset:         8
        .size:           8
        .value_kind:     global_buffer
      - .offset:         16
        .size:           8
        .value_kind:     by_value
      - .offset:         24
        .size:           8
        .value_kind:     by_value
      - .offset:         32
        .size:           8
        .value_kind:     by_value
      - .offset:         40
        .size:           4
        .value_kind:     by_value
      - .actual_access:  read_only
        .address_space:  global
        .offset:         48
        .size:           8
        .value_kind:     global_buffer
      - .actual_access:  write_only
        .address_space:  global
        .offset:         56
        .size:           8
        .value_kind:     global_buffer
      - .offset:         64
        .size:           4
        .value_kind:     hidden_block_count_x
      - .offset:         68
        .size:           4
        .value_kind:     hidden_block_count_y
      - .offset:         72
        .size:           4
        .value_kind:     hidden_block_count_z
      - .offset:         76
        .size:           2
        .value_kind:     hidden_group_size_x
      - .offset:         78
        .size:           2
        .value_kind:     hidden_group_size_y
      - .offset:         80
        .size:           2
        .value_kind:     hidden_group_size_z
      - .offset:         82
        .size:           2
        .value_kind:     hidden_remainder_x
      - .offset:         84
        .size:           2
        .value_kind:     hidden_remainder_y
      - .offset:         86
        .size:           2
        .value_kind:     hidden_remainder_z
      - .offset:         104
        .size:           8
        .value_kind:     hidden_global_offset_x
      - .offset:         112
        .size:           8
        .value_kind:     hidden_global_offset_y
      - .offset:         120
        .size:           8
        .value_kind:     hidden_global_offset_z
      - .offset:         128
        .size:           2
        .value_kind:     hidden_grid_dims
    .group_segment_fixed_size: 256
    .kernarg_segment_align: 8
    .kernarg_segment_size: 320
    .language:       OpenCL C
    .language_version:
      - 2
      - 0
    .max_flat_workgroup_size: 1024
    .name:           _ZL24rocblas_dot_kernel_magsqIlLb1ELi1024ELi32ELb1EdPKddEviT5_lT_liPT6_PT4_
    .private_segment_fixed_size: 0
    .sgpr_count:     19
    .sgpr_spill_count: 0
    .symbol:         _ZL24rocblas_dot_kernel_magsqIlLb1ELi1024ELi32ELb1EdPKddEviT5_lT_liPT6_PT4_.kd
    .uniform_work_group_size: 1
    .uses_dynamic_stack: false
    .vgpr_count:     12
    .vgpr_spill_count: 0
    .wavefront_size: 32
    .workgroup_processor_mode: 1
  - .args:
      - .offset:         0
        .size:           4
        .value_kind:     by_value
      - .actual_access:  read_only
        .address_space:  global
        .offset:         8
        .size:           8
        .value_kind:     global_buffer
      - .offset:         16
        .size:           8
        .value_kind:     by_value
      - .offset:         24
        .size:           8
        .value_kind:     by_value
      - .offset:         32
        .size:           8
        .value_kind:     by_value
      - .actual_access:  read_only
        .address_space:  global
        .offset:         40
        .size:           8
        .value_kind:     global_buffer
      - .offset:         48
        .size:           8
        .value_kind:     by_value
      - .offset:         56
        .size:           8
        .value_kind:     by_value
      - .offset:         64
        .size:           8
        .value_kind:     by_value
      - .offset:         72
        .size:           4
        .value_kind:     by_value
      - .actual_access:  write_only
        .address_space:  global
        .offset:         80
        .size:           8
        .value_kind:     global_buffer
      - .actual_access:  write_only
        .address_space:  global
        .offset:         88
        .size:           8
        .value_kind:     global_buffer
      - .offset:         96
        .size:           4
        .value_kind:     hidden_block_count_x
      - .offset:         100
        .size:           4
        .value_kind:     hidden_block_count_y
      - .offset:         104
        .size:           4
        .value_kind:     hidden_block_count_z
      - .offset:         108
        .size:           2
        .value_kind:     hidden_group_size_x
      - .offset:         110
        .size:           2
        .value_kind:     hidden_group_size_y
      - .offset:         112
        .size:           2
        .value_kind:     hidden_group_size_z
      - .offset:         114
        .size:           2
        .value_kind:     hidden_remainder_x
      - .offset:         116
        .size:           2
        .value_kind:     hidden_remainder_y
      - .offset:         118
        .size:           2
        .value_kind:     hidden_remainder_z
      - .offset:         136
        .size:           8
        .value_kind:     hidden_global_offset_x
      - .offset:         144
        .size:           8
        .value_kind:     hidden_global_offset_y
      - .offset:         152
        .size:           8
        .value_kind:     hidden_global_offset_z
      - .offset:         160
        .size:           2
        .value_kind:     hidden_grid_dims
    .group_segment_fixed_size: 256
    .kernarg_segment_align: 8
    .kernarg_segment_size: 352
    .language:       OpenCL C
    .language_version:
      - 2
      - 0
    .max_flat_workgroup_size: 512
    .name:           _ZL18rocblas_dot_kernelIlLb0ELi512ELi2ELb1EdPKddEviT5_lT_lS2_lS3_liPT6_PT4_
    .private_segment_fixed_size: 0
    .sgpr_count:     28
    .sgpr_spill_count: 0
    .symbol:         _ZL18rocblas_dot_kernelIlLb0ELi512ELi2ELb1EdPKddEviT5_lT_lS2_lS3_liPT6_PT4_.kd
    .uniform_work_group_size: 1
    .uses_dynamic_stack: false
    .vgpr_count:     12
    .vgpr_spill_count: 0
    .wavefront_size: 32
    .workgroup_processor_mode: 1
  - .args:
      - .offset:         0
        .size:           4
        .value_kind:     by_value
      - .actual_access:  read_only
        .address_space:  global
        .offset:         8
        .size:           8
        .value_kind:     global_buffer
      - .offset:         16
        .size:           8
        .value_kind:     by_value
      - .offset:         24
        .size:           8
        .value_kind:     by_value
      - .offset:         32
        .size:           8
        .value_kind:     by_value
      - .offset:         40
        .size:           4
        .value_kind:     by_value
      - .actual_access:  write_only
        .address_space:  global
        .offset:         48
        .size:           8
        .value_kind:     global_buffer
      - .actual_access:  write_only
        .address_space:  global
        .offset:         56
        .size:           8
        .value_kind:     global_buffer
      - .offset:         64
        .size:           4
        .value_kind:     hidden_block_count_x
      - .offset:         68
        .size:           4
        .value_kind:     hidden_block_count_y
      - .offset:         72
        .size:           4
        .value_kind:     hidden_block_count_z
      - .offset:         76
        .size:           2
        .value_kind:     hidden_group_size_x
      - .offset:         78
        .size:           2
        .value_kind:     hidden_group_size_y
      - .offset:         80
        .size:           2
        .value_kind:     hidden_group_size_z
      - .offset:         82
        .size:           2
        .value_kind:     hidden_remainder_x
      - .offset:         84
        .size:           2
        .value_kind:     hidden_remainder_y
      - .offset:         86
        .size:           2
        .value_kind:     hidden_remainder_z
      - .offset:         104
        .size:           8
        .value_kind:     hidden_global_offset_x
      - .offset:         112
        .size:           8
        .value_kind:     hidden_global_offset_y
      - .offset:         120
        .size:           8
        .value_kind:     hidden_global_offset_z
      - .offset:         128
        .size:           2
        .value_kind:     hidden_grid_dims
    .group_segment_fixed_size: 256
    .kernarg_segment_align: 8
    .kernarg_segment_size: 320
    .language:       OpenCL C
    .language_version:
      - 2
      - 0
    .max_flat_workgroup_size: 512
    .name:           _ZL24rocblas_dot_kernel_magsqIlLb0ELi512ELi2ELb1EdPKddEviT5_lT_liPT6_PT4_
    .private_segment_fixed_size: 0
    .sgpr_count:     20
    .sgpr_spill_count: 0
    .symbol:         _ZL24rocblas_dot_kernel_magsqIlLb0ELi512ELi2ELb1EdPKddEviT5_lT_liPT6_PT4_.kd
    .uniform_work_group_size: 1
    .uses_dynamic_stack: false
    .vgpr_count:     11
    .vgpr_spill_count: 0
    .wavefront_size: 32
    .workgroup_processor_mode: 1
  - .args:
      - .offset:         0
        .size:           4
        .value_kind:     by_value
      - .actual_access:  read_only
        .address_space:  global
        .offset:         8
        .size:           8
        .value_kind:     global_buffer
      - .offset:         16
        .size:           8
        .value_kind:     by_value
      - .offset:         24
        .size:           4
        .value_kind:     by_value
      - .offset:         32
        .size:           8
        .value_kind:     by_value
      - .actual_access:  read_only
        .address_space:  global
        .offset:         40
        .size:           8
        .value_kind:     global_buffer
      - .offset:         48
        .size:           8
        .value_kind:     by_value
      - .offset:         56
        .size:           4
        .value_kind:     by_value
      - .offset:         64
        .size:           8
        .value_kind:     by_value
      - .offset:         72
        .size:           4
        .value_kind:     by_value
      - .actual_access:  write_only
        .address_space:  global
        .offset:         80
        .size:           8
        .value_kind:     global_buffer
    .group_segment_fixed_size: 0
    .kernarg_segment_align: 8
    .kernarg_segment_size: 88
    .language:       OpenCL C
    .language_version:
      - 2
      - 0
    .max_flat_workgroup_size: 128
    .name:           _ZL28rocblas_dot_batched_4_kernelIiLi32ELi4ELb1EddPKPKdEviT5_lT_lS4_lS5_liPT4_
    .private_segment_fixed_size: 0
    .sgpr_count:     18
    .sgpr_spill_count: 0
    .symbol:         _ZL28rocblas_dot_batched_4_kernelIiLi32ELi4ELb1EddPKPKdEviT5_lT_lS4_lS5_liPT4_.kd
    .uniform_work_group_size: 1
    .uses_dynamic_stack: false
    .vgpr_count:     14
    .vgpr_spill_count: 0
    .wavefront_size: 32
    .workgroup_processor_mode: 1
  - .args:
      - .offset:         0
        .size:           4
        .value_kind:     by_value
      - .actual_access:  read_only
        .address_space:  global
        .offset:         8
        .size:           8
        .value_kind:     global_buffer
      - .offset:         16
        .size:           8
        .value_kind:     by_value
      - .offset:         24
        .size:           4
        .value_kind:     by_value
      - .offset:         32
        .size:           8
        .value_kind:     by_value
      - .actual_access:  read_only
        .address_space:  global
        .offset:         40
        .size:           8
        .value_kind:     global_buffer
      - .offset:         48
        .size:           8
        .value_kind:     by_value
      - .offset:         56
        .size:           4
        .value_kind:     by_value
      - .offset:         64
        .size:           8
        .value_kind:     by_value
      - .offset:         72
        .size:           4
        .value_kind:     by_value
      - .actual_access:  write_only
        .address_space:  global
        .offset:         80
        .size:           8
        .value_kind:     global_buffer
    .group_segment_fixed_size: 0
    .kernarg_segment_align: 8
    .kernarg_segment_size: 88
    .language:       OpenCL C
    .language_version:
      - 2
      - 0
    .max_flat_workgroup_size: 256
    .name:           _ZL28rocblas_dot_batched_4_kernelIiLi64ELi4ELb1EddPKPKdEviT5_lT_lS4_lS5_liPT4_
    .private_segment_fixed_size: 0
    .sgpr_count:     18
    .sgpr_spill_count: 0
    .symbol:         _ZL28rocblas_dot_batched_4_kernelIiLi64ELi4ELb1EddPKPKdEviT5_lT_lS4_lS5_liPT4_.kd
    .uniform_work_group_size: 1
    .uses_dynamic_stack: false
    .vgpr_count:     14
    .vgpr_spill_count: 0
    .wavefront_size: 32
    .workgroup_processor_mode: 1
  - .args:
      - .offset:         0
        .size:           4
        .value_kind:     by_value
      - .actual_access:  read_only
        .address_space:  global
        .offset:         8
        .size:           8
        .value_kind:     global_buffer
      - .offset:         16
        .size:           8
        .value_kind:     by_value
      - .offset:         24
        .size:           8
        .value_kind:     by_value
      - .actual_access:  read_only
        .address_space:  global
        .offset:         32
        .size:           8
        .value_kind:     global_buffer
      - .offset:         40
        .size:           8
        .value_kind:     by_value
      - .offset:         48
        .size:           8
        .value_kind:     by_value
      - .offset:         56
        .size:           4
        .value_kind:     by_value
      - .actual_access:  read_only
        .address_space:  global
        .offset:         64
        .size:           8
        .value_kind:     global_buffer
      - .actual_access:  write_only
        .address_space:  global
        .offset:         72
        .size:           8
        .value_kind:     global_buffer
    .group_segment_fixed_size: 256
    .kernarg_segment_align: 8
    .kernarg_segment_size: 80
    .language:       OpenCL C
    .language_version:
      - 2
      - 0
    .max_flat_workgroup_size: 1024
    .name:           _ZL26rocblas_dot_kernel_inc1by2ILb1ELi1024ELi32ELb1EdPKPKddEviT4_llS4_lliPT5_PT3_
    .private_segment_fixed_size: 0
    .sgpr_count:     18
    .sgpr_spill_count: 0
    .symbol:         _ZL26rocblas_dot_kernel_inc1by2ILb1ELi1024ELi32ELb1EdPKPKddEviT4_llS4_lliPT5_PT3_.kd
    .uniform_work_group_size: 1
    .uses_dynamic_stack: false
    .vgpr_count:     12
    .vgpr_spill_count: 0
    .wavefront_size: 32
    .workgroup_processor_mode: 1
  - .args:
      - .offset:         0
        .size:           4
        .value_kind:     by_value
      - .actual_access:  read_only
        .address_space:  global
        .offset:         8
        .size:           8
        .value_kind:     global_buffer
      - .offset:         16
        .size:           8
        .value_kind:     by_value
      - .offset:         24
        .size:           4
        .value_kind:     by_value
      - .offset:         32
        .size:           8
        .value_kind:     by_value
      - .actual_access:  read_only
        .address_space:  global
        .offset:         40
        .size:           8
        .value_kind:     global_buffer
      - .offset:         48
        .size:           8
        .value_kind:     by_value
      - .offset:         56
        .size:           4
        .value_kind:     by_value
      - .offset:         64
        .size:           8
        .value_kind:     by_value
      - .offset:         72
        .size:           4
        .value_kind:     by_value
      - .actual_access:  read_only
        .address_space:  global
        .offset:         80
        .size:           8
        .value_kind:     global_buffer
      - .actual_access:  write_only
        .address_space:  global
        .offset:         88
        .size:           8
        .value_kind:     global_buffer
      - .offset:         96
        .size:           4
        .value_kind:     hidden_block_count_x
      - .offset:         100
        .size:           4
        .value_kind:     hidden_block_count_y
      - .offset:         104
        .size:           4
        .value_kind:     hidden_block_count_z
      - .offset:         108
        .size:           2
        .value_kind:     hidden_group_size_x
      - .offset:         110
        .size:           2
        .value_kind:     hidden_group_size_y
      - .offset:         112
        .size:           2
        .value_kind:     hidden_group_size_z
      - .offset:         114
        .size:           2
        .value_kind:     hidden_remainder_x
      - .offset:         116
        .size:           2
        .value_kind:     hidden_remainder_y
      - .offset:         118
        .size:           2
        .value_kind:     hidden_remainder_z
      - .offset:         136
        .size:           8
        .value_kind:     hidden_global_offset_x
      - .offset:         144
        .size:           8
        .value_kind:     hidden_global_offset_y
      - .offset:         152
        .size:           8
        .value_kind:     hidden_global_offset_z
      - .offset:         160
        .size:           2
        .value_kind:     hidden_grid_dims
    .group_segment_fixed_size: 256
    .kernarg_segment_align: 8
    .kernarg_segment_size: 352
    .language:       OpenCL C
    .language_version:
      - 2
      - 0
    .max_flat_workgroup_size: 1024
    .name:           _ZL18rocblas_dot_kernelIiLb1ELi1024ELi32ELb1EdPKPKddEviT5_lT_lS4_lS5_liPT6_PT4_
    .private_segment_fixed_size: 0
    .sgpr_count:     23
    .sgpr_spill_count: 0
    .symbol:         _ZL18rocblas_dot_kernelIiLb1ELi1024ELi32ELb1EdPKPKddEviT5_lT_lS4_lS5_liPT6_PT4_.kd
    .uniform_work_group_size: 1
    .uses_dynamic_stack: false
    .vgpr_count:     12
    .vgpr_spill_count: 0
    .wavefront_size: 32
    .workgroup_processor_mode: 1
  - .args:
      - .offset:         0
        .size:           4
        .value_kind:     by_value
      - .actual_access:  read_only
        .address_space:  global
        .offset:         8
        .size:           8
        .value_kind:     global_buffer
      - .offset:         16
        .size:           8
        .value_kind:     by_value
      - .offset:         24
        .size:           4
        .value_kind:     by_value
      - .offset:         32
        .size:           8
        .value_kind:     by_value
      - .offset:         40
        .size:           4
        .value_kind:     by_value
      - .actual_access:  read_only
        .address_space:  global
        .offset:         48
        .size:           8
        .value_kind:     global_buffer
      - .actual_access:  write_only
        .address_space:  global
        .offset:         56
        .size:           8
        .value_kind:     global_buffer
      - .offset:         64
        .size:           4
        .value_kind:     hidden_block_count_x
      - .offset:         68
        .size:           4
        .value_kind:     hidden_block_count_y
      - .offset:         72
        .size:           4
        .value_kind:     hidden_block_count_z
      - .offset:         76
        .size:           2
        .value_kind:     hidden_group_size_x
      - .offset:         78
        .size:           2
        .value_kind:     hidden_group_size_y
      - .offset:         80
        .size:           2
        .value_kind:     hidden_group_size_z
      - .offset:         82
        .size:           2
        .value_kind:     hidden_remainder_x
      - .offset:         84
        .size:           2
        .value_kind:     hidden_remainder_y
      - .offset:         86
        .size:           2
        .value_kind:     hidden_remainder_z
      - .offset:         104
        .size:           8
        .value_kind:     hidden_global_offset_x
      - .offset:         112
        .size:           8
        .value_kind:     hidden_global_offset_y
      - .offset:         120
        .size:           8
        .value_kind:     hidden_global_offset_z
      - .offset:         128
        .size:           2
        .value_kind:     hidden_grid_dims
    .group_segment_fixed_size: 256
    .kernarg_segment_align: 8
    .kernarg_segment_size: 320
    .language:       OpenCL C
    .language_version:
      - 2
      - 0
    .max_flat_workgroup_size: 1024
    .name:           _ZL24rocblas_dot_kernel_magsqIiLb1ELi1024ELi32ELb1EdPKPKddEviT5_lT_liPT6_PT4_
    .private_segment_fixed_size: 0
    .sgpr_count:     19
    .sgpr_spill_count: 0
    .symbol:         _ZL24rocblas_dot_kernel_magsqIiLb1ELi1024ELi32ELb1EdPKPKddEviT5_lT_liPT6_PT4_.kd
    .uniform_work_group_size: 1
    .uses_dynamic_stack: false
    .vgpr_count:     12
    .vgpr_spill_count: 0
    .wavefront_size: 32
    .workgroup_processor_mode: 1
  - .args:
      - .offset:         0
        .size:           4
        .value_kind:     by_value
      - .actual_access:  read_only
        .address_space:  global
        .offset:         8
        .size:           8
        .value_kind:     global_buffer
      - .offset:         16
        .size:           8
        .value_kind:     by_value
      - .offset:         24
        .size:           8
        .value_kind:     by_value
      - .actual_access:  read_only
        .address_space:  global
        .offset:         32
        .size:           8
        .value_kind:     global_buffer
      - .offset:         40
        .size:           8
        .value_kind:     by_value
      - .offset:         48
        .size:           8
        .value_kind:     by_value
      - .offset:         56
        .size:           4
        .value_kind:     by_value
      - .actual_access:  write_only
        .address_space:  global
        .offset:         64
        .size:           8
        .value_kind:     global_buffer
      - .actual_access:  write_only
        .address_space:  global
        .offset:         72
        .size:           8
        .value_kind:     global_buffer
      - .offset:         80
        .size:           4
        .value_kind:     hidden_block_count_x
      - .offset:         84
        .size:           4
        .value_kind:     hidden_block_count_y
      - .offset:         88
        .size:           4
        .value_kind:     hidden_block_count_z
      - .offset:         92
        .size:           2
        .value_kind:     hidden_group_size_x
      - .offset:         94
        .size:           2
        .value_kind:     hidden_group_size_y
      - .offset:         96
        .size:           2
        .value_kind:     hidden_group_size_z
      - .offset:         98
        .size:           2
        .value_kind:     hidden_remainder_x
      - .offset:         100
        .size:           2
        .value_kind:     hidden_remainder_y
      - .offset:         102
        .size:           2
        .value_kind:     hidden_remainder_z
      - .offset:         120
        .size:           8
        .value_kind:     hidden_global_offset_x
      - .offset:         128
        .size:           8
        .value_kind:     hidden_global_offset_y
      - .offset:         136
        .size:           8
        .value_kind:     hidden_global_offset_z
      - .offset:         144
        .size:           2
        .value_kind:     hidden_grid_dims
    .group_segment_fixed_size: 256
    .kernarg_segment_align: 8
    .kernarg_segment_size: 336
    .language:       OpenCL C
    .language_version:
      - 2
      - 0
    .max_flat_workgroup_size: 512
    .name:           _ZL23rocblas_dot_kernel_inc1ILb0ELi512ELi2ELb1EdPKPKddEviT4_llS4_lliPT5_PT3_
    .private_segment_fixed_size: 0
    .sgpr_count:     22
    .sgpr_spill_count: 0
    .symbol:         _ZL23rocblas_dot_kernel_inc1ILb0ELi512ELi2ELb1EdPKPKddEviT4_llS4_lliPT5_PT3_.kd
    .uniform_work_group_size: 1
    .uses_dynamic_stack: false
    .vgpr_count:     11
    .vgpr_spill_count: 0
    .wavefront_size: 32
    .workgroup_processor_mode: 1
  - .args:
      - .offset:         0
        .size:           4
        .value_kind:     by_value
      - .actual_access:  read_only
        .address_space:  global
        .offset:         8
        .size:           8
        .value_kind:     global_buffer
      - .offset:         16
        .size:           8
        .value_kind:     by_value
      - .offset:         24
        .size:           4
        .value_kind:     by_value
      - .offset:         32
        .size:           8
        .value_kind:     by_value
      - .actual_access:  read_only
        .address_space:  global
        .offset:         40
        .size:           8
        .value_kind:     global_buffer
      - .offset:         48
        .size:           8
        .value_kind:     by_value
      - .offset:         56
        .size:           4
        .value_kind:     by_value
      - .offset:         64
        .size:           8
        .value_kind:     by_value
      - .offset:         72
        .size:           4
        .value_kind:     by_value
      - .actual_access:  write_only
        .address_space:  global
        .offset:         80
        .size:           8
        .value_kind:     global_buffer
      - .actual_access:  write_only
        .address_space:  global
        .offset:         88
        .size:           8
        .value_kind:     global_buffer
      - .offset:         96
        .size:           4
        .value_kind:     hidden_block_count_x
      - .offset:         100
        .size:           4
        .value_kind:     hidden_block_count_y
      - .offset:         104
        .size:           4
        .value_kind:     hidden_block_count_z
      - .offset:         108
        .size:           2
        .value_kind:     hidden_group_size_x
      - .offset:         110
        .size:           2
        .value_kind:     hidden_group_size_y
      - .offset:         112
        .size:           2
        .value_kind:     hidden_group_size_z
      - .offset:         114
        .size:           2
        .value_kind:     hidden_remainder_x
      - .offset:         116
        .size:           2
        .value_kind:     hidden_remainder_y
      - .offset:         118
        .size:           2
        .value_kind:     hidden_remainder_z
      - .offset:         136
        .size:           8
        .value_kind:     hidden_global_offset_x
      - .offset:         144
        .size:           8
        .value_kind:     hidden_global_offset_y
      - .offset:         152
        .size:           8
        .value_kind:     hidden_global_offset_z
      - .offset:         160
        .size:           2
        .value_kind:     hidden_grid_dims
    .group_segment_fixed_size: 256
    .kernarg_segment_align: 8
    .kernarg_segment_size: 352
    .language:       OpenCL C
    .language_version:
      - 2
      - 0
    .max_flat_workgroup_size: 512
    .name:           _ZL18rocblas_dot_kernelIiLb0ELi512ELi2ELb1EdPKPKddEviT5_lT_lS4_lS5_liPT6_PT4_
    .private_segment_fixed_size: 0
    .sgpr_count:     26
    .sgpr_spill_count: 0
    .symbol:         _ZL18rocblas_dot_kernelIiLb0ELi512ELi2ELb1EdPKPKddEviT5_lT_lS4_lS5_liPT6_PT4_.kd
    .uniform_work_group_size: 1
    .uses_dynamic_stack: false
    .vgpr_count:     11
    .vgpr_spill_count: 0
    .wavefront_size: 32
    .workgroup_processor_mode: 1
  - .args:
      - .offset:         0
        .size:           4
        .value_kind:     by_value
      - .actual_access:  read_only
        .address_space:  global
        .offset:         8
        .size:           8
        .value_kind:     global_buffer
      - .offset:         16
        .size:           8
        .value_kind:     by_value
      - .offset:         24
        .size:           4
        .value_kind:     by_value
      - .offset:         32
        .size:           8
        .value_kind:     by_value
      - .offset:         40
        .size:           4
        .value_kind:     by_value
      - .actual_access:  write_only
        .address_space:  global
        .offset:         48
        .size:           8
        .value_kind:     global_buffer
      - .actual_access:  write_only
        .address_space:  global
        .offset:         56
        .size:           8
        .value_kind:     global_buffer
      - .offset:         64
        .size:           4
        .value_kind:     hidden_block_count_x
      - .offset:         68
        .size:           4
        .value_kind:     hidden_block_count_y
      - .offset:         72
        .size:           4
        .value_kind:     hidden_block_count_z
      - .offset:         76
        .size:           2
        .value_kind:     hidden_group_size_x
      - .offset:         78
        .size:           2
        .value_kind:     hidden_group_size_y
      - .offset:         80
        .size:           2
        .value_kind:     hidden_group_size_z
      - .offset:         82
        .size:           2
        .value_kind:     hidden_remainder_x
      - .offset:         84
        .size:           2
        .value_kind:     hidden_remainder_y
      - .offset:         86
        .size:           2
        .value_kind:     hidden_remainder_z
      - .offset:         104
        .size:           8
        .value_kind:     hidden_global_offset_x
      - .offset:         112
        .size:           8
        .value_kind:     hidden_global_offset_y
      - .offset:         120
        .size:           8
        .value_kind:     hidden_global_offset_z
      - .offset:         128
        .size:           2
        .value_kind:     hidden_grid_dims
    .group_segment_fixed_size: 256
    .kernarg_segment_align: 8
    .kernarg_segment_size: 320
    .language:       OpenCL C
    .language_version:
      - 2
      - 0
    .max_flat_workgroup_size: 512
    .name:           _ZL24rocblas_dot_kernel_magsqIiLb0ELi512ELi2ELb1EdPKPKddEviT5_lT_liPT6_PT4_
    .private_segment_fixed_size: 0
    .sgpr_count:     18
    .sgpr_spill_count: 0
    .symbol:         _ZL24rocblas_dot_kernel_magsqIiLb0ELi512ELi2ELb1EdPKPKddEviT5_lT_liPT6_PT4_.kd
    .uniform_work_group_size: 1
    .uses_dynamic_stack: false
    .vgpr_count:     11
    .vgpr_spill_count: 0
    .wavefront_size: 32
    .workgroup_processor_mode: 1
  - .args:
      - .offset:         0
        .size:           4
        .value_kind:     by_value
      - .actual_access:  read_only
        .address_space:  global
        .offset:         8
        .size:           8
        .value_kind:     global_buffer
      - .offset:         16
        .size:           8
        .value_kind:     by_value
      - .offset:         24
        .size:           8
        .value_kind:     by_value
      - .offset:         32
        .size:           8
        .value_kind:     by_value
      - .actual_access:  read_only
        .address_space:  global
        .offset:         40
        .size:           8
        .value_kind:     global_buffer
      - .offset:         48
        .size:           8
        .value_kind:     by_value
      - .offset:         56
        .size:           8
        .value_kind:     by_value
      - .offset:         64
        .size:           8
        .value_kind:     by_value
      - .offset:         72
        .size:           4
        .value_kind:     by_value
      - .actual_access:  write_only
        .address_space:  global
        .offset:         80
        .size:           8
        .value_kind:     global_buffer
    .group_segment_fixed_size: 0
    .kernarg_segment_align: 8
    .kernarg_segment_size: 88
    .language:       OpenCL C
    .language_version:
      - 2
      - 0
    .max_flat_workgroup_size: 128
    .name:           _ZL28rocblas_dot_batched_4_kernelIlLi32ELi4ELb1EddPKPKdEviT5_lT_lS4_lS5_liPT4_
    .private_segment_fixed_size: 0
    .sgpr_count:     18
    .sgpr_spill_count: 0
    .symbol:         _ZL28rocblas_dot_batched_4_kernelIlLi32ELi4ELb1EddPKPKdEviT5_lT_lS4_lS5_liPT4_.kd
    .uniform_work_group_size: 1
    .uses_dynamic_stack: false
    .vgpr_count:     15
    .vgpr_spill_count: 0
    .wavefront_size: 32
    .workgroup_processor_mode: 1
  - .args:
      - .offset:         0
        .size:           4
        .value_kind:     by_value
      - .actual_access:  read_only
        .address_space:  global
        .offset:         8
        .size:           8
        .value_kind:     global_buffer
      - .offset:         16
        .size:           8
        .value_kind:     by_value
      - .offset:         24
        .size:           8
        .value_kind:     by_value
      - .offset:         32
        .size:           8
        .value_kind:     by_value
      - .actual_access:  read_only
        .address_space:  global
        .offset:         40
        .size:           8
        .value_kind:     global_buffer
      - .offset:         48
        .size:           8
        .value_kind:     by_value
      - .offset:         56
        .size:           8
        .value_kind:     by_value
      - .offset:         64
        .size:           8
        .value_kind:     by_value
      - .offset:         72
        .size:           4
        .value_kind:     by_value
      - .actual_access:  write_only
        .address_space:  global
        .offset:         80
        .size:           8
        .value_kind:     global_buffer
    .group_segment_fixed_size: 0
    .kernarg_segment_align: 8
    .kernarg_segment_size: 88
    .language:       OpenCL C
    .language_version:
      - 2
      - 0
    .max_flat_workgroup_size: 256
    .name:           _ZL28rocblas_dot_batched_4_kernelIlLi64ELi4ELb1EddPKPKdEviT5_lT_lS4_lS5_liPT4_
    .private_segment_fixed_size: 0
    .sgpr_count:     18
    .sgpr_spill_count: 0
    .symbol:         _ZL28rocblas_dot_batched_4_kernelIlLi64ELi4ELb1EddPKPKdEviT5_lT_lS4_lS5_liPT4_.kd
    .uniform_work_group_size: 1
    .uses_dynamic_stack: false
    .vgpr_count:     15
    .vgpr_spill_count: 0
    .wavefront_size: 32
    .workgroup_processor_mode: 1
  - .args:
      - .offset:         0
        .size:           4
        .value_kind:     by_value
      - .actual_access:  read_only
        .address_space:  global
        .offset:         8
        .size:           8
        .value_kind:     global_buffer
      - .offset:         16
        .size:           8
        .value_kind:     by_value
      - .offset:         24
        .size:           8
        .value_kind:     by_value
      - .offset:         32
        .size:           8
        .value_kind:     by_value
      - .actual_access:  read_only
        .address_space:  global
        .offset:         40
        .size:           8
        .value_kind:     global_buffer
      - .offset:         48
        .size:           8
        .value_kind:     by_value
      - .offset:         56
        .size:           8
        .value_kind:     by_value
      - .offset:         64
        .size:           8
        .value_kind:     by_value
      - .offset:         72
        .size:           4
        .value_kind:     by_value
      - .actual_access:  read_only
        .address_space:  global
        .offset:         80
        .size:           8
        .value_kind:     global_buffer
      - .actual_access:  write_only
        .address_space:  global
        .offset:         88
        .size:           8
        .value_kind:     global_buffer
      - .offset:         96
        .size:           4
        .value_kind:     hidden_block_count_x
      - .offset:         100
        .size:           4
        .value_kind:     hidden_block_count_y
      - .offset:         104
        .size:           4
        .value_kind:     hidden_block_count_z
      - .offset:         108
        .size:           2
        .value_kind:     hidden_group_size_x
      - .offset:         110
        .size:           2
        .value_kind:     hidden_group_size_y
      - .offset:         112
        .size:           2
        .value_kind:     hidden_group_size_z
      - .offset:         114
        .size:           2
        .value_kind:     hidden_remainder_x
      - .offset:         116
        .size:           2
        .value_kind:     hidden_remainder_y
      - .offset:         118
        .size:           2
        .value_kind:     hidden_remainder_z
      - .offset:         136
        .size:           8
        .value_kind:     hidden_global_offset_x
      - .offset:         144
        .size:           8
        .value_kind:     hidden_global_offset_y
      - .offset:         152
        .size:           8
        .value_kind:     hidden_global_offset_z
      - .offset:         160
        .size:           2
        .value_kind:     hidden_grid_dims
    .group_segment_fixed_size: 256
    .kernarg_segment_align: 8
    .kernarg_segment_size: 352
    .language:       OpenCL C
    .language_version:
      - 2
      - 0
    .max_flat_workgroup_size: 1024
    .name:           _ZL18rocblas_dot_kernelIlLb1ELi1024ELi32ELb1EdPKPKddEviT5_lT_lS4_lS5_liPT6_PT4_
    .private_segment_fixed_size: 0
    .sgpr_count:     27
    .sgpr_spill_count: 0
    .symbol:         _ZL18rocblas_dot_kernelIlLb1ELi1024ELi32ELb1EdPKPKddEviT5_lT_lS4_lS5_liPT6_PT4_.kd
    .uniform_work_group_size: 1
    .uses_dynamic_stack: false
    .vgpr_count:     12
    .vgpr_spill_count: 0
    .wavefront_size: 32
    .workgroup_processor_mode: 1
  - .args:
      - .offset:         0
        .size:           4
        .value_kind:     by_value
      - .actual_access:  read_only
        .address_space:  global
        .offset:         8
        .size:           8
        .value_kind:     global_buffer
      - .offset:         16
        .size:           8
        .value_kind:     by_value
      - .offset:         24
        .size:           8
        .value_kind:     by_value
      - .offset:         32
        .size:           8
        .value_kind:     by_value
      - .offset:         40
        .size:           4
        .value_kind:     by_value
      - .actual_access:  read_only
        .address_space:  global
        .offset:         48
        .size:           8
        .value_kind:     global_buffer
      - .actual_access:  write_only
        .address_space:  global
        .offset:         56
        .size:           8
        .value_kind:     global_buffer
      - .offset:         64
        .size:           4
        .value_kind:     hidden_block_count_x
      - .offset:         68
        .size:           4
        .value_kind:     hidden_block_count_y
      - .offset:         72
        .size:           4
        .value_kind:     hidden_block_count_z
      - .offset:         76
        .size:           2
        .value_kind:     hidden_group_size_x
      - .offset:         78
        .size:           2
        .value_kind:     hidden_group_size_y
      - .offset:         80
        .size:           2
        .value_kind:     hidden_group_size_z
      - .offset:         82
        .size:           2
        .value_kind:     hidden_remainder_x
      - .offset:         84
        .size:           2
        .value_kind:     hidden_remainder_y
      - .offset:         86
        .size:           2
        .value_kind:     hidden_remainder_z
      - .offset:         104
        .size:           8
        .value_kind:     hidden_global_offset_x
      - .offset:         112
        .size:           8
        .value_kind:     hidden_global_offset_y
      - .offset:         120
        .size:           8
        .value_kind:     hidden_global_offset_z
      - .offset:         128
        .size:           2
        .value_kind:     hidden_grid_dims
    .group_segment_fixed_size: 256
    .kernarg_segment_align: 8
    .kernarg_segment_size: 320
    .language:       OpenCL C
    .language_version:
      - 2
      - 0
    .max_flat_workgroup_size: 1024
    .name:           _ZL24rocblas_dot_kernel_magsqIlLb1ELi1024ELi32ELb1EdPKPKddEviT5_lT_liPT6_PT4_
    .private_segment_fixed_size: 0
    .sgpr_count:     19
    .sgpr_spill_count: 0
    .symbol:         _ZL24rocblas_dot_kernel_magsqIlLb1ELi1024ELi32ELb1EdPKPKddEviT5_lT_liPT6_PT4_.kd
    .uniform_work_group_size: 1
    .uses_dynamic_stack: false
    .vgpr_count:     12
    .vgpr_spill_count: 0
    .wavefront_size: 32
    .workgroup_processor_mode: 1
  - .args:
      - .offset:         0
        .size:           4
        .value_kind:     by_value
      - .actual_access:  read_only
        .address_space:  global
        .offset:         8
        .size:           8
        .value_kind:     global_buffer
      - .offset:         16
        .size:           8
        .value_kind:     by_value
      - .offset:         24
        .size:           8
        .value_kind:     by_value
      - .offset:         32
        .size:           8
        .value_kind:     by_value
      - .actual_access:  read_only
        .address_space:  global
        .offset:         40
        .size:           8
        .value_kind:     global_buffer
      - .offset:         48
        .size:           8
        .value_kind:     by_value
      - .offset:         56
        .size:           8
        .value_kind:     by_value
      - .offset:         64
        .size:           8
        .value_kind:     by_value
      - .offset:         72
        .size:           4
        .value_kind:     by_value
      - .actual_access:  write_only
        .address_space:  global
        .offset:         80
        .size:           8
        .value_kind:     global_buffer
      - .actual_access:  write_only
        .address_space:  global
        .offset:         88
        .size:           8
        .value_kind:     global_buffer
      - .offset:         96
        .size:           4
        .value_kind:     hidden_block_count_x
      - .offset:         100
        .size:           4
        .value_kind:     hidden_block_count_y
      - .offset:         104
        .size:           4
        .value_kind:     hidden_block_count_z
      - .offset:         108
        .size:           2
        .value_kind:     hidden_group_size_x
      - .offset:         110
        .size:           2
        .value_kind:     hidden_group_size_y
      - .offset:         112
        .size:           2
        .value_kind:     hidden_group_size_z
      - .offset:         114
        .size:           2
        .value_kind:     hidden_remainder_x
      - .offset:         116
        .size:           2
        .value_kind:     hidden_remainder_y
      - .offset:         118
        .size:           2
        .value_kind:     hidden_remainder_z
      - .offset:         136
        .size:           8
        .value_kind:     hidden_global_offset_x
      - .offset:         144
        .size:           8
        .value_kind:     hidden_global_offset_y
      - .offset:         152
        .size:           8
        .value_kind:     hidden_global_offset_z
      - .offset:         160
        .size:           2
        .value_kind:     hidden_grid_dims
    .group_segment_fixed_size: 256
    .kernarg_segment_align: 8
    .kernarg_segment_size: 352
    .language:       OpenCL C
    .language_version:
      - 2
      - 0
    .max_flat_workgroup_size: 512
    .name:           _ZL18rocblas_dot_kernelIlLb0ELi512ELi2ELb1EdPKPKddEviT5_lT_lS4_lS5_liPT6_PT4_
    .private_segment_fixed_size: 0
    .sgpr_count:     24
    .sgpr_spill_count: 0
    .symbol:         _ZL18rocblas_dot_kernelIlLb0ELi512ELi2ELb1EdPKPKddEviT5_lT_lS4_lS5_liPT6_PT4_.kd
    .uniform_work_group_size: 1
    .uses_dynamic_stack: false
    .vgpr_count:     12
    .vgpr_spill_count: 0
    .wavefront_size: 32
    .workgroup_processor_mode: 1
  - .args:
      - .offset:         0
        .size:           4
        .value_kind:     by_value
      - .actual_access:  read_only
        .address_space:  global
        .offset:         8
        .size:           8
        .value_kind:     global_buffer
      - .offset:         16
        .size:           8
        .value_kind:     by_value
      - .offset:         24
        .size:           8
        .value_kind:     by_value
      - .offset:         32
        .size:           8
        .value_kind:     by_value
      - .offset:         40
        .size:           4
        .value_kind:     by_value
      - .actual_access:  write_only
        .address_space:  global
        .offset:         48
        .size:           8
        .value_kind:     global_buffer
      - .actual_access:  write_only
        .address_space:  global
        .offset:         56
        .size:           8
        .value_kind:     global_buffer
      - .offset:         64
        .size:           4
        .value_kind:     hidden_block_count_x
      - .offset:         68
        .size:           4
        .value_kind:     hidden_block_count_y
      - .offset:         72
        .size:           4
        .value_kind:     hidden_block_count_z
      - .offset:         76
        .size:           2
        .value_kind:     hidden_group_size_x
      - .offset:         78
        .size:           2
        .value_kind:     hidden_group_size_y
      - .offset:         80
        .size:           2
        .value_kind:     hidden_group_size_z
      - .offset:         82
        .size:           2
        .value_kind:     hidden_remainder_x
      - .offset:         84
        .size:           2
        .value_kind:     hidden_remainder_y
      - .offset:         86
        .size:           2
        .value_kind:     hidden_remainder_z
      - .offset:         104
        .size:           8
        .value_kind:     hidden_global_offset_x
      - .offset:         112
        .size:           8
        .value_kind:     hidden_global_offset_y
      - .offset:         120
        .size:           8
        .value_kind:     hidden_global_offset_z
      - .offset:         128
        .size:           2
        .value_kind:     hidden_grid_dims
    .group_segment_fixed_size: 256
    .kernarg_segment_align: 8
    .kernarg_segment_size: 320
    .language:       OpenCL C
    .language_version:
      - 2
      - 0
    .max_flat_workgroup_size: 512
    .name:           _ZL24rocblas_dot_kernel_magsqIlLb0ELi512ELi2ELb1EdPKPKddEviT5_lT_liPT6_PT4_
    .private_segment_fixed_size: 0
    .sgpr_count:     20
    .sgpr_spill_count: 0
    .symbol:         _ZL24rocblas_dot_kernel_magsqIlLb0ELi512ELi2ELb1EdPKPKddEviT5_lT_liPT6_PT4_.kd
    .uniform_work_group_size: 1
    .uses_dynamic_stack: false
    .vgpr_count:     11
    .vgpr_spill_count: 0
    .wavefront_size: 32
    .workgroup_processor_mode: 1
amdhsa.target:   amdgcn-amd-amdhsa--gfx1100
amdhsa.version:
  - 1
  - 2
...

	.end_amdgpu_metadata
